;; amdgpu-corpus repo=ggml-org/llama.cpp kind=compiled arch=gfx1100 opt=O3
	.text
	.amdgcn_target "amdgcn-amd-amdhsa--gfx1100"
	.amdhsa_code_object_version 6
	.p2align	2                               ; -- Begin function __ockl_printf_append_string_n
	.type	__ockl_printf_append_string_n,@function
__ockl_printf_append_string_n:          ; @__ockl_printf_append_string_n
; %bb.0:
	s_waitcnt vmcnt(0) expcnt(0) lgkmcnt(0)
	v_dual_mov_b32 v7, v3 :: v_dual_mov_b32 v6, v2
	v_mov_b32_e32 v3, v0
	v_mbcnt_lo_u32_b32 v32, -1, 0
	s_mov_b32 s0, exec_lo
	s_delay_alu instid0(VALU_DEP_3)
	v_cmpx_ne_u64_e32 0, v[6:7]
	s_xor_b32 s10, exec_lo, s0
	s_cbranch_execz .LBB0_86
; %bb.1:
	s_load_b64 s[2:3], s[8:9], 0x50
	v_dual_mov_b32 v10, 2 :: v_dual_and_b32 v33, 2, v3
	v_dual_mov_b32 v9, 0 :: v_dual_and_b32 v0, -3, v3
	v_mov_b32_e32 v11, 1
	s_mov_b32 s12, 0
	s_mov_b32 s11, 0
	s_branch .LBB0_3
.LBB0_2:                                ;   in Loop: Header=BB0_3 Depth=1
	s_or_b32 exec_lo, exec_lo, s1
	v_sub_co_u32 v4, vcc_lo, v4, v28
	v_sub_co_ci_u32_e32 v5, vcc_lo, v5, v29, vcc_lo
	v_add_co_u32 v6, s0, v6, v28
	s_delay_alu instid0(VALU_DEP_1) | instskip(NEXT) | instid1(VALU_DEP_3)
	v_add_co_ci_u32_e64 v7, s0, v7, v29, s0
	v_cmp_eq_u64_e32 vcc_lo, 0, v[4:5]
	s_or_b32 s11, vcc_lo, s11
	s_delay_alu instid0(SALU_CYCLE_1)
	s_and_not1_b32 exec_lo, exec_lo, s11
	s_cbranch_execz .LBB0_85
.LBB0_3:                                ; =>This Loop Header: Depth=1
                                        ;     Child Loop BB0_6 Depth 2
                                        ;     Child Loop BB0_14 Depth 2
	;; [unrolled: 1-line block ×11, first 2 shown]
	v_cmp_gt_u64_e32 vcc_lo, 56, v[4:5]
	s_mov_b32 s1, exec_lo
                                        ; implicit-def: $vgpr2_vgpr3
                                        ; implicit-def: $sgpr4
	v_dual_cndmask_b32 v29, 0, v5 :: v_dual_cndmask_b32 v28, 56, v4
	v_cmpx_gt_u64_e32 8, v[4:5]
	s_xor_b32 s1, exec_lo, s1
	s_cbranch_execz .LBB0_9
; %bb.4:                                ;   in Loop: Header=BB0_3 Depth=1
	s_waitcnt vmcnt(0)
	v_mov_b32_e32 v2, 0
	v_mov_b32_e32 v3, 0
	s_mov_b64 s[4:5], 0
	s_mov_b32 s6, exec_lo
	v_cmpx_ne_u64_e32 0, v[4:5]
	s_cbranch_execz .LBB0_8
; %bb.5:                                ;   in Loop: Header=BB0_3 Depth=1
	v_lshlrev_b64 v[12:13], 3, v[28:29]
	v_mov_b32_e32 v2, 0
	v_dual_mov_b32 v3, 0 :: v_dual_mov_b32 v14, v7
	v_mov_b32_e32 v13, v6
	s_mov_b32 s7, 0
	.p2align	6
.LBB0_6:                                ;   Parent Loop BB0_3 Depth=1
                                        ; =>  This Inner Loop Header: Depth=2
	flat_load_u8 v8, v[13:14]
	v_mov_b32_e32 v16, s12
	v_add_co_u32 v13, vcc_lo, v13, 1
	v_add_co_ci_u32_e32 v14, vcc_lo, 0, v14, vcc_lo
	s_waitcnt vmcnt(0) lgkmcnt(0)
	v_and_b32_e32 v15, 0xffff, v8
	s_delay_alu instid0(VALU_DEP_1) | instskip(SKIP_3) | instid1(VALU_DEP_2)
	v_lshlrev_b64 v[15:16], s4, v[15:16]
	s_add_u32 s4, s4, 8
	s_addc_u32 s5, s5, 0
	v_cmp_eq_u32_e64 s0, s4, v12
	v_or_b32_e32 v3, v16, v3
	s_delay_alu instid0(VALU_DEP_3) | instskip(NEXT) | instid1(VALU_DEP_3)
	v_or_b32_e32 v2, v15, v2
	s_or_b32 s7, s0, s7
	s_delay_alu instid0(SALU_CYCLE_1)
	s_and_not1_b32 exec_lo, exec_lo, s7
	s_cbranch_execnz .LBB0_6
; %bb.7:                                ;   in Loop: Header=BB0_3 Depth=1
	s_or_b32 exec_lo, exec_lo, s7
.LBB0_8:                                ;   in Loop: Header=BB0_3 Depth=1
	s_delay_alu instid0(SALU_CYCLE_1)
	s_or_b32 exec_lo, exec_lo, s6
	s_mov_b32 s4, 0
.LBB0_9:                                ;   in Loop: Header=BB0_3 Depth=1
	s_or_saveexec_b32 s0, s1
	v_dual_mov_b32 v8, s4 :: v_dual_mov_b32 v25, v7
	v_mov_b32_e32 v24, v6
	s_xor_b32 exec_lo, exec_lo, s0
	s_cbranch_execz .LBB0_11
; %bb.10:                               ;   in Loop: Header=BB0_3 Depth=1
	s_waitcnt vmcnt(0)
	flat_load_b64 v[2:3], v[6:7]
	v_add_co_u32 v24, vcc_lo, v6, 8
	v_add_co_ci_u32_e32 v25, vcc_lo, 0, v7, vcc_lo
	s_waitcnt vmcnt(0) lgkmcnt(0)
	v_and_b32_e32 v8, 0xff, v3
	v_and_b32_e32 v12, 0xff00, v3
	;; [unrolled: 1-line block ×4, first 2 shown]
	v_or3_b32 v2, v2, 0, 0
	s_delay_alu instid0(VALU_DEP_4) | instskip(SKIP_1) | instid1(VALU_DEP_2)
	v_or_b32_e32 v12, v8, v12
	v_add_nc_u32_e32 v8, -8, v28
	v_or3_b32 v3, v12, v13, v3
.LBB0_11:                               ;   in Loop: Header=BB0_3 Depth=1
	s_or_b32 exec_lo, exec_lo, s0
                                        ; implicit-def: $vgpr12_vgpr13
                                        ; implicit-def: $sgpr1
	s_delay_alu instid0(SALU_CYCLE_1) | instskip(NEXT) | instid1(VALU_DEP_2)
	s_mov_b32 s0, exec_lo
	v_cmpx_gt_u32_e32 8, v8
	s_xor_b32 s6, exec_lo, s0
	s_cbranch_execz .LBB0_17
; %bb.12:                               ;   in Loop: Header=BB0_3 Depth=1
	v_mov_b32_e32 v12, 0
	v_mov_b32_e32 v13, 0
	s_mov_b32 s7, exec_lo
	v_cmpx_ne_u32_e32 0, v8
	s_cbranch_execz .LBB0_16
; %bb.13:                               ;   in Loop: Header=BB0_3 Depth=1
	v_mov_b32_e32 v12, 0
	v_mov_b32_e32 v13, 0
	s_mov_b64 s[0:1], 0
	s_mov_b32 s13, 0
	s_mov_b64 s[4:5], 0
	.p2align	6
.LBB0_14:                               ;   Parent Loop BB0_3 Depth=1
                                        ; =>  This Inner Loop Header: Depth=2
	s_delay_alu instid0(SALU_CYCLE_1)
	v_add_co_u32 v14, vcc_lo, v24, s4
	v_add_co_ci_u32_e32 v15, vcc_lo, s5, v25, vcc_lo
	s_add_u32 s4, s4, 1
	s_addc_u32 s5, s5, 0
	v_cmp_eq_u32_e32 vcc_lo, s4, v8
	flat_load_u8 v14, v[14:15]
	s_waitcnt vmcnt(0) lgkmcnt(0)
	v_dual_mov_b32 v15, s12 :: v_dual_and_b32 v14, 0xffff, v14
	s_delay_alu instid0(VALU_DEP_1) | instskip(SKIP_3) | instid1(VALU_DEP_1)
	v_lshlrev_b64 v[14:15], s0, v[14:15]
	s_add_u32 s0, s0, 8
	s_addc_u32 s1, s1, 0
	s_or_b32 s13, vcc_lo, s13
	v_or_b32_e32 v13, v15, v13
	s_delay_alu instid0(VALU_DEP_2)
	v_or_b32_e32 v12, v14, v12
	s_and_not1_b32 exec_lo, exec_lo, s13
	s_cbranch_execnz .LBB0_14
; %bb.15:                               ;   in Loop: Header=BB0_3 Depth=1
	s_or_b32 exec_lo, exec_lo, s13
.LBB0_16:                               ;   in Loop: Header=BB0_3 Depth=1
	s_delay_alu instid0(SALU_CYCLE_1)
	s_or_b32 exec_lo, exec_lo, s7
	s_mov_b32 s1, 0
                                        ; implicit-def: $vgpr8
.LBB0_17:                               ;   in Loop: Header=BB0_3 Depth=1
	s_or_saveexec_b32 s0, s6
	v_mov_b32_e32 v16, s1
	s_xor_b32 exec_lo, exec_lo, s0
	s_cbranch_execz .LBB0_19
; %bb.18:                               ;   in Loop: Header=BB0_3 Depth=1
	flat_load_b64 v[12:13], v[24:25]
	v_add_co_u32 v24, vcc_lo, v24, 8
	v_add_nc_u32_e32 v16, -8, v8
	v_add_co_ci_u32_e32 v25, vcc_lo, 0, v25, vcc_lo
	s_waitcnt vmcnt(0) lgkmcnt(0)
	v_and_b32_e32 v14, 0xff, v13
	v_and_b32_e32 v15, 0xff00, v13
	;; [unrolled: 1-line block ×4, first 2 shown]
	v_or3_b32 v12, v12, 0, 0
	s_delay_alu instid0(VALU_DEP_4) | instskip(NEXT) | instid1(VALU_DEP_1)
	v_or_b32_e32 v14, v14, v15
	v_or3_b32 v13, v14, v17, v13
.LBB0_19:                               ;   in Loop: Header=BB0_3 Depth=1
	s_or_b32 exec_lo, exec_lo, s0
                                        ; implicit-def: $sgpr1
	s_delay_alu instid0(SALU_CYCLE_1)
	s_mov_b32 s0, exec_lo
	v_cmpx_gt_u32_e32 8, v16
	s_xor_b32 s6, exec_lo, s0
	s_cbranch_execz .LBB0_25
; %bb.20:                               ;   in Loop: Header=BB0_3 Depth=1
	v_mov_b32_e32 v14, 0
	v_mov_b32_e32 v15, 0
	s_mov_b32 s7, exec_lo
	v_cmpx_ne_u32_e32 0, v16
	s_cbranch_execz .LBB0_24
; %bb.21:                               ;   in Loop: Header=BB0_3 Depth=1
	v_mov_b32_e32 v14, 0
	v_mov_b32_e32 v15, 0
	s_mov_b64 s[0:1], 0
	s_mov_b32 s13, 0
	s_mov_b64 s[4:5], 0
	.p2align	6
.LBB0_22:                               ;   Parent Loop BB0_3 Depth=1
                                        ; =>  This Inner Loop Header: Depth=2
	s_delay_alu instid0(SALU_CYCLE_1)
	v_add_co_u32 v17, vcc_lo, v24, s4
	v_add_co_ci_u32_e32 v18, vcc_lo, s5, v25, vcc_lo
	s_add_u32 s4, s4, 1
	s_addc_u32 s5, s5, 0
	v_cmp_eq_u32_e32 vcc_lo, s4, v16
	flat_load_u8 v8, v[17:18]
	s_waitcnt vmcnt(0) lgkmcnt(0)
	v_dual_mov_b32 v18, s12 :: v_dual_and_b32 v17, 0xffff, v8
	s_delay_alu instid0(VALU_DEP_1) | instskip(SKIP_3) | instid1(VALU_DEP_1)
	v_lshlrev_b64 v[17:18], s0, v[17:18]
	s_add_u32 s0, s0, 8
	s_addc_u32 s1, s1, 0
	s_or_b32 s13, vcc_lo, s13
	v_or_b32_e32 v15, v18, v15
	s_delay_alu instid0(VALU_DEP_2)
	v_or_b32_e32 v14, v17, v14
	s_and_not1_b32 exec_lo, exec_lo, s13
	s_cbranch_execnz .LBB0_22
; %bb.23:                               ;   in Loop: Header=BB0_3 Depth=1
	s_or_b32 exec_lo, exec_lo, s13
.LBB0_24:                               ;   in Loop: Header=BB0_3 Depth=1
	s_delay_alu instid0(SALU_CYCLE_1)
	s_or_b32 exec_lo, exec_lo, s7
	s_mov_b32 s1, 0
                                        ; implicit-def: $vgpr16
.LBB0_25:                               ;   in Loop: Header=BB0_3 Depth=1
	s_or_saveexec_b32 s0, s6
	v_mov_b32_e32 v8, s1
	s_xor_b32 exec_lo, exec_lo, s0
	s_cbranch_execz .LBB0_27
; %bb.26:                               ;   in Loop: Header=BB0_3 Depth=1
	flat_load_b64 v[14:15], v[24:25]
	v_add_co_u32 v24, vcc_lo, v24, 8
	v_add_co_ci_u32_e32 v25, vcc_lo, 0, v25, vcc_lo
	s_waitcnt vmcnt(0) lgkmcnt(0)
	v_and_b32_e32 v8, 0xff, v15
	v_and_b32_e32 v17, 0xff00, v15
	;; [unrolled: 1-line block ×4, first 2 shown]
	v_or3_b32 v14, v14, 0, 0
	s_delay_alu instid0(VALU_DEP_4) | instskip(SKIP_1) | instid1(VALU_DEP_2)
	v_or_b32_e32 v17, v8, v17
	v_add_nc_u32_e32 v8, -8, v16
	v_or3_b32 v15, v17, v18, v15
.LBB0_27:                               ;   in Loop: Header=BB0_3 Depth=1
	s_or_b32 exec_lo, exec_lo, s0
                                        ; implicit-def: $vgpr16_vgpr17
                                        ; implicit-def: $sgpr1
	s_delay_alu instid0(SALU_CYCLE_1) | instskip(NEXT) | instid1(VALU_DEP_1)
	s_mov_b32 s0, exec_lo
	v_cmpx_gt_u32_e32 8, v8
	s_xor_b32 s6, exec_lo, s0
	s_cbranch_execz .LBB0_33
; %bb.28:                               ;   in Loop: Header=BB0_3 Depth=1
	v_mov_b32_e32 v16, 0
	v_mov_b32_e32 v17, 0
	s_mov_b32 s7, exec_lo
	v_cmpx_ne_u32_e32 0, v8
	s_cbranch_execz .LBB0_32
; %bb.29:                               ;   in Loop: Header=BB0_3 Depth=1
	v_mov_b32_e32 v16, 0
	v_mov_b32_e32 v17, 0
	s_mov_b64 s[0:1], 0
	s_mov_b32 s13, 0
	s_mov_b64 s[4:5], 0
	.p2align	6
.LBB0_30:                               ;   Parent Loop BB0_3 Depth=1
                                        ; =>  This Inner Loop Header: Depth=2
	s_delay_alu instid0(SALU_CYCLE_1)
	v_add_co_u32 v18, vcc_lo, v24, s4
	v_add_co_ci_u32_e32 v19, vcc_lo, s5, v25, vcc_lo
	s_add_u32 s4, s4, 1
	s_addc_u32 s5, s5, 0
	v_cmp_eq_u32_e32 vcc_lo, s4, v8
	flat_load_u8 v18, v[18:19]
	s_waitcnt vmcnt(0) lgkmcnt(0)
	v_dual_mov_b32 v19, s12 :: v_dual_and_b32 v18, 0xffff, v18
	s_delay_alu instid0(VALU_DEP_1) | instskip(SKIP_3) | instid1(VALU_DEP_1)
	v_lshlrev_b64 v[18:19], s0, v[18:19]
	s_add_u32 s0, s0, 8
	s_addc_u32 s1, s1, 0
	s_or_b32 s13, vcc_lo, s13
	v_or_b32_e32 v17, v19, v17
	s_delay_alu instid0(VALU_DEP_2)
	v_or_b32_e32 v16, v18, v16
	s_and_not1_b32 exec_lo, exec_lo, s13
	s_cbranch_execnz .LBB0_30
; %bb.31:                               ;   in Loop: Header=BB0_3 Depth=1
	s_or_b32 exec_lo, exec_lo, s13
.LBB0_32:                               ;   in Loop: Header=BB0_3 Depth=1
	s_delay_alu instid0(SALU_CYCLE_1)
	s_or_b32 exec_lo, exec_lo, s7
	s_mov_b32 s1, 0
                                        ; implicit-def: $vgpr8
.LBB0_33:                               ;   in Loop: Header=BB0_3 Depth=1
	s_or_saveexec_b32 s0, s6
	v_mov_b32_e32 v20, s1
	s_xor_b32 exec_lo, exec_lo, s0
	s_cbranch_execz .LBB0_35
; %bb.34:                               ;   in Loop: Header=BB0_3 Depth=1
	flat_load_b64 v[16:17], v[24:25]
	v_add_co_u32 v24, vcc_lo, v24, 8
	v_add_nc_u32_e32 v20, -8, v8
	v_add_co_ci_u32_e32 v25, vcc_lo, 0, v25, vcc_lo
	s_waitcnt vmcnt(0) lgkmcnt(0)
	v_and_b32_e32 v18, 0xff, v17
	v_and_b32_e32 v19, 0xff00, v17
	;; [unrolled: 1-line block ×4, first 2 shown]
	v_or3_b32 v16, v16, 0, 0
	s_delay_alu instid0(VALU_DEP_4) | instskip(NEXT) | instid1(VALU_DEP_1)
	v_or_b32_e32 v18, v18, v19
	v_or3_b32 v17, v18, v21, v17
.LBB0_35:                               ;   in Loop: Header=BB0_3 Depth=1
	s_or_b32 exec_lo, exec_lo, s0
                                        ; implicit-def: $sgpr1
	s_delay_alu instid0(SALU_CYCLE_1)
	s_mov_b32 s0, exec_lo
	v_cmpx_gt_u32_e32 8, v20
	s_xor_b32 s6, exec_lo, s0
	s_cbranch_execz .LBB0_41
; %bb.36:                               ;   in Loop: Header=BB0_3 Depth=1
	v_mov_b32_e32 v18, 0
	v_mov_b32_e32 v19, 0
	s_mov_b32 s7, exec_lo
	v_cmpx_ne_u32_e32 0, v20
	s_cbranch_execz .LBB0_40
; %bb.37:                               ;   in Loop: Header=BB0_3 Depth=1
	v_mov_b32_e32 v18, 0
	v_mov_b32_e32 v19, 0
	s_mov_b64 s[0:1], 0
	s_mov_b32 s13, 0
	s_mov_b64 s[4:5], 0
	.p2align	6
.LBB0_38:                               ;   Parent Loop BB0_3 Depth=1
                                        ; =>  This Inner Loop Header: Depth=2
	s_delay_alu instid0(SALU_CYCLE_1)
	v_add_co_u32 v21, vcc_lo, v24, s4
	v_add_co_ci_u32_e32 v22, vcc_lo, s5, v25, vcc_lo
	s_add_u32 s4, s4, 1
	s_addc_u32 s5, s5, 0
	v_cmp_eq_u32_e32 vcc_lo, s4, v20
	flat_load_u8 v8, v[21:22]
	s_waitcnt vmcnt(0) lgkmcnt(0)
	v_dual_mov_b32 v22, s12 :: v_dual_and_b32 v21, 0xffff, v8
	s_delay_alu instid0(VALU_DEP_1) | instskip(SKIP_3) | instid1(VALU_DEP_1)
	v_lshlrev_b64 v[21:22], s0, v[21:22]
	s_add_u32 s0, s0, 8
	s_addc_u32 s1, s1, 0
	s_or_b32 s13, vcc_lo, s13
	v_or_b32_e32 v19, v22, v19
	s_delay_alu instid0(VALU_DEP_2)
	v_or_b32_e32 v18, v21, v18
	s_and_not1_b32 exec_lo, exec_lo, s13
	s_cbranch_execnz .LBB0_38
; %bb.39:                               ;   in Loop: Header=BB0_3 Depth=1
	s_or_b32 exec_lo, exec_lo, s13
.LBB0_40:                               ;   in Loop: Header=BB0_3 Depth=1
	s_delay_alu instid0(SALU_CYCLE_1)
	s_or_b32 exec_lo, exec_lo, s7
	s_mov_b32 s1, 0
                                        ; implicit-def: $vgpr20
.LBB0_41:                               ;   in Loop: Header=BB0_3 Depth=1
	s_or_saveexec_b32 s0, s6
	v_mov_b32_e32 v8, s1
	s_xor_b32 exec_lo, exec_lo, s0
	s_cbranch_execz .LBB0_43
; %bb.42:                               ;   in Loop: Header=BB0_3 Depth=1
	flat_load_b64 v[18:19], v[24:25]
	v_add_co_u32 v24, vcc_lo, v24, 8
	v_add_co_ci_u32_e32 v25, vcc_lo, 0, v25, vcc_lo
	s_waitcnt vmcnt(0) lgkmcnt(0)
	v_and_b32_e32 v8, 0xff, v19
	v_and_b32_e32 v21, 0xff00, v19
	v_and_b32_e32 v22, 0xff0000, v19
	v_and_b32_e32 v19, 0xff000000, v19
	v_or3_b32 v18, v18, 0, 0
	s_delay_alu instid0(VALU_DEP_4) | instskip(SKIP_1) | instid1(VALU_DEP_2)
	v_or_b32_e32 v21, v8, v21
	v_add_nc_u32_e32 v8, -8, v20
	v_or3_b32 v19, v21, v22, v19
.LBB0_43:                               ;   in Loop: Header=BB0_3 Depth=1
	s_or_b32 exec_lo, exec_lo, s0
                                        ; implicit-def: $vgpr20_vgpr21
                                        ; implicit-def: $sgpr1
	s_delay_alu instid0(SALU_CYCLE_1) | instskip(NEXT) | instid1(VALU_DEP_1)
	s_mov_b32 s0, exec_lo
	v_cmpx_gt_u32_e32 8, v8
	s_xor_b32 s6, exec_lo, s0
	s_cbranch_execz .LBB0_49
; %bb.44:                               ;   in Loop: Header=BB0_3 Depth=1
	v_mov_b32_e32 v20, 0
	v_mov_b32_e32 v21, 0
	s_mov_b32 s7, exec_lo
	v_cmpx_ne_u32_e32 0, v8
	s_cbranch_execz .LBB0_48
; %bb.45:                               ;   in Loop: Header=BB0_3 Depth=1
	v_mov_b32_e32 v20, 0
	v_mov_b32_e32 v21, 0
	s_mov_b64 s[0:1], 0
	s_mov_b32 s13, 0
	s_mov_b64 s[4:5], 0
	.p2align	6
.LBB0_46:                               ;   Parent Loop BB0_3 Depth=1
                                        ; =>  This Inner Loop Header: Depth=2
	s_delay_alu instid0(SALU_CYCLE_1)
	v_add_co_u32 v22, vcc_lo, v24, s4
	v_add_co_ci_u32_e32 v23, vcc_lo, s5, v25, vcc_lo
	s_add_u32 s4, s4, 1
	s_addc_u32 s5, s5, 0
	v_cmp_eq_u32_e32 vcc_lo, s4, v8
	flat_load_u8 v22, v[22:23]
	s_waitcnt vmcnt(0) lgkmcnt(0)
	v_dual_mov_b32 v23, s12 :: v_dual_and_b32 v22, 0xffff, v22
	s_delay_alu instid0(VALU_DEP_1) | instskip(SKIP_3) | instid1(VALU_DEP_1)
	v_lshlrev_b64 v[22:23], s0, v[22:23]
	s_add_u32 s0, s0, 8
	s_addc_u32 s1, s1, 0
	s_or_b32 s13, vcc_lo, s13
	v_or_b32_e32 v21, v23, v21
	s_delay_alu instid0(VALU_DEP_2)
	v_or_b32_e32 v20, v22, v20
	s_and_not1_b32 exec_lo, exec_lo, s13
	s_cbranch_execnz .LBB0_46
; %bb.47:                               ;   in Loop: Header=BB0_3 Depth=1
	s_or_b32 exec_lo, exec_lo, s13
.LBB0_48:                               ;   in Loop: Header=BB0_3 Depth=1
	s_delay_alu instid0(SALU_CYCLE_1)
	s_or_b32 exec_lo, exec_lo, s7
	s_mov_b32 s1, 0
                                        ; implicit-def: $vgpr8
.LBB0_49:                               ;   in Loop: Header=BB0_3 Depth=1
	s_or_saveexec_b32 s0, s6
	v_mov_b32_e32 v26, s1
	s_xor_b32 exec_lo, exec_lo, s0
	s_cbranch_execz .LBB0_51
; %bb.50:                               ;   in Loop: Header=BB0_3 Depth=1
	flat_load_b64 v[20:21], v[24:25]
	v_add_co_u32 v24, vcc_lo, v24, 8
	v_add_nc_u32_e32 v26, -8, v8
	v_add_co_ci_u32_e32 v25, vcc_lo, 0, v25, vcc_lo
	s_waitcnt vmcnt(0) lgkmcnt(0)
	v_and_b32_e32 v22, 0xff, v21
	v_and_b32_e32 v23, 0xff00, v21
	v_and_b32_e32 v27, 0xff0000, v21
	v_and_b32_e32 v21, 0xff000000, v21
	v_or3_b32 v20, v20, 0, 0
	s_delay_alu instid0(VALU_DEP_4) | instskip(NEXT) | instid1(VALU_DEP_1)
	v_or_b32_e32 v22, v22, v23
	v_or3_b32 v21, v22, v27, v21
.LBB0_51:                               ;   in Loop: Header=BB0_3 Depth=1
	s_or_b32 exec_lo, exec_lo, s0
	s_delay_alu instid0(SALU_CYCLE_1)
	s_mov_b32 s0, exec_lo
	v_cmpx_gt_u32_e32 8, v26
	s_xor_b32 s4, exec_lo, s0
	s_cbranch_execz .LBB0_57
; %bb.52:                               ;   in Loop: Header=BB0_3 Depth=1
	v_mov_b32_e32 v22, 0
	v_mov_b32_e32 v23, 0
	s_mov_b32 s5, exec_lo
	v_cmpx_ne_u32_e32 0, v26
	s_cbranch_execz .LBB0_56
; %bb.53:                               ;   in Loop: Header=BB0_3 Depth=1
	v_mov_b32_e32 v22, 0
	v_mov_b32_e32 v23, 0
	s_mov_b64 s[0:1], 0
	s_mov_b32 s6, 0
	.p2align	6
.LBB0_54:                               ;   Parent Loop BB0_3 Depth=1
                                        ; =>  This Inner Loop Header: Depth=2
	flat_load_u8 v8, v[24:25]
	v_dual_mov_b32 v31, s12 :: v_dual_add_nc_u32 v26, -1, v26
	v_add_co_u32 v24, vcc_lo, v24, 1
	v_add_co_ci_u32_e32 v25, vcc_lo, 0, v25, vcc_lo
	s_delay_alu instid0(VALU_DEP_3) | instskip(SKIP_2) | instid1(VALU_DEP_1)
	v_cmp_eq_u32_e32 vcc_lo, 0, v26
	s_waitcnt vmcnt(0) lgkmcnt(0)
	v_and_b32_e32 v30, 0xffff, v8
	v_lshlrev_b64 v[30:31], s0, v[30:31]
	s_add_u32 s0, s0, 8
	s_addc_u32 s1, s1, 0
	s_or_b32 s6, vcc_lo, s6
	s_delay_alu instid0(VALU_DEP_1) | instskip(NEXT) | instid1(VALU_DEP_2)
	v_or_b32_e32 v23, v31, v23
	v_or_b32_e32 v22, v30, v22
	s_and_not1_b32 exec_lo, exec_lo, s6
	s_cbranch_execnz .LBB0_54
; %bb.55:                               ;   in Loop: Header=BB0_3 Depth=1
	s_or_b32 exec_lo, exec_lo, s6
.LBB0_56:                               ;   in Loop: Header=BB0_3 Depth=1
	s_delay_alu instid0(SALU_CYCLE_1)
	s_or_b32 exec_lo, exec_lo, s5
                                        ; implicit-def: $vgpr24_vgpr25
.LBB0_57:                               ;   in Loop: Header=BB0_3 Depth=1
	s_and_not1_saveexec_b32 s0, s4
	s_cbranch_execz .LBB0_59
; %bb.58:                               ;   in Loop: Header=BB0_3 Depth=1
	flat_load_b64 v[22:23], v[24:25]
	s_waitcnt vmcnt(0) lgkmcnt(0)
	v_and_b32_e32 v8, 0xff, v23
	v_and_b32_e32 v24, 0xff00, v23
	;; [unrolled: 1-line block ×4, first 2 shown]
	v_or3_b32 v22, v22, 0, 0
	s_delay_alu instid0(VALU_DEP_4) | instskip(NEXT) | instid1(VALU_DEP_1)
	v_or_b32_e32 v8, v8, v24
	v_or3_b32 v23, v8, v25, v23
.LBB0_59:                               ;   in Loop: Header=BB0_3 Depth=1
	s_or_b32 exec_lo, exec_lo, s0
	v_readfirstlane_b32 s0, v32
	v_mov_b32_e32 v30, 0
	v_mov_b32_e32 v31, 0
	s_delay_alu instid0(VALU_DEP_3) | instskip(NEXT) | instid1(VALU_DEP_1)
	v_cmp_eq_u32_e64 s0, s0, v32
	s_and_saveexec_b32 s1, s0
	s_cbranch_execz .LBB0_65
; %bb.60:                               ;   in Loop: Header=BB0_3 Depth=1
	s_waitcnt lgkmcnt(0)
	global_load_b64 v[26:27], v9, s[2:3] offset:24 glc
	s_waitcnt vmcnt(0)
	buffer_gl1_inv
	buffer_gl0_inv
	s_clause 0x1
	global_load_b64 v[24:25], v9, s[2:3] offset:40
	global_load_b64 v[30:31], v9, s[2:3]
	s_mov_b32 s4, exec_lo
	s_waitcnt vmcnt(1)
	v_and_b32_e32 v8, v25, v27
	v_and_b32_e32 v24, v24, v26
	s_delay_alu instid0(VALU_DEP_2) | instskip(NEXT) | instid1(VALU_DEP_2)
	v_mul_lo_u32 v8, v8, 24
	v_mul_hi_u32 v25, v24, 24
	v_mul_lo_u32 v24, v24, 24
	s_delay_alu instid0(VALU_DEP_2) | instskip(SKIP_1) | instid1(VALU_DEP_2)
	v_add_nc_u32_e32 v8, v25, v8
	s_waitcnt vmcnt(0)
	v_add_co_u32 v24, vcc_lo, v30, v24
	s_delay_alu instid0(VALU_DEP_2)
	v_add_co_ci_u32_e32 v25, vcc_lo, v31, v8, vcc_lo
	global_load_b64 v[24:25], v[24:25], off glc
	s_waitcnt vmcnt(0)
	global_atomic_cmpswap_b64 v[30:31], v9, v[24:27], s[2:3] offset:24 glc
	s_waitcnt vmcnt(0)
	buffer_gl1_inv
	buffer_gl0_inv
	v_cmpx_ne_u64_e64 v[30:31], v[26:27]
	s_cbranch_execz .LBB0_64
; %bb.61:                               ;   in Loop: Header=BB0_3 Depth=1
	s_mov_b32 s5, 0
	.p2align	6
.LBB0_62:                               ;   Parent Loop BB0_3 Depth=1
                                        ; =>  This Inner Loop Header: Depth=2
	s_sleep 1
	s_clause 0x1
	global_load_b64 v[24:25], v9, s[2:3] offset:40
	global_load_b64 v[34:35], v9, s[2:3]
	v_dual_mov_b32 v26, v30 :: v_dual_mov_b32 v27, v31
	s_waitcnt vmcnt(1)
	s_delay_alu instid0(VALU_DEP_1) | instskip(SKIP_1) | instid1(VALU_DEP_1)
	v_and_b32_e32 v8, v24, v26
	s_waitcnt vmcnt(0)
	v_mad_u64_u32 v[30:31], null, v8, 24, v[34:35]
	v_and_b32_e32 v34, v25, v27
	s_delay_alu instid0(VALU_DEP_2) | instskip(NEXT) | instid1(VALU_DEP_1)
	v_mov_b32_e32 v8, v31
	v_mad_u64_u32 v[24:25], null, v34, 24, v[8:9]
	s_delay_alu instid0(VALU_DEP_1)
	v_mov_b32_e32 v31, v24
	global_load_b64 v[24:25], v[30:31], off glc
	s_waitcnt vmcnt(0)
	global_atomic_cmpswap_b64 v[30:31], v9, v[24:27], s[2:3] offset:24 glc
	s_waitcnt vmcnt(0)
	buffer_gl1_inv
	buffer_gl0_inv
	v_cmp_eq_u64_e32 vcc_lo, v[30:31], v[26:27]
	s_or_b32 s5, vcc_lo, s5
	s_delay_alu instid0(SALU_CYCLE_1)
	s_and_not1_b32 exec_lo, exec_lo, s5
	s_cbranch_execnz .LBB0_62
; %bb.63:                               ;   in Loop: Header=BB0_3 Depth=1
	s_or_b32 exec_lo, exec_lo, s5
.LBB0_64:                               ;   in Loop: Header=BB0_3 Depth=1
	s_delay_alu instid0(SALU_CYCLE_1)
	s_or_b32 exec_lo, exec_lo, s4
.LBB0_65:                               ;   in Loop: Header=BB0_3 Depth=1
	s_delay_alu instid0(SALU_CYCLE_1)
	s_or_b32 exec_lo, exec_lo, s1
	s_waitcnt lgkmcnt(0)
	s_clause 0x1
	global_load_b64 v[34:35], v9, s[2:3] offset:40
	global_load_b128 v[24:27], v9, s[2:3]
	v_readfirstlane_b32 s4, v30
	v_readfirstlane_b32 s5, v31
	s_mov_b32 s1, exec_lo
	s_waitcnt vmcnt(1)
	v_readfirstlane_b32 s6, v34
	v_readfirstlane_b32 s7, v35
	s_delay_alu instid0(VALU_DEP_1) | instskip(NEXT) | instid1(SALU_CYCLE_1)
	s_and_b64 s[6:7], s[4:5], s[6:7]
	s_mul_i32 s13, s7, 24
	s_mul_hi_u32 s14, s6, 24
	s_mul_i32 s15, s6, 24
	s_add_i32 s14, s14, s13
	s_waitcnt vmcnt(0)
	v_add_co_u32 v30, vcc_lo, v24, s15
	v_add_co_ci_u32_e32 v31, vcc_lo, s14, v25, vcc_lo
	s_and_saveexec_b32 s13, s0
	s_cbranch_execz .LBB0_67
; %bb.66:                               ;   in Loop: Header=BB0_3 Depth=1
	v_mov_b32_e32 v8, s1
	global_store_b128 v[30:31], v[8:11], off offset:8
.LBB0_67:                               ;   in Loop: Header=BB0_3 Depth=1
	s_or_b32 exec_lo, exec_lo, s13
	v_cmp_lt_u64_e32 vcc_lo, 56, v[4:5]
	v_or_b32_e32 v8, 0, v1
	v_or_b32_e32 v34, v0, v33
	v_lshl_add_u32 v35, v28, 2, 28
	s_lshl_b64 s[6:7], s[6:7], 12
	s_delay_alu instid0(SALU_CYCLE_1) | instskip(NEXT) | instid1(VALU_DEP_1)
	v_add_co_u32 v26, s1, v26, s6
	v_add_co_ci_u32_e64 v27, s1, s7, v27, s1
	v_dual_cndmask_b32 v1, v8, v1 :: v_dual_cndmask_b32 v0, v34, v0
	v_and_b32_e32 v8, 0x1e0, v35
	v_lshlrev_b32_e32 v34, 6, v32
	v_readfirstlane_b32 s6, v26
	v_readfirstlane_b32 s7, v27
	s_delay_alu instid0(VALU_DEP_4)
	v_and_or_b32 v0, 0xffffff1f, v0, v8
	s_clause 0x3
	global_store_b128 v34, v[0:3], s[6:7]
	global_store_b128 v34, v[12:15], s[6:7] offset:16
	global_store_b128 v34, v[16:19], s[6:7] offset:32
	;; [unrolled: 1-line block ×3, first 2 shown]
	s_and_saveexec_b32 s1, s0
	s_cbranch_execz .LBB0_75
; %bb.68:                               ;   in Loop: Header=BB0_3 Depth=1
	s_clause 0x1
	global_load_b64 v[16:17], v9, s[2:3] offset:32 glc
	global_load_b64 v[0:1], v9, s[2:3] offset:40
	v_dual_mov_b32 v14, s4 :: v_dual_mov_b32 v15, s5
	s_waitcnt vmcnt(0)
	v_readfirstlane_b32 s6, v0
	v_readfirstlane_b32 s7, v1
	s_delay_alu instid0(VALU_DEP_1) | instskip(NEXT) | instid1(SALU_CYCLE_1)
	s_and_b64 s[6:7], s[6:7], s[4:5]
	s_mul_i32 s7, s7, 24
	s_mul_hi_u32 s13, s6, 24
	s_mul_i32 s6, s6, 24
	s_add_i32 s13, s13, s7
	v_add_co_u32 v12, vcc_lo, v24, s6
	v_add_co_ci_u32_e32 v13, vcc_lo, s13, v25, vcc_lo
	s_mov_b32 s6, exec_lo
	global_store_b64 v[12:13], v[16:17], off
	s_waitcnt_vscnt null, 0x0
	global_atomic_cmpswap_b64 v[2:3], v9, v[14:17], s[2:3] offset:32 glc
	s_waitcnt vmcnt(0)
	v_cmpx_ne_u64_e64 v[2:3], v[16:17]
	s_cbranch_execz .LBB0_71
; %bb.69:                               ;   in Loop: Header=BB0_3 Depth=1
	s_mov_b32 s7, 0
.LBB0_70:                               ;   Parent Loop BB0_3 Depth=1
                                        ; =>  This Inner Loop Header: Depth=2
	v_dual_mov_b32 v0, s4 :: v_dual_mov_b32 v1, s5
	s_sleep 1
	global_store_b64 v[12:13], v[2:3], off
	s_waitcnt_vscnt null, 0x0
	global_atomic_cmpswap_b64 v[0:1], v9, v[0:3], s[2:3] offset:32 glc
	s_waitcnt vmcnt(0)
	v_cmp_eq_u64_e32 vcc_lo, v[0:1], v[2:3]
	v_dual_mov_b32 v3, v1 :: v_dual_mov_b32 v2, v0
	s_or_b32 s7, vcc_lo, s7
	s_delay_alu instid0(SALU_CYCLE_1)
	s_and_not1_b32 exec_lo, exec_lo, s7
	s_cbranch_execnz .LBB0_70
.LBB0_71:                               ;   in Loop: Header=BB0_3 Depth=1
	s_or_b32 exec_lo, exec_lo, s6
	global_load_b64 v[0:1], v9, s[2:3] offset:16
	s_mov_b32 s7, exec_lo
	s_mov_b32 s6, exec_lo
	v_mbcnt_lo_u32_b32 v2, s7, 0
	s_delay_alu instid0(VALU_DEP_1)
	v_cmpx_eq_u32_e32 0, v2
	s_cbranch_execz .LBB0_73
; %bb.72:                               ;   in Loop: Header=BB0_3 Depth=1
	s_bcnt1_i32_b32 s7, s7
	s_delay_alu instid0(SALU_CYCLE_1)
	v_mov_b32_e32 v8, s7
	s_waitcnt vmcnt(0)
	global_atomic_add_u64 v[0:1], v[8:9], off offset:8
.LBB0_73:                               ;   in Loop: Header=BB0_3 Depth=1
	s_or_b32 exec_lo, exec_lo, s6
	s_waitcnt vmcnt(0)
	global_load_b64 v[2:3], v[0:1], off offset:16
	s_waitcnt vmcnt(0)
	v_cmp_eq_u64_e32 vcc_lo, 0, v[2:3]
	s_cbranch_vccnz .LBB0_75
; %bb.74:                               ;   in Loop: Header=BB0_3 Depth=1
	global_load_b32 v8, v[0:1], off offset:24
	s_waitcnt vmcnt(0)
	v_and_b32_e32 v0, 0xffffff, v8
	s_waitcnt_vscnt null, 0x0
	global_store_b64 v[2:3], v[8:9], off
	v_readfirstlane_b32 m0, v0
	s_sendmsg sendmsg(MSG_INTERRUPT)
.LBB0_75:                               ;   in Loop: Header=BB0_3 Depth=1
	s_or_b32 exec_lo, exec_lo, s1
	v_add_co_u32 v0, vcc_lo, v26, v34
	v_add_co_ci_u32_e32 v1, vcc_lo, 0, v27, vcc_lo
	s_branch .LBB0_79
	.p2align	6
.LBB0_76:                               ;   in Loop: Header=BB0_79 Depth=2
	s_or_b32 exec_lo, exec_lo, s1
	s_delay_alu instid0(VALU_DEP_1) | instskip(NEXT) | instid1(VALU_DEP_1)
	v_readfirstlane_b32 s1, v2
	s_cmp_eq_u32 s1, 0
	s_cbranch_scc1 .LBB0_78
; %bb.77:                               ;   in Loop: Header=BB0_79 Depth=2
	s_sleep 1
	s_cbranch_execnz .LBB0_79
	s_branch .LBB0_81
	.p2align	6
.LBB0_78:                               ;   in Loop: Header=BB0_3 Depth=1
	s_branch .LBB0_81
.LBB0_79:                               ;   Parent Loop BB0_3 Depth=1
                                        ; =>  This Inner Loop Header: Depth=2
	v_mov_b32_e32 v2, 1
	s_and_saveexec_b32 s1, s0
	s_cbranch_execz .LBB0_76
; %bb.80:                               ;   in Loop: Header=BB0_79 Depth=2
	global_load_b32 v2, v[30:31], off offset:20 glc
	s_waitcnt vmcnt(0)
	buffer_gl1_inv
	buffer_gl0_inv
	v_and_b32_e32 v2, 1, v2
	s_branch .LBB0_76
.LBB0_81:                               ;   in Loop: Header=BB0_3 Depth=1
	global_load_b128 v[0:3], v[0:1], off
	s_and_saveexec_b32 s1, s0
	s_cbranch_execz .LBB0_2
; %bb.82:                               ;   in Loop: Header=BB0_3 Depth=1
	s_clause 0x2
	global_load_b64 v[2:3], v9, s[2:3] offset:40
	global_load_b64 v[16:17], v9, s[2:3] offset:24 glc
	global_load_b64 v[14:15], v9, s[2:3]
	s_waitcnt vmcnt(2)
	v_add_co_u32 v8, vcc_lo, v2, 1
	v_add_co_ci_u32_e32 v18, vcc_lo, 0, v3, vcc_lo
	s_delay_alu instid0(VALU_DEP_2) | instskip(NEXT) | instid1(VALU_DEP_2)
	v_add_co_u32 v12, vcc_lo, v8, s4
	v_add_co_ci_u32_e32 v13, vcc_lo, s5, v18, vcc_lo
	s_delay_alu instid0(VALU_DEP_1) | instskip(SKIP_1) | instid1(VALU_DEP_1)
	v_cmp_eq_u64_e32 vcc_lo, 0, v[12:13]
	v_dual_cndmask_b32 v13, v13, v18 :: v_dual_cndmask_b32 v12, v12, v8
	v_and_b32_e32 v3, v13, v3
	s_delay_alu instid0(VALU_DEP_2) | instskip(NEXT) | instid1(VALU_DEP_1)
	v_and_b32_e32 v2, v12, v2
	v_mul_hi_u32 v8, v2, 24
	v_mul_lo_u32 v2, v2, 24
	s_waitcnt vmcnt(0)
	s_delay_alu instid0(VALU_DEP_1) | instskip(SKIP_2) | instid1(VALU_DEP_1)
	v_add_co_u32 v2, vcc_lo, v14, v2
	v_mov_b32_e32 v14, v16
	v_mul_lo_u32 v3, v3, 24
	v_add_nc_u32_e32 v3, v8, v3
	s_delay_alu instid0(VALU_DEP_1)
	v_add_co_ci_u32_e32 v3, vcc_lo, v15, v3, vcc_lo
	v_mov_b32_e32 v15, v17
	global_store_b64 v[2:3], v[16:17], off
	s_waitcnt_vscnt null, 0x0
	global_atomic_cmpswap_b64 v[14:15], v9, v[12:15], s[2:3] offset:24 glc
	s_waitcnt vmcnt(0)
	v_cmp_ne_u64_e32 vcc_lo, v[14:15], v[16:17]
	s_and_b32 exec_lo, exec_lo, vcc_lo
	s_cbranch_execz .LBB0_2
; %bb.83:                               ;   in Loop: Header=BB0_3 Depth=1
	s_mov_b32 s0, 0
.LBB0_84:                               ;   Parent Loop BB0_3 Depth=1
                                        ; =>  This Inner Loop Header: Depth=2
	s_sleep 1
	global_store_b64 v[2:3], v[14:15], off
	s_waitcnt_vscnt null, 0x0
	global_atomic_cmpswap_b64 v[16:17], v9, v[12:15], s[2:3] offset:24 glc
	s_waitcnt vmcnt(0)
	v_cmp_eq_u64_e32 vcc_lo, v[16:17], v[14:15]
	v_dual_mov_b32 v14, v16 :: v_dual_mov_b32 v15, v17
	s_or_b32 s0, vcc_lo, s0
	s_delay_alu instid0(SALU_CYCLE_1)
	s_and_not1_b32 exec_lo, exec_lo, s0
	s_cbranch_execnz .LBB0_84
	s_branch .LBB0_2
.LBB0_85:
	s_or_b32 exec_lo, exec_lo, s11
                                        ; implicit-def: $vgpr3
                                        ; implicit-def: $vgpr32
.LBB0_86:
	s_and_not1_saveexec_b32 s1, s10
	s_cbranch_execz .LBB0_108
; %bb.87:
	s_load_b64 s[2:3], s[8:9], 0x50
	v_readfirstlane_b32 s0, v32
	v_mov_b32_e32 v8, 0
	v_mov_b32_e32 v9, 0
	s_delay_alu instid0(VALU_DEP_3) | instskip(NEXT) | instid1(VALU_DEP_1)
	v_cmp_eq_u32_e64 s0, s0, v32
	s_and_saveexec_b32 s4, s0
	s_cbranch_execz .LBB0_93
; %bb.88:
	s_waitcnt vmcnt(0)
	v_mov_b32_e32 v0, 0
	s_mov_b32 s5, exec_lo
	s_waitcnt lgkmcnt(0)
	global_load_b64 v[6:7], v0, s[2:3] offset:24 glc
	s_waitcnt vmcnt(0)
	buffer_gl1_inv
	buffer_gl0_inv
	s_clause 0x1
	global_load_b64 v[4:5], v0, s[2:3] offset:40
	global_load_b64 v[8:9], v0, s[2:3]
	s_waitcnt vmcnt(1)
	v_and_b32_e32 v2, v5, v7
	v_and_b32_e32 v4, v4, v6
	s_delay_alu instid0(VALU_DEP_2) | instskip(NEXT) | instid1(VALU_DEP_2)
	v_mul_lo_u32 v2, v2, 24
	v_mul_hi_u32 v5, v4, 24
	v_mul_lo_u32 v4, v4, 24
	s_delay_alu instid0(VALU_DEP_2) | instskip(SKIP_1) | instid1(VALU_DEP_2)
	v_add_nc_u32_e32 v2, v5, v2
	s_waitcnt vmcnt(0)
	v_add_co_u32 v4, vcc_lo, v8, v4
	s_delay_alu instid0(VALU_DEP_2)
	v_add_co_ci_u32_e32 v5, vcc_lo, v9, v2, vcc_lo
	global_load_b64 v[4:5], v[4:5], off glc
	s_waitcnt vmcnt(0)
	global_atomic_cmpswap_b64 v[8:9], v0, v[4:7], s[2:3] offset:24 glc
	s_waitcnt vmcnt(0)
	buffer_gl1_inv
	buffer_gl0_inv
	v_cmpx_ne_u64_e64 v[8:9], v[6:7]
	s_cbranch_execz .LBB0_92
; %bb.89:
	s_mov_b32 s6, 0
	.p2align	6
.LBB0_90:                               ; =>This Inner Loop Header: Depth=1
	s_sleep 1
	s_clause 0x1
	global_load_b64 v[4:5], v0, s[2:3] offset:40
	global_load_b64 v[10:11], v0, s[2:3]
	v_dual_mov_b32 v6, v8 :: v_dual_mov_b32 v7, v9
	s_waitcnt vmcnt(1)
	s_delay_alu instid0(VALU_DEP_1) | instskip(SKIP_1) | instid1(VALU_DEP_1)
	v_and_b32_e32 v2, v4, v6
	s_waitcnt vmcnt(0)
	v_mad_u64_u32 v[8:9], null, v2, 24, v[10:11]
	v_and_b32_e32 v10, v5, v7
	s_delay_alu instid0(VALU_DEP_2) | instskip(NEXT) | instid1(VALU_DEP_1)
	v_mov_b32_e32 v2, v9
	v_mad_u64_u32 v[4:5], null, v10, 24, v[2:3]
	s_delay_alu instid0(VALU_DEP_1)
	v_mov_b32_e32 v9, v4
	global_load_b64 v[4:5], v[8:9], off glc
	s_waitcnt vmcnt(0)
	global_atomic_cmpswap_b64 v[8:9], v0, v[4:7], s[2:3] offset:24 glc
	s_waitcnt vmcnt(0)
	buffer_gl1_inv
	buffer_gl0_inv
	v_cmp_eq_u64_e32 vcc_lo, v[8:9], v[6:7]
	s_or_b32 s6, vcc_lo, s6
	s_delay_alu instid0(SALU_CYCLE_1)
	s_and_not1_b32 exec_lo, exec_lo, s6
	s_cbranch_execnz .LBB0_90
; %bb.91:
	s_or_b32 exec_lo, exec_lo, s6
.LBB0_92:
	s_delay_alu instid0(SALU_CYCLE_1)
	s_or_b32 exec_lo, exec_lo, s5
.LBB0_93:
	s_delay_alu instid0(SALU_CYCLE_1)
	s_or_b32 exec_lo, exec_lo, s4
	s_waitcnt vmcnt(0)
	v_mov_b32_e32 v2, 0
	v_readfirstlane_b32 s4, v8
	v_readfirstlane_b32 s5, v9
	s_mov_b32 s8, exec_lo
	s_waitcnt lgkmcnt(0)
	s_clause 0x1
	global_load_b64 v[10:11], v2, s[2:3] offset:40
	global_load_b128 v[4:7], v2, s[2:3]
	s_waitcnt vmcnt(1)
	v_readfirstlane_b32 s6, v10
	v_readfirstlane_b32 s7, v11
	s_delay_alu instid0(VALU_DEP_1) | instskip(NEXT) | instid1(SALU_CYCLE_1)
	s_and_b64 s[6:7], s[4:5], s[6:7]
	s_mul_i32 s9, s7, 24
	s_mul_hi_u32 s10, s6, 24
	s_mul_i32 s11, s6, 24
	s_add_i32 s10, s10, s9
	s_waitcnt vmcnt(0)
	v_add_co_u32 v8, vcc_lo, v4, s11
	v_add_co_ci_u32_e32 v9, vcc_lo, s10, v5, vcc_lo
	s_and_saveexec_b32 s9, s0
	s_cbranch_execz .LBB0_95
; %bb.94:
	v_dual_mov_b32 v10, s8 :: v_dual_mov_b32 v11, v2
	v_dual_mov_b32 v12, 2 :: v_dual_mov_b32 v13, 1
	global_store_b128 v[8:9], v[10:13], off offset:8
.LBB0_95:
	s_or_b32 exec_lo, exec_lo, s9
	s_lshl_b64 s[6:7], s[6:7], 12
	v_lshlrev_b32_e32 v14, 6, v32
	v_add_co_u32 v6, vcc_lo, v6, s6
	v_add_co_ci_u32_e32 v7, vcc_lo, s7, v7, vcc_lo
	s_mov_b32 s8, 0
	v_and_or_b32 v0, 0xffffff1f, v3, 32
	v_mov_b32_e32 v3, v2
	v_readfirstlane_b32 s6, v6
	s_mov_b32 s11, s8
	v_add_co_u32 v6, vcc_lo, v6, v14
	s_mov_b32 s9, s8
	s_mov_b32 s10, s8
	v_readfirstlane_b32 s7, v7
	v_dual_mov_b32 v13, s11 :: v_dual_mov_b32 v12, s10
	v_add_co_ci_u32_e32 v7, vcc_lo, 0, v7, vcc_lo
	v_dual_mov_b32 v11, s9 :: v_dual_mov_b32 v10, s8
	s_clause 0x3
	global_store_b128 v14, v[0:3], s[6:7]
	global_store_b128 v14, v[10:13], s[6:7] offset:16
	global_store_b128 v14, v[10:13], s[6:7] offset:32
	;; [unrolled: 1-line block ×3, first 2 shown]
	s_and_saveexec_b32 s6, s0
	s_cbranch_execz .LBB0_102
; %bb.96:
	v_mov_b32_e32 v10, 0
	s_mov_b32 s7, exec_lo
	s_clause 0x1
	global_load_b64 v[13:14], v10, s[2:3] offset:32 glc
	global_load_b64 v[0:1], v10, s[2:3] offset:40
	v_dual_mov_b32 v11, s4 :: v_dual_mov_b32 v12, s5
	s_waitcnt vmcnt(0)
	v_and_b32_e32 v1, s5, v1
	v_and_b32_e32 v0, s4, v0
	s_delay_alu instid0(VALU_DEP_2) | instskip(NEXT) | instid1(VALU_DEP_2)
	v_mul_lo_u32 v1, v1, 24
	v_mul_hi_u32 v2, v0, 24
	v_mul_lo_u32 v0, v0, 24
	s_delay_alu instid0(VALU_DEP_2) | instskip(NEXT) | instid1(VALU_DEP_2)
	v_add_nc_u32_e32 v1, v2, v1
	v_add_co_u32 v4, vcc_lo, v4, v0
	s_delay_alu instid0(VALU_DEP_2)
	v_add_co_ci_u32_e32 v5, vcc_lo, v5, v1, vcc_lo
	global_store_b64 v[4:5], v[13:14], off
	s_waitcnt_vscnt null, 0x0
	global_atomic_cmpswap_b64 v[2:3], v10, v[11:14], s[2:3] offset:32 glc
	s_waitcnt vmcnt(0)
	v_cmpx_ne_u64_e64 v[2:3], v[13:14]
	s_cbranch_execz .LBB0_98
.LBB0_97:                               ; =>This Inner Loop Header: Depth=1
	v_dual_mov_b32 v0, s4 :: v_dual_mov_b32 v1, s5
	s_sleep 1
	global_store_b64 v[4:5], v[2:3], off
	s_waitcnt_vscnt null, 0x0
	global_atomic_cmpswap_b64 v[0:1], v10, v[0:3], s[2:3] offset:32 glc
	s_waitcnt vmcnt(0)
	v_cmp_eq_u64_e32 vcc_lo, v[0:1], v[2:3]
	v_dual_mov_b32 v3, v1 :: v_dual_mov_b32 v2, v0
	s_or_b32 s8, vcc_lo, s8
	s_delay_alu instid0(SALU_CYCLE_1)
	s_and_not1_b32 exec_lo, exec_lo, s8
	s_cbranch_execnz .LBB0_97
.LBB0_98:
	s_or_b32 exec_lo, exec_lo, s7
	v_mov_b32_e32 v3, 0
	s_mov_b32 s8, exec_lo
	s_mov_b32 s7, exec_lo
	v_mbcnt_lo_u32_b32 v2, s8, 0
	global_load_b64 v[0:1], v3, s[2:3] offset:16
	v_cmpx_eq_u32_e32 0, v2
	s_cbranch_execz .LBB0_100
; %bb.99:
	s_bcnt1_i32_b32 s8, s8
	s_delay_alu instid0(SALU_CYCLE_1)
	v_mov_b32_e32 v2, s8
	s_waitcnt vmcnt(0)
	global_atomic_add_u64 v[0:1], v[2:3], off offset:8
.LBB0_100:
	s_or_b32 exec_lo, exec_lo, s7
	s_waitcnt vmcnt(0)
	global_load_b64 v[2:3], v[0:1], off offset:16
	s_waitcnt vmcnt(0)
	v_cmp_eq_u64_e32 vcc_lo, 0, v[2:3]
	s_cbranch_vccnz .LBB0_102
; %bb.101:
	global_load_b32 v0, v[0:1], off offset:24
	s_waitcnt vmcnt(0)
	v_dual_mov_b32 v1, 0 :: v_dual_and_b32 v4, 0xffffff, v0
	s_waitcnt_vscnt null, 0x0
	global_store_b64 v[2:3], v[0:1], off
	v_readfirstlane_b32 m0, v4
	s_sendmsg sendmsg(MSG_INTERRUPT)
.LBB0_102:
	s_or_b32 exec_lo, exec_lo, s6
	s_branch .LBB0_106
	.p2align	6
.LBB0_103:                              ;   in Loop: Header=BB0_106 Depth=1
	s_or_b32 exec_lo, exec_lo, s6
	s_delay_alu instid0(VALU_DEP_1) | instskip(NEXT) | instid1(VALU_DEP_1)
	v_readfirstlane_b32 s6, v0
	s_cmp_eq_u32 s6, 0
	s_cbranch_scc1 .LBB0_105
; %bb.104:                              ;   in Loop: Header=BB0_106 Depth=1
	s_sleep 1
	s_cbranch_execnz .LBB0_106
	s_branch .LBB0_109
	.p2align	6
.LBB0_105:
	s_branch .LBB0_109
.LBB0_106:                              ; =>This Inner Loop Header: Depth=1
	v_mov_b32_e32 v0, 1
	s_and_saveexec_b32 s6, s0
	s_cbranch_execz .LBB0_103
; %bb.107:                              ;   in Loop: Header=BB0_106 Depth=1
	global_load_b32 v0, v[8:9], off offset:20 glc
	s_waitcnt vmcnt(0)
	buffer_gl1_inv
	buffer_gl0_inv
	v_and_b32_e32 v0, 1, v0
	s_branch .LBB0_103
.LBB0_108:
	s_or_b32 exec_lo, exec_lo, s1
	s_waitcnt vmcnt(0) lgkmcnt(0)
	s_setpc_b64 s[30:31]
.LBB0_109:
	global_load_b64 v[0:1], v[6:7], off
	s_and_saveexec_b32 s6, s0
	s_cbranch_execz .LBB0_113
; %bb.110:
	v_mov_b32_e32 v8, 0
	s_clause 0x2
	global_load_b64 v[4:5], v8, s[2:3] offset:40
	global_load_b64 v[9:10], v8, s[2:3] offset:24 glc
	global_load_b64 v[6:7], v8, s[2:3]
	s_waitcnt vmcnt(2)
	v_add_co_u32 v11, vcc_lo, v4, 1
	v_add_co_ci_u32_e32 v12, vcc_lo, 0, v5, vcc_lo
	s_delay_alu instid0(VALU_DEP_2) | instskip(NEXT) | instid1(VALU_DEP_2)
	v_add_co_u32 v2, vcc_lo, v11, s4
	v_add_co_ci_u32_e32 v3, vcc_lo, s5, v12, vcc_lo
	s_delay_alu instid0(VALU_DEP_1) | instskip(SKIP_1) | instid1(VALU_DEP_1)
	v_cmp_eq_u64_e32 vcc_lo, 0, v[2:3]
	v_dual_cndmask_b32 v3, v3, v12 :: v_dual_cndmask_b32 v2, v2, v11
	v_and_b32_e32 v5, v3, v5
	s_delay_alu instid0(VALU_DEP_2) | instskip(NEXT) | instid1(VALU_DEP_2)
	v_and_b32_e32 v4, v2, v4
	v_mul_lo_u32 v5, v5, 24
	s_delay_alu instid0(VALU_DEP_2) | instskip(SKIP_1) | instid1(VALU_DEP_2)
	v_mul_hi_u32 v11, v4, 24
	v_mul_lo_u32 v4, v4, 24
	v_add_nc_u32_e32 v5, v11, v5
	s_waitcnt vmcnt(0)
	s_delay_alu instid0(VALU_DEP_2) | instskip(SKIP_1) | instid1(VALU_DEP_3)
	v_add_co_u32 v6, vcc_lo, v6, v4
	v_mov_b32_e32 v4, v9
	v_add_co_ci_u32_e32 v7, vcc_lo, v7, v5, vcc_lo
	v_mov_b32_e32 v5, v10
	global_store_b64 v[6:7], v[9:10], off
	s_waitcnt_vscnt null, 0x0
	global_atomic_cmpswap_b64 v[4:5], v8, v[2:5], s[2:3] offset:24 glc
	s_waitcnt vmcnt(0)
	v_cmp_ne_u64_e32 vcc_lo, v[4:5], v[9:10]
	s_and_b32 exec_lo, exec_lo, vcc_lo
	s_cbranch_execz .LBB0_113
; %bb.111:
	s_mov_b32 s0, 0
.LBB0_112:                              ; =>This Inner Loop Header: Depth=1
	s_sleep 1
	global_store_b64 v[6:7], v[4:5], off
	s_waitcnt_vscnt null, 0x0
	global_atomic_cmpswap_b64 v[9:10], v8, v[2:5], s[2:3] offset:24 glc
	s_waitcnt vmcnt(0)
	v_cmp_eq_u64_e32 vcc_lo, v[9:10], v[4:5]
	v_dual_mov_b32 v4, v9 :: v_dual_mov_b32 v5, v10
	s_or_b32 s0, vcc_lo, s0
	s_delay_alu instid0(SALU_CYCLE_1)
	s_and_not1_b32 exec_lo, exec_lo, s0
	s_cbranch_execnz .LBB0_112
.LBB0_113:
	s_or_b32 exec_lo, exec_lo, s6
	s_delay_alu instid0(SALU_CYCLE_1)
	s_or_b32 exec_lo, exec_lo, s1
	s_waitcnt vmcnt(0) lgkmcnt(0)
	s_setpc_b64 s[30:31]
.Lfunc_end0:
	.size	__ockl_printf_append_string_n, .Lfunc_end0-__ockl_printf_append_string_n
                                        ; -- End function
	.section	.AMDGPU.csdata,"",@progbits
; Function info:
; codeLenInByte = 4760
; NumSgprs: 34
; NumVgprs: 36
; ScratchSize: 0
; MemoryBound: 0
	.text
	.p2align	2                               ; -- Begin function __ockl_printf_append_args
	.type	__ockl_printf_append_args,@function
__ockl_printf_append_args:              ; @__ockl_printf_append_args
; %bb.0:
	s_waitcnt vmcnt(0) expcnt(0) lgkmcnt(0)
	s_load_b64 s[2:3], s[8:9], 0x50
	v_mbcnt_lo_u32_b32 v15, -1, 0
	v_mov_b32_e32 v11, 0
	v_mov_b32_e32 v12, 0
	s_delay_alu instid0(VALU_DEP_3) | instskip(NEXT) | instid1(VALU_DEP_1)
	v_readfirstlane_b32 s0, v15
	v_cmp_eq_u32_e64 s0, s0, v15
	s_delay_alu instid0(VALU_DEP_1)
	s_and_saveexec_b32 s1, s0
	s_cbranch_execz .LBB1_6
; %bb.1:
	v_mov_b32_e32 v5, 0
	s_mov_b32 s4, exec_lo
	s_waitcnt lgkmcnt(0)
	global_load_b64 v[8:9], v5, s[2:3] offset:24 glc
	s_waitcnt vmcnt(0)
	buffer_gl1_inv
	buffer_gl0_inv
	s_clause 0x1
	global_load_b64 v[6:7], v5, s[2:3] offset:40
	global_load_b64 v[10:11], v5, s[2:3]
	s_waitcnt vmcnt(1)
	v_and_b32_e32 v6, v6, v8
	v_and_b32_e32 v7, v7, v9
	s_delay_alu instid0(VALU_DEP_2) | instskip(NEXT) | instid1(VALU_DEP_2)
	v_mul_hi_u32 v12, v6, 24
	v_mul_lo_u32 v7, v7, 24
	v_mul_lo_u32 v6, v6, 24
	s_delay_alu instid0(VALU_DEP_2) | instskip(SKIP_1) | instid1(VALU_DEP_2)
	v_add_nc_u32_e32 v7, v12, v7
	s_waitcnt vmcnt(0)
	v_add_co_u32 v6, vcc_lo, v10, v6
	s_delay_alu instid0(VALU_DEP_2)
	v_add_co_ci_u32_e32 v7, vcc_lo, v11, v7, vcc_lo
	global_load_b64 v[6:7], v[6:7], off glc
	s_waitcnt vmcnt(0)
	global_atomic_cmpswap_b64 v[11:12], v5, v[6:9], s[2:3] offset:24 glc
	s_waitcnt vmcnt(0)
	buffer_gl1_inv
	buffer_gl0_inv
	v_cmpx_ne_u64_e64 v[11:12], v[8:9]
	s_cbranch_execz .LBB1_5
; %bb.2:
	s_mov_b32 s5, 0
	.p2align	6
.LBB1_3:                                ; =>This Inner Loop Header: Depth=1
	s_sleep 1
	s_clause 0x1
	global_load_b64 v[6:7], v5, s[2:3] offset:40
	global_load_b64 v[13:14], v5, s[2:3]
	v_dual_mov_b32 v8, v11 :: v_dual_mov_b32 v9, v12
	s_waitcnt vmcnt(1)
	s_delay_alu instid0(VALU_DEP_1) | instskip(NEXT) | instid1(VALU_DEP_2)
	v_and_b32_e32 v6, v6, v8
	v_and_b32_e32 v7, v7, v9
	s_waitcnt vmcnt(0)
	s_delay_alu instid0(VALU_DEP_2) | instskip(NEXT) | instid1(VALU_DEP_1)
	v_mad_u64_u32 v[10:11], null, v6, 24, v[13:14]
	v_mov_b32_e32 v6, v11
	s_delay_alu instid0(VALU_DEP_1)
	v_mad_u64_u32 v[11:12], null, v7, 24, v[6:7]
	global_load_b64 v[6:7], v[10:11], off glc
	s_waitcnt vmcnt(0)
	global_atomic_cmpswap_b64 v[11:12], v5, v[6:9], s[2:3] offset:24 glc
	s_waitcnt vmcnt(0)
	buffer_gl1_inv
	buffer_gl0_inv
	v_cmp_eq_u64_e32 vcc_lo, v[11:12], v[8:9]
	s_or_b32 s5, vcc_lo, s5
	s_delay_alu instid0(SALU_CYCLE_1)
	s_and_not1_b32 exec_lo, exec_lo, s5
	s_cbranch_execnz .LBB1_3
; %bb.4:
	s_or_b32 exec_lo, exec_lo, s5
.LBB1_5:
	s_delay_alu instid0(SALU_CYCLE_1)
	s_or_b32 exec_lo, exec_lo, s4
.LBB1_6:
	s_delay_alu instid0(SALU_CYCLE_1)
	s_or_b32 exec_lo, exec_lo, s1
	v_mov_b32_e32 v10, 0
	v_readfirstlane_b32 s4, v11
	v_readfirstlane_b32 s5, v12
	s_mov_b32 s1, exec_lo
	s_waitcnt lgkmcnt(0)
	s_clause 0x1
	global_load_b64 v[13:14], v10, s[2:3] offset:40
	global_load_b128 v[5:8], v10, s[2:3]
	s_waitcnt vmcnt(1)
	v_readfirstlane_b32 s6, v13
	v_readfirstlane_b32 s7, v14
	s_delay_alu instid0(VALU_DEP_1) | instskip(NEXT) | instid1(SALU_CYCLE_1)
	s_and_b64 s[6:7], s[4:5], s[6:7]
	s_mul_i32 s8, s7, 24
	s_mul_hi_u32 s9, s6, 24
	s_mul_i32 s10, s6, 24
	s_add_i32 s9, s9, s8
	s_waitcnt vmcnt(0)
	v_add_co_u32 v13, vcc_lo, v5, s10
	v_add_co_ci_u32_e32 v14, vcc_lo, s9, v6, vcc_lo
	s_and_saveexec_b32 s8, s0
	s_cbranch_execz .LBB1_8
; %bb.7:
	v_dual_mov_b32 v9, s1 :: v_dual_mov_b32 v12, 1
	v_mov_b32_e32 v11, 2
	global_store_b128 v[13:14], v[9:12], off offset:8
.LBB1_8:
	s_or_b32 exec_lo, exec_lo, s8
	v_or_b32_e32 v9, 2, v0
	v_cmp_eq_u32_e32 vcc_lo, 0, v4
	s_lshl_b64 s[6:7], s[6:7], 12
	s_mov_b32 s8, 0
	v_lshlrev_b32_e32 v11, 6, v15
	s_mov_b32 s9, s8
	v_cndmask_b32_e32 v0, v9, v0, vcc_lo
	v_add_co_u32 v4, vcc_lo, v7, s6
	v_add_co_ci_u32_e32 v7, vcc_lo, s7, v8, vcc_lo
	s_mov_b32 s10, s8
	s_mov_b32 s11, s8
	v_and_or_b32 v0, 0xffffff1f, v0, 32
	v_readfirstlane_b32 s6, v4
	v_readfirstlane_b32 s7, v7
	v_dual_mov_b32 v7, s8 :: v_dual_mov_b32 v8, s9
	v_dual_mov_b32 v9, s10 :: v_dual_mov_b32 v10, s11
	s_clause 0x3
	global_store_b128 v11, v[0:3], s[6:7]
	global_store_b128 v11, v[7:10], s[6:7] offset:16
	global_store_b128 v11, v[7:10], s[6:7] offset:32
	;; [unrolled: 1-line block ×3, first 2 shown]
	s_and_saveexec_b32 s1, s0
	s_cbranch_execz .LBB1_16
; %bb.9:
	v_mov_b32_e32 v7, 0
	v_mov_b32_e32 v9, s5
	s_mov_b32 s6, exec_lo
	s_clause 0x1
	global_load_b64 v[10:11], v7, s[2:3] offset:32 glc
	global_load_b64 v[0:1], v7, s[2:3] offset:40
	v_mov_b32_e32 v8, s4
	s_waitcnt vmcnt(0)
	v_and_b32_e32 v0, s4, v0
	v_and_b32_e32 v1, s5, v1
	s_delay_alu instid0(VALU_DEP_2) | instskip(NEXT) | instid1(VALU_DEP_2)
	v_mul_hi_u32 v2, v0, 24
	v_mul_lo_u32 v1, v1, 24
	v_mul_lo_u32 v0, v0, 24
	s_delay_alu instid0(VALU_DEP_2) | instskip(NEXT) | instid1(VALU_DEP_2)
	v_add_nc_u32_e32 v1, v2, v1
	v_add_co_u32 v4, vcc_lo, v5, v0
	s_delay_alu instid0(VALU_DEP_2)
	v_add_co_ci_u32_e32 v5, vcc_lo, v6, v1, vcc_lo
	global_store_b64 v[4:5], v[10:11], off
	s_waitcnt_vscnt null, 0x0
	global_atomic_cmpswap_b64 v[2:3], v7, v[8:11], s[2:3] offset:32 glc
	s_waitcnt vmcnt(0)
	v_cmpx_ne_u64_e64 v[2:3], v[10:11]
	s_cbranch_execz .LBB1_12
; %bb.10:
	s_mov_b32 s7, 0
.LBB1_11:                               ; =>This Inner Loop Header: Depth=1
	v_dual_mov_b32 v0, s4 :: v_dual_mov_b32 v1, s5
	s_sleep 1
	global_store_b64 v[4:5], v[2:3], off
	s_waitcnt_vscnt null, 0x0
	global_atomic_cmpswap_b64 v[0:1], v7, v[0:3], s[2:3] offset:32 glc
	s_waitcnt vmcnt(0)
	v_cmp_eq_u64_e32 vcc_lo, v[0:1], v[2:3]
	v_dual_mov_b32 v3, v1 :: v_dual_mov_b32 v2, v0
	s_or_b32 s7, vcc_lo, s7
	s_delay_alu instid0(SALU_CYCLE_1)
	s_and_not1_b32 exec_lo, exec_lo, s7
	s_cbranch_execnz .LBB1_11
.LBB1_12:
	s_or_b32 exec_lo, exec_lo, s6
	v_mov_b32_e32 v3, 0
	s_mov_b32 s7, exec_lo
	s_mov_b32 s6, exec_lo
	v_mbcnt_lo_u32_b32 v2, s7, 0
	global_load_b64 v[0:1], v3, s[2:3] offset:16
	v_cmpx_eq_u32_e32 0, v2
	s_cbranch_execz .LBB1_14
; %bb.13:
	s_bcnt1_i32_b32 s7, s7
	s_delay_alu instid0(SALU_CYCLE_1)
	v_mov_b32_e32 v2, s7
	s_waitcnt vmcnt(0)
	global_atomic_add_u64 v[0:1], v[2:3], off offset:8
.LBB1_14:
	s_or_b32 exec_lo, exec_lo, s6
	s_waitcnt vmcnt(0)
	global_load_b64 v[2:3], v[0:1], off offset:16
	s_waitcnt vmcnt(0)
	v_cmp_eq_u64_e32 vcc_lo, 0, v[2:3]
	s_cbranch_vccnz .LBB1_16
; %bb.15:
	global_load_b32 v0, v[0:1], off offset:24
	s_waitcnt vmcnt(0)
	v_dual_mov_b32 v1, 0 :: v_dual_and_b32 v4, 0xffffff, v0
	s_waitcnt_vscnt null, 0x0
	global_store_b64 v[2:3], v[0:1], off
	v_readfirstlane_b32 m0, v4
	s_sendmsg sendmsg(MSG_INTERRUPT)
.LBB1_16:
	s_or_b32 exec_lo, exec_lo, s1
	s_branch .LBB1_20
	.p2align	6
.LBB1_17:                               ;   in Loop: Header=BB1_20 Depth=1
	s_or_b32 exec_lo, exec_lo, s1
	s_delay_alu instid0(VALU_DEP_1) | instskip(NEXT) | instid1(VALU_DEP_1)
	v_readfirstlane_b32 s1, v0
	s_cmp_eq_u32 s1, 0
	s_cbranch_scc1 .LBB1_19
; %bb.18:                               ;   in Loop: Header=BB1_20 Depth=1
	s_sleep 1
	s_cbranch_execnz .LBB1_20
	s_branch .LBB1_22
	.p2align	6
.LBB1_19:
	s_branch .LBB1_22
.LBB1_20:                               ; =>This Inner Loop Header: Depth=1
	v_mov_b32_e32 v0, 1
	s_and_saveexec_b32 s1, s0
	s_cbranch_execz .LBB1_17
; %bb.21:                               ;   in Loop: Header=BB1_20 Depth=1
	global_load_b32 v0, v[13:14], off offset:20 glc
	s_waitcnt vmcnt(0)
	buffer_gl1_inv
	buffer_gl0_inv
	v_and_b32_e32 v0, 1, v0
	s_branch .LBB1_17
.LBB1_22:
	s_and_saveexec_b32 s1, s0
	s_cbranch_execz .LBB1_26
; %bb.23:
	v_mov_b32_e32 v6, 0
	s_clause 0x2
	global_load_b64 v[2:3], v6, s[2:3] offset:40
	global_load_b64 v[7:8], v6, s[2:3] offset:24 glc
	global_load_b64 v[4:5], v6, s[2:3]
	s_waitcnt vmcnt(2)
	v_add_co_u32 v9, vcc_lo, v2, 1
	v_add_co_ci_u32_e32 v10, vcc_lo, 0, v3, vcc_lo
	s_delay_alu instid0(VALU_DEP_2) | instskip(NEXT) | instid1(VALU_DEP_2)
	v_add_co_u32 v0, vcc_lo, v9, s4
	v_add_co_ci_u32_e32 v1, vcc_lo, s5, v10, vcc_lo
	s_delay_alu instid0(VALU_DEP_1) | instskip(SKIP_1) | instid1(VALU_DEP_1)
	v_cmp_eq_u64_e32 vcc_lo, 0, v[0:1]
	v_dual_cndmask_b32 v1, v1, v10 :: v_dual_cndmask_b32 v0, v0, v9
	v_and_b32_e32 v3, v1, v3
	s_delay_alu instid0(VALU_DEP_2) | instskip(NEXT) | instid1(VALU_DEP_2)
	v_and_b32_e32 v2, v0, v2
	v_mul_lo_u32 v3, v3, 24
	s_delay_alu instid0(VALU_DEP_2) | instskip(SKIP_1) | instid1(VALU_DEP_2)
	v_mul_hi_u32 v9, v2, 24
	v_mul_lo_u32 v2, v2, 24
	v_add_nc_u32_e32 v3, v9, v3
	s_waitcnt vmcnt(0)
	s_delay_alu instid0(VALU_DEP_2) | instskip(SKIP_1) | instid1(VALU_DEP_3)
	v_add_co_u32 v4, vcc_lo, v4, v2
	v_mov_b32_e32 v2, v7
	v_add_co_ci_u32_e32 v5, vcc_lo, v5, v3, vcc_lo
	v_mov_b32_e32 v3, v8
	global_store_b64 v[4:5], v[7:8], off
	s_waitcnt_vscnt null, 0x0
	global_atomic_cmpswap_b64 v[2:3], v6, v[0:3], s[2:3] offset:24 glc
	s_waitcnt vmcnt(0)
	v_cmp_ne_u64_e32 vcc_lo, v[2:3], v[7:8]
	s_and_b32 exec_lo, exec_lo, vcc_lo
	s_cbranch_execz .LBB1_26
; %bb.24:
	s_mov_b32 s0, 0
.LBB1_25:                               ; =>This Inner Loop Header: Depth=1
	s_sleep 1
	global_store_b64 v[4:5], v[2:3], off
	s_waitcnt_vscnt null, 0x0
	global_atomic_cmpswap_b64 v[7:8], v6, v[0:3], s[2:3] offset:24 glc
	s_waitcnt vmcnt(0)
	v_cmp_eq_u64_e32 vcc_lo, v[7:8], v[2:3]
	v_dual_mov_b32 v2, v7 :: v_dual_mov_b32 v3, v8
	s_or_b32 s0, vcc_lo, s0
	s_delay_alu instid0(SALU_CYCLE_1)
	s_and_not1_b32 exec_lo, exec_lo, s0
	s_cbranch_execnz .LBB1_25
.LBB1_26:
	s_or_b32 exec_lo, exec_lo, s1
	s_waitcnt lgkmcnt(0)
	s_setpc_b64 s[30:31]
.Lfunc_end1:
	.size	__ockl_printf_append_args, .Lfunc_end1-__ockl_printf_append_args
                                        ; -- End function
	.section	.AMDGPU.csdata,"",@progbits
; Function info:
; codeLenInByte = 1352
; NumSgprs: 34
; NumVgprs: 16
; ScratchSize: 0
; MemoryBound: 0
	.text
	.p2align	2                               ; -- Begin function _ZL14no_device_codePKciS0_iS0_
	.type	_ZL14no_device_codePKciS0_iS0_,@function
_ZL14no_device_codePKciS0_iS0_:         ; @_ZL14no_device_codePKciS0_iS0_
; %bb.0:
	s_waitcnt vmcnt(0) expcnt(0) lgkmcnt(0)
	s_mov_b32 s20, s33
	s_mov_b32 s33, s32
	s_xor_saveexec_b32 s0, -1
	scratch_store_b32 off, v37, s33         ; 4-byte Folded Spill
	s_mov_b32 exec_lo, s0
	v_writelane_b32 v37, s30, 0
	s_add_i32 s32, s32, 16
	v_writelane_b32 v37, s31, 1
	s_load_b64 s[2:3], s[8:9], 0x50
	v_dual_mov_b32 v3, v2 :: v_dual_mov_b32 v2, v1
	v_mbcnt_lo_u32_b32 v1, -1, 0
	v_mov_b32_e32 v10, 0
	v_mov_b32_e32 v11, 0
	s_delay_alu instid0(VALU_DEP_3) | instskip(NEXT) | instid1(VALU_DEP_1)
	v_readfirstlane_b32 s0, v1
	v_cmp_eq_u32_e64 s0, s0, v1
	s_delay_alu instid0(VALU_DEP_1)
	s_and_saveexec_b32 s1, s0
	s_cbranch_execz .LBB2_6
; %bb.1:
	v_mov_b32_e32 v4, 0
	s_mov_b32 s4, exec_lo
	s_waitcnt lgkmcnt(0)
	global_load_b64 v[7:8], v4, s[2:3] offset:24 glc
	s_waitcnt vmcnt(0)
	buffer_gl1_inv
	buffer_gl0_inv
	s_clause 0x1
	global_load_b64 v[5:6], v4, s[2:3] offset:40
	global_load_b64 v[9:10], v4, s[2:3]
	s_waitcnt vmcnt(1)
	v_and_b32_e32 v5, v5, v7
	v_and_b32_e32 v6, v6, v8
	s_delay_alu instid0(VALU_DEP_2) | instskip(NEXT) | instid1(VALU_DEP_2)
	v_mul_hi_u32 v11, v5, 24
	v_mul_lo_u32 v6, v6, 24
	v_mul_lo_u32 v5, v5, 24
	s_delay_alu instid0(VALU_DEP_2) | instskip(SKIP_1) | instid1(VALU_DEP_2)
	v_add_nc_u32_e32 v6, v11, v6
	s_waitcnt vmcnt(0)
	v_add_co_u32 v5, vcc_lo, v9, v5
	s_delay_alu instid0(VALU_DEP_2)
	v_add_co_ci_u32_e32 v6, vcc_lo, v10, v6, vcc_lo
	global_load_b64 v[5:6], v[5:6], off glc
	s_waitcnt vmcnt(0)
	global_atomic_cmpswap_b64 v[10:11], v4, v[5:8], s[2:3] offset:24 glc
	s_waitcnt vmcnt(0)
	buffer_gl1_inv
	buffer_gl0_inv
	v_cmpx_ne_u64_e64 v[10:11], v[7:8]
	s_cbranch_execz .LBB2_5
; %bb.2:
	s_mov_b32 s5, 0
	.p2align	6
.LBB2_3:                                ; =>This Inner Loop Header: Depth=1
	s_sleep 1
	s_clause 0x1
	global_load_b64 v[5:6], v4, s[2:3] offset:40
	global_load_b64 v[12:13], v4, s[2:3]
	v_dual_mov_b32 v7, v10 :: v_dual_mov_b32 v8, v11
	s_waitcnt vmcnt(1)
	s_delay_alu instid0(VALU_DEP_1) | instskip(NEXT) | instid1(VALU_DEP_2)
	v_and_b32_e32 v5, v5, v7
	v_and_b32_e32 v6, v6, v8
	s_waitcnt vmcnt(0)
	s_delay_alu instid0(VALU_DEP_2) | instskip(NEXT) | instid1(VALU_DEP_1)
	v_mad_u64_u32 v[9:10], null, v5, 24, v[12:13]
	v_mov_b32_e32 v5, v10
	s_delay_alu instid0(VALU_DEP_1)
	v_mad_u64_u32 v[10:11], null, v6, 24, v[5:6]
	global_load_b64 v[5:6], v[9:10], off glc
	s_waitcnt vmcnt(0)
	global_atomic_cmpswap_b64 v[10:11], v4, v[5:8], s[2:3] offset:24 glc
	s_waitcnt vmcnt(0)
	buffer_gl1_inv
	buffer_gl0_inv
	v_cmp_eq_u64_e32 vcc_lo, v[10:11], v[7:8]
	s_or_b32 s5, vcc_lo, s5
	s_delay_alu instid0(SALU_CYCLE_1)
	s_and_not1_b32 exec_lo, exec_lo, s5
	s_cbranch_execnz .LBB2_3
; %bb.4:
	s_or_b32 exec_lo, exec_lo, s5
.LBB2_5:
	s_delay_alu instid0(SALU_CYCLE_1)
	s_or_b32 exec_lo, exec_lo, s4
.LBB2_6:
	s_delay_alu instid0(SALU_CYCLE_1)
	s_or_b32 exec_lo, exec_lo, s1
	v_mov_b32_e32 v9, 0
	v_readfirstlane_b32 s4, v10
	v_readfirstlane_b32 s5, v11
	s_mov_b32 s1, exec_lo
	s_waitcnt lgkmcnt(0)
	s_clause 0x1
	global_load_b64 v[12:13], v9, s[2:3] offset:40
	global_load_b128 v[4:7], v9, s[2:3]
	s_waitcnt vmcnt(1)
	v_readfirstlane_b32 s6, v12
	v_readfirstlane_b32 s7, v13
	s_delay_alu instid0(VALU_DEP_1) | instskip(NEXT) | instid1(SALU_CYCLE_1)
	s_and_b64 s[6:7], s[4:5], s[6:7]
	s_mul_i32 s10, s7, 24
	s_mul_hi_u32 s11, s6, 24
	s_mul_i32 s12, s6, 24
	s_add_i32 s11, s11, s10
	s_waitcnt vmcnt(0)
	v_add_co_u32 v12, vcc_lo, v4, s12
	v_add_co_ci_u32_e32 v13, vcc_lo, s11, v5, vcc_lo
	s_and_saveexec_b32 s10, s0
	s_cbranch_execz .LBB2_8
; %bb.7:
	v_dual_mov_b32 v8, s1 :: v_dual_mov_b32 v11, 1
	v_mov_b32_e32 v10, 2
	global_store_b128 v[12:13], v[8:11], off offset:8
.LBB2_8:
	s_or_b32 exec_lo, exec_lo, s10
	s_lshl_b64 s[6:7], s[6:7], 12
	v_dual_mov_b32 v8, 33 :: v_dual_lshlrev_b32 v35, 6, v1
	v_add_co_u32 v6, vcc_lo, v6, s6
	v_add_co_ci_u32_e32 v7, vcc_lo, s7, v7, vcc_lo
	s_mov_b32 s12, 0
	s_delay_alu instid0(VALU_DEP_2)
	v_add_co_u32 v14, vcc_lo, v6, v35
	s_mov_b32 s15, s12
	s_mov_b32 s13, s12
	;; [unrolled: 1-line block ×3, first 2 shown]
	v_dual_mov_b32 v10, v9 :: v_dual_mov_b32 v19, s15
	v_dual_mov_b32 v11, v9 :: v_dual_mov_b32 v18, s14
	v_readfirstlane_b32 s6, v6
	v_readfirstlane_b32 s7, v7
	v_add_co_ci_u32_e32 v15, vcc_lo, 0, v7, vcc_lo
	v_dual_mov_b32 v17, s13 :: v_dual_mov_b32 v16, s12
	s_clause 0x3
	global_store_b128 v35, v[8:11], s[6:7]
	global_store_b128 v35, v[16:19], s[6:7] offset:16
	global_store_b128 v35, v[16:19], s[6:7] offset:32
	;; [unrolled: 1-line block ×3, first 2 shown]
	s_and_saveexec_b32 s1, s0
	s_cbranch_execz .LBB2_16
; %bb.9:
	v_mov_b32_e32 v10, 0
	s_mov_b32 s6, exec_lo
	s_clause 0x1
	global_load_b64 v[18:19], v10, s[2:3] offset:32 glc
	global_load_b64 v[6:7], v10, s[2:3] offset:40
	v_dual_mov_b32 v17, s5 :: v_dual_mov_b32 v16, s4
	s_waitcnt vmcnt(0)
	v_and_b32_e32 v7, s5, v7
	v_and_b32_e32 v6, s4, v6
	s_delay_alu instid0(VALU_DEP_2) | instskip(NEXT) | instid1(VALU_DEP_2)
	v_mul_lo_u32 v7, v7, 24
	v_mul_hi_u32 v8, v6, 24
	v_mul_lo_u32 v6, v6, 24
	s_delay_alu instid0(VALU_DEP_2) | instskip(NEXT) | instid1(VALU_DEP_2)
	v_add_nc_u32_e32 v7, v8, v7
	v_add_co_u32 v8, vcc_lo, v4, v6
	s_delay_alu instid0(VALU_DEP_2)
	v_add_co_ci_u32_e32 v9, vcc_lo, v5, v7, vcc_lo
	global_store_b64 v[8:9], v[18:19], off
	s_waitcnt_vscnt null, 0x0
	global_atomic_cmpswap_b64 v[6:7], v10, v[16:19], s[2:3] offset:32 glc
	s_waitcnt vmcnt(0)
	v_cmpx_ne_u64_e64 v[6:7], v[18:19]
	s_cbranch_execz .LBB2_12
; %bb.10:
	s_mov_b32 s7, 0
.LBB2_11:                               ; =>This Inner Loop Header: Depth=1
	v_dual_mov_b32 v4, s4 :: v_dual_mov_b32 v5, s5
	s_sleep 1
	global_store_b64 v[8:9], v[6:7], off
	s_waitcnt_vscnt null, 0x0
	global_atomic_cmpswap_b64 v[4:5], v10, v[4:7], s[2:3] offset:32 glc
	s_waitcnt vmcnt(0)
	v_cmp_eq_u64_e32 vcc_lo, v[4:5], v[6:7]
	v_dual_mov_b32 v7, v5 :: v_dual_mov_b32 v6, v4
	s_or_b32 s7, vcc_lo, s7
	s_delay_alu instid0(SALU_CYCLE_1)
	s_and_not1_b32 exec_lo, exec_lo, s7
	s_cbranch_execnz .LBB2_11
.LBB2_12:
	s_or_b32 exec_lo, exec_lo, s6
	v_mov_b32_e32 v7, 0
	s_mov_b32 s7, exec_lo
	s_mov_b32 s6, exec_lo
	v_mbcnt_lo_u32_b32 v6, s7, 0
	global_load_b64 v[4:5], v7, s[2:3] offset:16
	v_cmpx_eq_u32_e32 0, v6
	s_cbranch_execz .LBB2_14
; %bb.13:
	s_bcnt1_i32_b32 s7, s7
	s_delay_alu instid0(SALU_CYCLE_1)
	v_mov_b32_e32 v6, s7
	s_waitcnt vmcnt(0)
	global_atomic_add_u64 v[4:5], v[6:7], off offset:8
.LBB2_14:
	s_or_b32 exec_lo, exec_lo, s6
	s_waitcnt vmcnt(0)
	global_load_b64 v[6:7], v[4:5], off offset:16
	s_waitcnt vmcnt(0)
	v_cmp_eq_u64_e32 vcc_lo, 0, v[6:7]
	s_cbranch_vccnz .LBB2_16
; %bb.15:
	global_load_b32 v4, v[4:5], off offset:24
	s_waitcnt vmcnt(0)
	v_dual_mov_b32 v5, 0 :: v_dual_and_b32 v8, 0xffffff, v4
	s_waitcnt_vscnt null, 0x0
	global_store_b64 v[6:7], v[4:5], off
	v_readfirstlane_b32 m0, v8
	s_sendmsg sendmsg(MSG_INTERRUPT)
.LBB2_16:
	s_or_b32 exec_lo, exec_lo, s1
	s_branch .LBB2_20
	.p2align	6
.LBB2_17:                               ;   in Loop: Header=BB2_20 Depth=1
	s_or_b32 exec_lo, exec_lo, s1
	s_delay_alu instid0(VALU_DEP_1) | instskip(NEXT) | instid1(VALU_DEP_1)
	v_readfirstlane_b32 s1, v4
	s_cmp_eq_u32 s1, 0
	s_cbranch_scc1 .LBB2_19
; %bb.18:                               ;   in Loop: Header=BB2_20 Depth=1
	s_sleep 1
	s_cbranch_execnz .LBB2_20
	s_branch .LBB2_22
	.p2align	6
.LBB2_19:
	s_branch .LBB2_22
.LBB2_20:                               ; =>This Inner Loop Header: Depth=1
	v_mov_b32_e32 v4, 1
	s_and_saveexec_b32 s1, s0
	s_cbranch_execz .LBB2_17
; %bb.21:                               ;   in Loop: Header=BB2_20 Depth=1
	global_load_b32 v4, v[12:13], off offset:20 glc
	s_waitcnt vmcnt(0)
	buffer_gl1_inv
	buffer_gl0_inv
	v_and_b32_e32 v4, 1, v4
	s_branch .LBB2_17
.LBB2_22:
	global_load_b64 v[8:9], v[14:15], off
	s_and_saveexec_b32 s1, s0
	s_cbranch_execz .LBB2_26
; %bb.23:
	v_mov_b32_e32 v12, 0
	s_clause 0x2
	global_load_b64 v[6:7], v12, s[2:3] offset:40
	global_load_b64 v[13:14], v12, s[2:3] offset:24 glc
	global_load_b64 v[10:11], v12, s[2:3]
	s_waitcnt vmcnt(2)
	v_add_co_u32 v15, vcc_lo, v6, 1
	v_add_co_ci_u32_e32 v16, vcc_lo, 0, v7, vcc_lo
	s_delay_alu instid0(VALU_DEP_2) | instskip(NEXT) | instid1(VALU_DEP_2)
	v_add_co_u32 v4, vcc_lo, v15, s4
	v_add_co_ci_u32_e32 v5, vcc_lo, s5, v16, vcc_lo
	s_delay_alu instid0(VALU_DEP_1) | instskip(SKIP_1) | instid1(VALU_DEP_1)
	v_cmp_eq_u64_e32 vcc_lo, 0, v[4:5]
	v_dual_cndmask_b32 v5, v5, v16 :: v_dual_cndmask_b32 v4, v4, v15
	v_and_b32_e32 v7, v5, v7
	s_delay_alu instid0(VALU_DEP_2) | instskip(NEXT) | instid1(VALU_DEP_2)
	v_and_b32_e32 v6, v4, v6
	v_mul_lo_u32 v7, v7, 24
	s_delay_alu instid0(VALU_DEP_2) | instskip(SKIP_1) | instid1(VALU_DEP_2)
	v_mul_hi_u32 v15, v6, 24
	v_mul_lo_u32 v6, v6, 24
	v_add_nc_u32_e32 v7, v15, v7
	s_waitcnt vmcnt(0)
	s_delay_alu instid0(VALU_DEP_2) | instskip(SKIP_1) | instid1(VALU_DEP_3)
	v_add_co_u32 v10, vcc_lo, v10, v6
	v_mov_b32_e32 v6, v13
	v_add_co_ci_u32_e32 v11, vcc_lo, v11, v7, vcc_lo
	v_mov_b32_e32 v7, v14
	global_store_b64 v[10:11], v[13:14], off
	s_waitcnt_vscnt null, 0x0
	global_atomic_cmpswap_b64 v[6:7], v12, v[4:7], s[2:3] offset:24 glc
	s_waitcnt vmcnt(0)
	v_cmp_ne_u64_e32 vcc_lo, v[6:7], v[13:14]
	s_and_b32 exec_lo, exec_lo, vcc_lo
	s_cbranch_execz .LBB2_26
; %bb.24:
	s_mov_b32 s0, 0
.LBB2_25:                               ; =>This Inner Loop Header: Depth=1
	s_sleep 1
	global_store_b64 v[10:11], v[6:7], off
	s_waitcnt_vscnt null, 0x0
	global_atomic_cmpswap_b64 v[13:14], v12, v[4:7], s[2:3] offset:24 glc
	s_waitcnt vmcnt(0)
	v_cmp_eq_u64_e32 vcc_lo, v[13:14], v[6:7]
	v_dual_mov_b32 v6, v13 :: v_dual_mov_b32 v7, v14
	s_or_b32 s0, vcc_lo, s0
	s_delay_alu instid0(SALU_CYCLE_1)
	s_and_not1_b32 exec_lo, exec_lo, s0
	s_cbranch_execnz .LBB2_25
.LBB2_26:
	s_or_b32 exec_lo, exec_lo, s1
	s_getpc_b64 s[4:5]
	s_add_u32 s4, s4, .str.2@rel32@lo+4
	s_addc_u32 s5, s5, .str.2@rel32@hi+12
	s_delay_alu instid0(SALU_CYCLE_1)
	s_cmp_lg_u64 s[4:5], 0
	s_cbranch_scc0 .LBB2_104
; %bb.27:
	s_waitcnt vmcnt(0)
	v_dual_mov_b32 v11, 0 :: v_dual_and_b32 v32, 2, v8
	v_dual_mov_b32 v5, v9 :: v_dual_and_b32 v4, -3, v8
	v_dual_mov_b32 v12, 2 :: v_dual_mov_b32 v13, 1
	s_mov_b64 s[6:7], 0x4d
	s_branch .LBB2_29
.LBB2_28:                               ;   in Loop: Header=BB2_29 Depth=1
	s_or_b32 exec_lo, exec_lo, s1
	s_sub_u32 s6, s6, s10
	s_subb_u32 s7, s7, s11
	s_add_u32 s4, s4, s10
	s_addc_u32 s5, s5, s11
	s_cmp_lg_u64 s[6:7], 0
	s_cbranch_scc0 .LBB2_105
.LBB2_29:                               ; =>This Loop Header: Depth=1
                                        ;     Child Loop BB2_38 Depth 2
                                        ;     Child Loop BB2_34 Depth 2
	;; [unrolled: 1-line block ×11, first 2 shown]
	v_cmp_lt_u64_e64 s0, s[6:7], 56
	v_cmp_gt_u64_e64 s1, s[6:7], 7
                                        ; implicit-def: $vgpr6_vgpr7
                                        ; implicit-def: $sgpr16
	s_delay_alu instid0(VALU_DEP_2) | instskip(SKIP_2) | instid1(VALU_DEP_1)
	s_and_b32 s0, s0, exec_lo
	s_cselect_b32 s11, s7, 0
	s_cselect_b32 s10, s6, 56
	s_and_b32 vcc_lo, exec_lo, s1
	s_mov_b32 s0, -1
	s_cbranch_vccz .LBB2_36
; %bb.30:                               ;   in Loop: Header=BB2_29 Depth=1
	s_and_not1_b32 vcc_lo, exec_lo, s0
	s_mov_b64 s[0:1], s[4:5]
	s_cbranch_vccz .LBB2_40
.LBB2_31:                               ;   in Loop: Header=BB2_29 Depth=1
	s_cmp_gt_u32 s16, 7
	s_cbranch_scc1 .LBB2_41
.LBB2_32:                               ;   in Loop: Header=BB2_29 Depth=1
	v_mov_b32_e32 v14, 0
	v_mov_b32_e32 v15, 0
	s_cmp_eq_u32 s16, 0
	s_cbranch_scc1 .LBB2_35
; %bb.33:                               ;   in Loop: Header=BB2_29 Depth=1
	s_mov_b64 s[12:13], 0
	s_mov_b64 s[14:15], 0
.LBB2_34:                               ;   Parent Loop BB2_29 Depth=1
                                        ; =>  This Inner Loop Header: Depth=2
	s_delay_alu instid0(SALU_CYCLE_1)
	s_add_u32 s18, s0, s14
	s_addc_u32 s19, s1, s15
	s_add_u32 s14, s14, 1
	global_load_u8 v10, v11, s[18:19]
	s_addc_u32 s15, s15, 0
	s_waitcnt vmcnt(0)
	v_and_b32_e32 v10, 0xffff, v10
	s_delay_alu instid0(VALU_DEP_1) | instskip(SKIP_3) | instid1(VALU_DEP_1)
	v_lshlrev_b64 v[16:17], s12, v[10:11]
	s_add_u32 s12, s12, 8
	s_addc_u32 s13, s13, 0
	s_cmp_lg_u32 s16, s14
	v_or_b32_e32 v14, v16, v14
	s_delay_alu instid0(VALU_DEP_2)
	v_or_b32_e32 v15, v17, v15
	s_cbranch_scc1 .LBB2_34
.LBB2_35:                               ;   in Loop: Header=BB2_29 Depth=1
	s_mov_b32 s17, 0
	s_cbranch_execz .LBB2_42
	s_branch .LBB2_43
.LBB2_36:                               ;   in Loop: Header=BB2_29 Depth=1
	s_waitcnt vmcnt(0)
	v_mov_b32_e32 v6, 0
	v_mov_b32_e32 v7, 0
	s_cmp_eq_u64 s[6:7], 0
	s_mov_b64 s[0:1], 0
	s_cbranch_scc1 .LBB2_39
; %bb.37:                               ;   in Loop: Header=BB2_29 Depth=1
	v_mov_b32_e32 v6, 0
	v_mov_b32_e32 v7, 0
	s_lshl_b64 s[12:13], s[10:11], 3
	s_mov_b64 s[14:15], s[4:5]
.LBB2_38:                               ;   Parent Loop BB2_29 Depth=1
                                        ; =>  This Inner Loop Header: Depth=2
	global_load_u8 v10, v11, s[14:15]
	s_waitcnt vmcnt(0)
	v_and_b32_e32 v10, 0xffff, v10
	s_delay_alu instid0(VALU_DEP_1)
	v_lshlrev_b64 v[14:15], s0, v[10:11]
	s_add_u32 s0, s0, 8
	s_addc_u32 s1, s1, 0
	s_add_u32 s14, s14, 1
	s_addc_u32 s15, s15, 0
	s_cmp_lg_u32 s12, s0
	v_or_b32_e32 v6, v14, v6
	v_or_b32_e32 v7, v15, v7
	s_cbranch_scc1 .LBB2_38
.LBB2_39:                               ;   in Loop: Header=BB2_29 Depth=1
	s_mov_b32 s16, 0
	s_mov_b64 s[0:1], s[4:5]
	s_cbranch_execnz .LBB2_31
.LBB2_40:                               ;   in Loop: Header=BB2_29 Depth=1
	global_load_b64 v[6:7], v11, s[4:5]
	s_add_i32 s16, s10, -8
	s_add_u32 s0, s4, 8
	s_addc_u32 s1, s5, 0
	s_cmp_gt_u32 s16, 7
	s_cbranch_scc0 .LBB2_32
.LBB2_41:                               ;   in Loop: Header=BB2_29 Depth=1
                                        ; implicit-def: $vgpr14_vgpr15
                                        ; implicit-def: $sgpr17
.LBB2_42:                               ;   in Loop: Header=BB2_29 Depth=1
	global_load_b64 v[14:15], v11, s[0:1]
	s_add_i32 s17, s16, -8
	s_add_u32 s0, s0, 8
	s_addc_u32 s1, s1, 0
.LBB2_43:                               ;   in Loop: Header=BB2_29 Depth=1
	s_cmp_gt_u32 s17, 7
	s_cbranch_scc1 .LBB2_48
; %bb.44:                               ;   in Loop: Header=BB2_29 Depth=1
	v_mov_b32_e32 v16, 0
	v_mov_b32_e32 v17, 0
	s_cmp_eq_u32 s17, 0
	s_cbranch_scc1 .LBB2_47
; %bb.45:                               ;   in Loop: Header=BB2_29 Depth=1
	s_mov_b64 s[12:13], 0
	s_mov_b64 s[14:15], 0
.LBB2_46:                               ;   Parent Loop BB2_29 Depth=1
                                        ; =>  This Inner Loop Header: Depth=2
	s_delay_alu instid0(SALU_CYCLE_1)
	s_add_u32 s18, s0, s14
	s_addc_u32 s19, s1, s15
	s_add_u32 s14, s14, 1
	global_load_u8 v10, v11, s[18:19]
	s_addc_u32 s15, s15, 0
	s_waitcnt vmcnt(0)
	v_and_b32_e32 v10, 0xffff, v10
	s_delay_alu instid0(VALU_DEP_1) | instskip(SKIP_3) | instid1(VALU_DEP_1)
	v_lshlrev_b64 v[18:19], s12, v[10:11]
	s_add_u32 s12, s12, 8
	s_addc_u32 s13, s13, 0
	s_cmp_lg_u32 s17, s14
	v_or_b32_e32 v16, v18, v16
	s_delay_alu instid0(VALU_DEP_2)
	v_or_b32_e32 v17, v19, v17
	s_cbranch_scc1 .LBB2_46
.LBB2_47:                               ;   in Loop: Header=BB2_29 Depth=1
	s_mov_b32 s16, 0
	s_cbranch_execz .LBB2_49
	s_branch .LBB2_50
.LBB2_48:                               ;   in Loop: Header=BB2_29 Depth=1
                                        ; implicit-def: $sgpr16
.LBB2_49:                               ;   in Loop: Header=BB2_29 Depth=1
	global_load_b64 v[16:17], v11, s[0:1]
	s_add_i32 s16, s17, -8
	s_add_u32 s0, s0, 8
	s_addc_u32 s1, s1, 0
.LBB2_50:                               ;   in Loop: Header=BB2_29 Depth=1
	s_cmp_gt_u32 s16, 7
	s_cbranch_scc1 .LBB2_55
; %bb.51:                               ;   in Loop: Header=BB2_29 Depth=1
	v_mov_b32_e32 v18, 0
	v_mov_b32_e32 v19, 0
	s_cmp_eq_u32 s16, 0
	s_cbranch_scc1 .LBB2_54
; %bb.52:                               ;   in Loop: Header=BB2_29 Depth=1
	s_mov_b64 s[12:13], 0
	s_mov_b64 s[14:15], 0
.LBB2_53:                               ;   Parent Loop BB2_29 Depth=1
                                        ; =>  This Inner Loop Header: Depth=2
	s_delay_alu instid0(SALU_CYCLE_1)
	s_add_u32 s18, s0, s14
	s_addc_u32 s19, s1, s15
	s_add_u32 s14, s14, 1
	global_load_u8 v10, v11, s[18:19]
	s_addc_u32 s15, s15, 0
	s_waitcnt vmcnt(0)
	v_and_b32_e32 v10, 0xffff, v10
	s_delay_alu instid0(VALU_DEP_1) | instskip(SKIP_3) | instid1(VALU_DEP_1)
	v_lshlrev_b64 v[20:21], s12, v[10:11]
	s_add_u32 s12, s12, 8
	s_addc_u32 s13, s13, 0
	s_cmp_lg_u32 s16, s14
	v_or_b32_e32 v18, v20, v18
	s_delay_alu instid0(VALU_DEP_2)
	v_or_b32_e32 v19, v21, v19
	s_cbranch_scc1 .LBB2_53
.LBB2_54:                               ;   in Loop: Header=BB2_29 Depth=1
	s_mov_b32 s17, 0
	s_cbranch_execz .LBB2_56
	s_branch .LBB2_57
.LBB2_55:                               ;   in Loop: Header=BB2_29 Depth=1
                                        ; implicit-def: $vgpr18_vgpr19
                                        ; implicit-def: $sgpr17
.LBB2_56:                               ;   in Loop: Header=BB2_29 Depth=1
	global_load_b64 v[18:19], v11, s[0:1]
	s_add_i32 s17, s16, -8
	s_add_u32 s0, s0, 8
	s_addc_u32 s1, s1, 0
.LBB2_57:                               ;   in Loop: Header=BB2_29 Depth=1
	s_cmp_gt_u32 s17, 7
	s_cbranch_scc1 .LBB2_62
; %bb.58:                               ;   in Loop: Header=BB2_29 Depth=1
	v_mov_b32_e32 v20, 0
	v_mov_b32_e32 v21, 0
	s_cmp_eq_u32 s17, 0
	s_cbranch_scc1 .LBB2_61
; %bb.59:                               ;   in Loop: Header=BB2_29 Depth=1
	s_mov_b64 s[12:13], 0
	s_mov_b64 s[14:15], 0
.LBB2_60:                               ;   Parent Loop BB2_29 Depth=1
                                        ; =>  This Inner Loop Header: Depth=2
	s_delay_alu instid0(SALU_CYCLE_1)
	s_add_u32 s18, s0, s14
	s_addc_u32 s19, s1, s15
	s_add_u32 s14, s14, 1
	global_load_u8 v10, v11, s[18:19]
	s_addc_u32 s15, s15, 0
	s_waitcnt vmcnt(0)
	v_and_b32_e32 v10, 0xffff, v10
	s_delay_alu instid0(VALU_DEP_1) | instskip(SKIP_3) | instid1(VALU_DEP_1)
	v_lshlrev_b64 v[22:23], s12, v[10:11]
	s_add_u32 s12, s12, 8
	s_addc_u32 s13, s13, 0
	s_cmp_lg_u32 s17, s14
	v_or_b32_e32 v20, v22, v20
	s_delay_alu instid0(VALU_DEP_2)
	v_or_b32_e32 v21, v23, v21
	s_cbranch_scc1 .LBB2_60
.LBB2_61:                               ;   in Loop: Header=BB2_29 Depth=1
	s_mov_b32 s16, 0
	s_cbranch_execz .LBB2_63
	s_branch .LBB2_64
.LBB2_62:                               ;   in Loop: Header=BB2_29 Depth=1
                                        ; implicit-def: $sgpr16
.LBB2_63:                               ;   in Loop: Header=BB2_29 Depth=1
	global_load_b64 v[20:21], v11, s[0:1]
	s_add_i32 s16, s17, -8
	s_add_u32 s0, s0, 8
	s_addc_u32 s1, s1, 0
.LBB2_64:                               ;   in Loop: Header=BB2_29 Depth=1
	s_cmp_gt_u32 s16, 7
	s_cbranch_scc1 .LBB2_69
; %bb.65:                               ;   in Loop: Header=BB2_29 Depth=1
	v_mov_b32_e32 v22, 0
	v_mov_b32_e32 v23, 0
	s_cmp_eq_u32 s16, 0
	s_cbranch_scc1 .LBB2_68
; %bb.66:                               ;   in Loop: Header=BB2_29 Depth=1
	s_mov_b64 s[12:13], 0
	s_mov_b64 s[14:15], 0
.LBB2_67:                               ;   Parent Loop BB2_29 Depth=1
                                        ; =>  This Inner Loop Header: Depth=2
	s_delay_alu instid0(SALU_CYCLE_1)
	s_add_u32 s18, s0, s14
	s_addc_u32 s19, s1, s15
	s_add_u32 s14, s14, 1
	global_load_u8 v10, v11, s[18:19]
	s_addc_u32 s15, s15, 0
	s_waitcnt vmcnt(0)
	v_and_b32_e32 v10, 0xffff, v10
	s_delay_alu instid0(VALU_DEP_1) | instskip(SKIP_3) | instid1(VALU_DEP_1)
	v_lshlrev_b64 v[24:25], s12, v[10:11]
	s_add_u32 s12, s12, 8
	s_addc_u32 s13, s13, 0
	s_cmp_lg_u32 s16, s14
	v_or_b32_e32 v22, v24, v22
	s_delay_alu instid0(VALU_DEP_2)
	v_or_b32_e32 v23, v25, v23
	s_cbranch_scc1 .LBB2_67
.LBB2_68:                               ;   in Loop: Header=BB2_29 Depth=1
	s_mov_b32 s17, 0
	s_cbranch_execz .LBB2_70
	s_branch .LBB2_71
.LBB2_69:                               ;   in Loop: Header=BB2_29 Depth=1
                                        ; implicit-def: $vgpr22_vgpr23
                                        ; implicit-def: $sgpr17
.LBB2_70:                               ;   in Loop: Header=BB2_29 Depth=1
	global_load_b64 v[22:23], v11, s[0:1]
	s_add_i32 s17, s16, -8
	s_add_u32 s0, s0, 8
	s_addc_u32 s1, s1, 0
.LBB2_71:                               ;   in Loop: Header=BB2_29 Depth=1
	s_cmp_gt_u32 s17, 7
	s_cbranch_scc1 .LBB2_76
; %bb.72:                               ;   in Loop: Header=BB2_29 Depth=1
	v_mov_b32_e32 v24, 0
	v_mov_b32_e32 v25, 0
	s_cmp_eq_u32 s17, 0
	s_cbranch_scc1 .LBB2_75
; %bb.73:                               ;   in Loop: Header=BB2_29 Depth=1
	s_mov_b64 s[12:13], 0
	s_mov_b64 s[14:15], s[0:1]
.LBB2_74:                               ;   Parent Loop BB2_29 Depth=1
                                        ; =>  This Inner Loop Header: Depth=2
	global_load_u8 v10, v11, s[14:15]
	s_add_i32 s17, s17, -1
	s_waitcnt vmcnt(0)
	v_and_b32_e32 v10, 0xffff, v10
	s_delay_alu instid0(VALU_DEP_1)
	v_lshlrev_b64 v[26:27], s12, v[10:11]
	s_add_u32 s12, s12, 8
	s_addc_u32 s13, s13, 0
	s_add_u32 s14, s14, 1
	s_addc_u32 s15, s15, 0
	s_cmp_lg_u32 s17, 0
	v_or_b32_e32 v24, v26, v24
	v_or_b32_e32 v25, v27, v25
	s_cbranch_scc1 .LBB2_74
.LBB2_75:                               ;   in Loop: Header=BB2_29 Depth=1
	s_cbranch_execz .LBB2_77
	s_branch .LBB2_78
.LBB2_76:                               ;   in Loop: Header=BB2_29 Depth=1
.LBB2_77:                               ;   in Loop: Header=BB2_29 Depth=1
	global_load_b64 v[24:25], v11, s[0:1]
.LBB2_78:                               ;   in Loop: Header=BB2_29 Depth=1
	v_readfirstlane_b32 s0, v1
	v_mov_b32_e32 v30, 0
	v_mov_b32_e32 v31, 0
	s_delay_alu instid0(VALU_DEP_3) | instskip(NEXT) | instid1(VALU_DEP_1)
	v_cmp_eq_u32_e64 s0, s0, v1
	s_and_saveexec_b32 s1, s0
	s_cbranch_execz .LBB2_84
; %bb.79:                               ;   in Loop: Header=BB2_29 Depth=1
	global_load_b64 v[28:29], v11, s[2:3] offset:24 glc
	s_waitcnt vmcnt(0)
	buffer_gl1_inv
	buffer_gl0_inv
	s_clause 0x1
	global_load_b64 v[26:27], v11, s[2:3] offset:40
	global_load_b64 v[30:31], v11, s[2:3]
	s_mov_b32 s12, exec_lo
	s_waitcnt vmcnt(1)
	v_and_b32_e32 v10, v27, v29
	v_and_b32_e32 v26, v26, v28
	s_delay_alu instid0(VALU_DEP_2) | instskip(NEXT) | instid1(VALU_DEP_2)
	v_mul_lo_u32 v10, v10, 24
	v_mul_hi_u32 v27, v26, 24
	v_mul_lo_u32 v26, v26, 24
	s_delay_alu instid0(VALU_DEP_2) | instskip(SKIP_1) | instid1(VALU_DEP_2)
	v_add_nc_u32_e32 v10, v27, v10
	s_waitcnt vmcnt(0)
	v_add_co_u32 v26, vcc_lo, v30, v26
	s_delay_alu instid0(VALU_DEP_2)
	v_add_co_ci_u32_e32 v27, vcc_lo, v31, v10, vcc_lo
	global_load_b64 v[26:27], v[26:27], off glc
	s_waitcnt vmcnt(0)
	global_atomic_cmpswap_b64 v[30:31], v11, v[26:29], s[2:3] offset:24 glc
	s_waitcnt vmcnt(0)
	buffer_gl1_inv
	buffer_gl0_inv
	v_cmpx_ne_u64_e64 v[30:31], v[28:29]
	s_cbranch_execz .LBB2_83
; %bb.80:                               ;   in Loop: Header=BB2_29 Depth=1
	s_mov_b32 s13, 0
	.p2align	6
.LBB2_81:                               ;   Parent Loop BB2_29 Depth=1
                                        ; =>  This Inner Loop Header: Depth=2
	s_sleep 1
	s_clause 0x1
	global_load_b64 v[26:27], v11, s[2:3] offset:40
	global_load_b64 v[33:34], v11, s[2:3]
	v_dual_mov_b32 v28, v30 :: v_dual_mov_b32 v29, v31
	s_waitcnt vmcnt(1)
	s_delay_alu instid0(VALU_DEP_1) | instskip(SKIP_1) | instid1(VALU_DEP_1)
	v_and_b32_e32 v10, v26, v28
	s_waitcnt vmcnt(0)
	v_mad_u64_u32 v[30:31], null, v10, 24, v[33:34]
	v_and_b32_e32 v33, v27, v29
	s_delay_alu instid0(VALU_DEP_2) | instskip(NEXT) | instid1(VALU_DEP_1)
	v_mov_b32_e32 v10, v31
	v_mad_u64_u32 v[26:27], null, v33, 24, v[10:11]
	s_delay_alu instid0(VALU_DEP_1)
	v_mov_b32_e32 v31, v26
	global_load_b64 v[26:27], v[30:31], off glc
	s_waitcnt vmcnt(0)
	global_atomic_cmpswap_b64 v[30:31], v11, v[26:29], s[2:3] offset:24 glc
	s_waitcnt vmcnt(0)
	buffer_gl1_inv
	buffer_gl0_inv
	v_cmp_eq_u64_e32 vcc_lo, v[30:31], v[28:29]
	s_or_b32 s13, vcc_lo, s13
	s_delay_alu instid0(SALU_CYCLE_1)
	s_and_not1_b32 exec_lo, exec_lo, s13
	s_cbranch_execnz .LBB2_81
; %bb.82:                               ;   in Loop: Header=BB2_29 Depth=1
	s_or_b32 exec_lo, exec_lo, s13
.LBB2_83:                               ;   in Loop: Header=BB2_29 Depth=1
	s_delay_alu instid0(SALU_CYCLE_1)
	s_or_b32 exec_lo, exec_lo, s12
.LBB2_84:                               ;   in Loop: Header=BB2_29 Depth=1
	s_delay_alu instid0(SALU_CYCLE_1)
	s_or_b32 exec_lo, exec_lo, s1
	s_clause 0x1
	global_load_b64 v[33:34], v11, s[2:3] offset:40
	global_load_b128 v[26:29], v11, s[2:3]
	v_readfirstlane_b32 s12, v30
	v_readfirstlane_b32 s13, v31
	s_mov_b32 s1, exec_lo
	s_waitcnt vmcnt(1)
	v_readfirstlane_b32 s14, v33
	v_readfirstlane_b32 s15, v34
	s_delay_alu instid0(VALU_DEP_1) | instskip(NEXT) | instid1(SALU_CYCLE_1)
	s_and_b64 s[14:15], s[12:13], s[14:15]
	s_mul_i32 s16, s15, 24
	s_mul_hi_u32 s17, s14, 24
	s_mul_i32 s18, s14, 24
	s_add_i32 s17, s17, s16
	s_waitcnt vmcnt(0)
	v_add_co_u32 v30, vcc_lo, v26, s18
	v_add_co_ci_u32_e32 v31, vcc_lo, s17, v27, vcc_lo
	s_and_saveexec_b32 s16, s0
	s_cbranch_execz .LBB2_86
; %bb.85:                               ;   in Loop: Header=BB2_29 Depth=1
	v_mov_b32_e32 v10, s1
	global_store_b128 v[30:31], v[10:13], off offset:8
.LBB2_86:                               ;   in Loop: Header=BB2_29 Depth=1
	s_or_b32 exec_lo, exec_lo, s16
	s_lshl_b64 s[14:15], s[14:15], 12
	v_cmp_gt_u64_e64 vcc_lo, s[6:7], 56
	v_or_b32_e32 v10, 0, v5
	v_or_b32_e32 v33, v4, v32
	v_add_co_u32 v28, s1, v28, s14
	s_delay_alu instid0(VALU_DEP_1) | instskip(SKIP_1) | instid1(VALU_DEP_3)
	v_add_co_ci_u32_e64 v29, s1, s15, v29, s1
	s_lshl_b32 s1, s10, 2
	v_dual_cndmask_b32 v5, v10, v5 :: v_dual_cndmask_b32 v4, v33, v4
	s_add_i32 s1, s1, 28
	v_readfirstlane_b32 s14, v28
	s_and_b32 s1, s1, 0x1e0
	v_readfirstlane_b32 s15, v29
	v_and_or_b32 v4, 0xffffff1f, v4, s1
	s_clause 0x3
	global_store_b128 v35, v[4:7], s[14:15]
	global_store_b128 v35, v[14:17], s[14:15] offset:16
	global_store_b128 v35, v[18:21], s[14:15] offset:32
	;; [unrolled: 1-line block ×3, first 2 shown]
	s_and_saveexec_b32 s1, s0
	s_cbranch_execz .LBB2_94
; %bb.87:                               ;   in Loop: Header=BB2_29 Depth=1
	s_clause 0x1
	global_load_b64 v[18:19], v11, s[2:3] offset:32 glc
	global_load_b64 v[4:5], v11, s[2:3] offset:40
	v_dual_mov_b32 v16, s12 :: v_dual_mov_b32 v17, s13
	s_waitcnt vmcnt(0)
	v_readfirstlane_b32 s14, v4
	v_readfirstlane_b32 s15, v5
	s_delay_alu instid0(VALU_DEP_1) | instskip(NEXT) | instid1(SALU_CYCLE_1)
	s_and_b64 s[14:15], s[14:15], s[12:13]
	s_mul_i32 s15, s15, 24
	s_mul_hi_u32 s16, s14, 24
	s_mul_i32 s14, s14, 24
	s_add_i32 s16, s16, s15
	v_add_co_u32 v14, vcc_lo, v26, s14
	v_add_co_ci_u32_e32 v15, vcc_lo, s16, v27, vcc_lo
	s_mov_b32 s14, exec_lo
	global_store_b64 v[14:15], v[18:19], off
	s_waitcnt_vscnt null, 0x0
	global_atomic_cmpswap_b64 v[6:7], v11, v[16:19], s[2:3] offset:32 glc
	s_waitcnt vmcnt(0)
	v_cmpx_ne_u64_e64 v[6:7], v[18:19]
	s_cbranch_execz .LBB2_90
; %bb.88:                               ;   in Loop: Header=BB2_29 Depth=1
	s_mov_b32 s15, 0
.LBB2_89:                               ;   Parent Loop BB2_29 Depth=1
                                        ; =>  This Inner Loop Header: Depth=2
	v_dual_mov_b32 v4, s12 :: v_dual_mov_b32 v5, s13
	s_sleep 1
	global_store_b64 v[14:15], v[6:7], off
	s_waitcnt_vscnt null, 0x0
	global_atomic_cmpswap_b64 v[4:5], v11, v[4:7], s[2:3] offset:32 glc
	s_waitcnt vmcnt(0)
	v_cmp_eq_u64_e32 vcc_lo, v[4:5], v[6:7]
	v_dual_mov_b32 v7, v5 :: v_dual_mov_b32 v6, v4
	s_or_b32 s15, vcc_lo, s15
	s_delay_alu instid0(SALU_CYCLE_1)
	s_and_not1_b32 exec_lo, exec_lo, s15
	s_cbranch_execnz .LBB2_89
.LBB2_90:                               ;   in Loop: Header=BB2_29 Depth=1
	s_or_b32 exec_lo, exec_lo, s14
	global_load_b64 v[4:5], v11, s[2:3] offset:16
	s_mov_b32 s15, exec_lo
	s_mov_b32 s14, exec_lo
	v_mbcnt_lo_u32_b32 v6, s15, 0
	s_delay_alu instid0(VALU_DEP_1)
	v_cmpx_eq_u32_e32 0, v6
	s_cbranch_execz .LBB2_92
; %bb.91:                               ;   in Loop: Header=BB2_29 Depth=1
	s_bcnt1_i32_b32 s15, s15
	s_delay_alu instid0(SALU_CYCLE_1)
	v_mov_b32_e32 v10, s15
	s_waitcnt vmcnt(0)
	global_atomic_add_u64 v[4:5], v[10:11], off offset:8
.LBB2_92:                               ;   in Loop: Header=BB2_29 Depth=1
	s_or_b32 exec_lo, exec_lo, s14
	s_waitcnt vmcnt(0)
	global_load_b64 v[6:7], v[4:5], off offset:16
	s_waitcnt vmcnt(0)
	v_cmp_eq_u64_e32 vcc_lo, 0, v[6:7]
	s_cbranch_vccnz .LBB2_94
; %bb.93:                               ;   in Loop: Header=BB2_29 Depth=1
	global_load_b32 v10, v[4:5], off offset:24
	s_waitcnt vmcnt(0)
	v_and_b32_e32 v4, 0xffffff, v10
	s_waitcnt_vscnt null, 0x0
	global_store_b64 v[6:7], v[10:11], off
	v_readfirstlane_b32 m0, v4
	s_sendmsg sendmsg(MSG_INTERRUPT)
.LBB2_94:                               ;   in Loop: Header=BB2_29 Depth=1
	s_or_b32 exec_lo, exec_lo, s1
	v_add_co_u32 v4, vcc_lo, v28, v35
	v_add_co_ci_u32_e32 v5, vcc_lo, 0, v29, vcc_lo
	s_branch .LBB2_98
	.p2align	6
.LBB2_95:                               ;   in Loop: Header=BB2_98 Depth=2
	s_or_b32 exec_lo, exec_lo, s1
	s_delay_alu instid0(VALU_DEP_1) | instskip(NEXT) | instid1(VALU_DEP_1)
	v_readfirstlane_b32 s1, v6
	s_cmp_eq_u32 s1, 0
	s_cbranch_scc1 .LBB2_97
; %bb.96:                               ;   in Loop: Header=BB2_98 Depth=2
	s_sleep 1
	s_cbranch_execnz .LBB2_98
	s_branch .LBB2_100
	.p2align	6
.LBB2_97:                               ;   in Loop: Header=BB2_29 Depth=1
	s_branch .LBB2_100
.LBB2_98:                               ;   Parent Loop BB2_29 Depth=1
                                        ; =>  This Inner Loop Header: Depth=2
	v_mov_b32_e32 v6, 1
	s_and_saveexec_b32 s1, s0
	s_cbranch_execz .LBB2_95
; %bb.99:                               ;   in Loop: Header=BB2_98 Depth=2
	global_load_b32 v6, v[30:31], off offset:20 glc
	s_waitcnt vmcnt(0)
	buffer_gl1_inv
	buffer_gl0_inv
	v_and_b32_e32 v6, 1, v6
	s_branch .LBB2_95
.LBB2_100:                              ;   in Loop: Header=BB2_29 Depth=1
	global_load_b128 v[4:7], v[4:5], off
	s_and_saveexec_b32 s1, s0
	s_cbranch_execz .LBB2_28
; %bb.101:                              ;   in Loop: Header=BB2_29 Depth=1
	s_clause 0x2
	global_load_b64 v[6:7], v11, s[2:3] offset:40
	global_load_b64 v[18:19], v11, s[2:3] offset:24 glc
	global_load_b64 v[16:17], v11, s[2:3]
	s_waitcnt vmcnt(2)
	v_add_co_u32 v10, vcc_lo, v6, 1
	v_add_co_ci_u32_e32 v20, vcc_lo, 0, v7, vcc_lo
	s_delay_alu instid0(VALU_DEP_2) | instskip(NEXT) | instid1(VALU_DEP_2)
	v_add_co_u32 v14, vcc_lo, v10, s12
	v_add_co_ci_u32_e32 v15, vcc_lo, s13, v20, vcc_lo
	s_delay_alu instid0(VALU_DEP_1) | instskip(SKIP_1) | instid1(VALU_DEP_1)
	v_cmp_eq_u64_e32 vcc_lo, 0, v[14:15]
	v_dual_cndmask_b32 v15, v15, v20 :: v_dual_cndmask_b32 v14, v14, v10
	v_and_b32_e32 v7, v15, v7
	s_delay_alu instid0(VALU_DEP_2) | instskip(NEXT) | instid1(VALU_DEP_1)
	v_and_b32_e32 v6, v14, v6
	v_mul_hi_u32 v10, v6, 24
	v_mul_lo_u32 v6, v6, 24
	s_waitcnt vmcnt(0)
	s_delay_alu instid0(VALU_DEP_1) | instskip(SKIP_2) | instid1(VALU_DEP_1)
	v_add_co_u32 v6, vcc_lo, v16, v6
	v_mov_b32_e32 v16, v18
	v_mul_lo_u32 v7, v7, 24
	v_add_nc_u32_e32 v7, v10, v7
	s_delay_alu instid0(VALU_DEP_1)
	v_add_co_ci_u32_e32 v7, vcc_lo, v17, v7, vcc_lo
	v_mov_b32_e32 v17, v19
	global_store_b64 v[6:7], v[18:19], off
	s_waitcnt_vscnt null, 0x0
	global_atomic_cmpswap_b64 v[16:17], v11, v[14:17], s[2:3] offset:24 glc
	s_waitcnt vmcnt(0)
	v_cmp_ne_u64_e32 vcc_lo, v[16:17], v[18:19]
	s_and_b32 exec_lo, exec_lo, vcc_lo
	s_cbranch_execz .LBB2_28
; %bb.102:                              ;   in Loop: Header=BB2_29 Depth=1
	s_mov_b32 s0, 0
.LBB2_103:                              ;   Parent Loop BB2_29 Depth=1
                                        ; =>  This Inner Loop Header: Depth=2
	s_sleep 1
	global_store_b64 v[6:7], v[16:17], off
	s_waitcnt_vscnt null, 0x0
	global_atomic_cmpswap_b64 v[18:19], v11, v[14:17], s[2:3] offset:24 glc
	s_waitcnt vmcnt(0)
	v_cmp_eq_u64_e32 vcc_lo, v[18:19], v[16:17]
	v_dual_mov_b32 v16, v18 :: v_dual_mov_b32 v17, v19
	s_or_b32 s0, vcc_lo, s0
	s_delay_alu instid0(SALU_CYCLE_1)
	s_and_not1_b32 exec_lo, exec_lo, s0
	s_cbranch_execnz .LBB2_103
	s_branch .LBB2_28
.LBB2_104:
                                        ; implicit-def: $vgpr4_vgpr5
	s_cbranch_execnz .LBB2_106
	s_branch .LBB2_133
.LBB2_105:
	s_branch .LBB2_133
.LBB2_106:
	v_readfirstlane_b32 s0, v1
	v_mov_b32_e32 v11, 0
	v_mov_b32_e32 v12, 0
	s_delay_alu instid0(VALU_DEP_3) | instskip(NEXT) | instid1(VALU_DEP_1)
	v_cmp_eq_u32_e64 s0, s0, v1
	s_and_saveexec_b32 s1, s0
	s_cbranch_execz .LBB2_112
; %bb.107:
	s_waitcnt vmcnt(0)
	v_mov_b32_e32 v4, 0
	s_mov_b32 s4, exec_lo
	global_load_b64 v[13:14], v4, s[2:3] offset:24 glc
	s_waitcnt vmcnt(0)
	buffer_gl1_inv
	buffer_gl0_inv
	s_clause 0x1
	global_load_b64 v[5:6], v4, s[2:3] offset:40
	global_load_b64 v[10:11], v4, s[2:3]
	s_waitcnt vmcnt(1)
	v_and_b32_e32 v5, v5, v13
	v_and_b32_e32 v6, v6, v14
	s_delay_alu instid0(VALU_DEP_2) | instskip(NEXT) | instid1(VALU_DEP_2)
	v_mul_hi_u32 v7, v5, 24
	v_mul_lo_u32 v6, v6, 24
	v_mul_lo_u32 v5, v5, 24
	s_delay_alu instid0(VALU_DEP_2) | instskip(SKIP_1) | instid1(VALU_DEP_2)
	v_add_nc_u32_e32 v6, v7, v6
	s_waitcnt vmcnt(0)
	v_add_co_u32 v5, vcc_lo, v10, v5
	s_delay_alu instid0(VALU_DEP_2)
	v_add_co_ci_u32_e32 v6, vcc_lo, v11, v6, vcc_lo
	global_load_b64 v[11:12], v[5:6], off glc
	s_waitcnt vmcnt(0)
	global_atomic_cmpswap_b64 v[11:12], v4, v[11:14], s[2:3] offset:24 glc
	s_waitcnt vmcnt(0)
	buffer_gl1_inv
	buffer_gl0_inv
	v_cmpx_ne_u64_e64 v[11:12], v[13:14]
	s_cbranch_execz .LBB2_111
; %bb.108:
	s_mov_b32 s5, 0
	.p2align	6
.LBB2_109:                              ; =>This Inner Loop Header: Depth=1
	s_sleep 1
	s_clause 0x1
	global_load_b64 v[5:6], v4, s[2:3] offset:40
	global_load_b64 v[15:16], v4, s[2:3]
	v_dual_mov_b32 v14, v12 :: v_dual_mov_b32 v13, v11
	s_waitcnt vmcnt(1)
	s_delay_alu instid0(VALU_DEP_1) | instskip(SKIP_1) | instid1(VALU_DEP_1)
	v_and_b32_e32 v5, v5, v13
	s_waitcnt vmcnt(0)
	v_mad_u64_u32 v[10:11], null, v5, 24, v[15:16]
	s_delay_alu instid0(VALU_DEP_1) | instskip(NEXT) | instid1(VALU_DEP_1)
	v_dual_mov_b32 v5, v11 :: v_dual_and_b32 v12, v6, v14
	v_mad_u64_u32 v[6:7], null, v12, 24, v[5:6]
	s_delay_alu instid0(VALU_DEP_1)
	v_mov_b32_e32 v11, v6
	global_load_b64 v[11:12], v[10:11], off glc
	s_waitcnt vmcnt(0)
	global_atomic_cmpswap_b64 v[11:12], v4, v[11:14], s[2:3] offset:24 glc
	s_waitcnt vmcnt(0)
	buffer_gl1_inv
	buffer_gl0_inv
	v_cmp_eq_u64_e32 vcc_lo, v[11:12], v[13:14]
	s_or_b32 s5, vcc_lo, s5
	s_delay_alu instid0(SALU_CYCLE_1)
	s_and_not1_b32 exec_lo, exec_lo, s5
	s_cbranch_execnz .LBB2_109
; %bb.110:
	s_or_b32 exec_lo, exec_lo, s5
.LBB2_111:
	s_delay_alu instid0(SALU_CYCLE_1)
	s_or_b32 exec_lo, exec_lo, s4
.LBB2_112:
	s_delay_alu instid0(SALU_CYCLE_1)
	s_or_b32 exec_lo, exec_lo, s1
	v_mov_b32_e32 v10, 0
	v_readfirstlane_b32 s4, v11
	v_readfirstlane_b32 s5, v12
	s_mov_b32 s1, exec_lo
	s_clause 0x1
	global_load_b64 v[13:14], v10, s[2:3] offset:40
	global_load_b128 v[4:7], v10, s[2:3]
	s_waitcnt vmcnt(1)
	v_readfirstlane_b32 s6, v13
	v_readfirstlane_b32 s7, v14
	s_delay_alu instid0(VALU_DEP_1) | instskip(NEXT) | instid1(SALU_CYCLE_1)
	s_and_b64 s[6:7], s[4:5], s[6:7]
	s_mul_i32 s10, s7, 24
	s_mul_hi_u32 s11, s6, 24
	s_mul_i32 s12, s6, 24
	s_add_i32 s11, s11, s10
	s_waitcnt vmcnt(0)
	v_add_co_u32 v12, vcc_lo, v4, s12
	v_add_co_ci_u32_e32 v13, vcc_lo, s11, v5, vcc_lo
	s_and_saveexec_b32 s10, s0
	s_cbranch_execz .LBB2_114
; %bb.113:
	v_dual_mov_b32 v14, s1 :: v_dual_mov_b32 v15, v10
	v_dual_mov_b32 v16, 2 :: v_dual_mov_b32 v17, 1
	global_store_b128 v[12:13], v[14:17], off offset:8
.LBB2_114:
	s_or_b32 exec_lo, exec_lo, s10
	s_lshl_b64 s[6:7], s[6:7], 12
	s_mov_b32 s12, 0
	v_add_co_u32 v6, vcc_lo, v6, s6
	v_add_co_ci_u32_e32 v7, vcc_lo, s7, v7, vcc_lo
	s_mov_b32 s15, s12
	s_delay_alu instid0(VALU_DEP_2)
	v_add_co_u32 v14, vcc_lo, v6, v35
	s_mov_b32 s13, s12
	s_mov_b32 s14, s12
	v_and_or_b32 v8, 0xffffff1f, v8, 32
	v_mov_b32_e32 v11, v10
	v_readfirstlane_b32 s6, v6
	v_readfirstlane_b32 s7, v7
	v_dual_mov_b32 v19, s15 :: v_dual_mov_b32 v16, s12
	v_add_co_ci_u32_e32 v15, vcc_lo, 0, v7, vcc_lo
	v_dual_mov_b32 v18, s14 :: v_dual_mov_b32 v17, s13
	s_clause 0x3
	global_store_b128 v35, v[8:11], s[6:7]
	global_store_b128 v35, v[16:19], s[6:7] offset:16
	global_store_b128 v35, v[16:19], s[6:7] offset:32
	;; [unrolled: 1-line block ×3, first 2 shown]
	s_and_saveexec_b32 s1, s0
	s_cbranch_execz .LBB2_122
; %bb.115:
	v_dual_mov_b32 v10, 0 :: v_dual_mov_b32 v17, s5
	v_mov_b32_e32 v16, s4
	s_clause 0x1
	global_load_b64 v[18:19], v10, s[2:3] offset:32 glc
	global_load_b64 v[6:7], v10, s[2:3] offset:40
	s_waitcnt vmcnt(0)
	v_readfirstlane_b32 s6, v6
	v_readfirstlane_b32 s7, v7
	s_delay_alu instid0(VALU_DEP_1) | instskip(NEXT) | instid1(SALU_CYCLE_1)
	s_and_b64 s[6:7], s[6:7], s[4:5]
	s_mul_i32 s7, s7, 24
	s_mul_hi_u32 s10, s6, 24
	s_mul_i32 s6, s6, 24
	s_add_i32 s10, s10, s7
	v_add_co_u32 v8, vcc_lo, v4, s6
	v_add_co_ci_u32_e32 v9, vcc_lo, s10, v5, vcc_lo
	s_mov_b32 s6, exec_lo
	global_store_b64 v[8:9], v[18:19], off
	s_waitcnt_vscnt null, 0x0
	global_atomic_cmpswap_b64 v[6:7], v10, v[16:19], s[2:3] offset:32 glc
	s_waitcnt vmcnt(0)
	v_cmpx_ne_u64_e64 v[6:7], v[18:19]
	s_cbranch_execz .LBB2_118
; %bb.116:
	s_mov_b32 s7, 0
.LBB2_117:                              ; =>This Inner Loop Header: Depth=1
	v_dual_mov_b32 v4, s4 :: v_dual_mov_b32 v5, s5
	s_sleep 1
	global_store_b64 v[8:9], v[6:7], off
	s_waitcnt_vscnt null, 0x0
	global_atomic_cmpswap_b64 v[4:5], v10, v[4:7], s[2:3] offset:32 glc
	s_waitcnt vmcnt(0)
	v_cmp_eq_u64_e32 vcc_lo, v[4:5], v[6:7]
	v_dual_mov_b32 v7, v5 :: v_dual_mov_b32 v6, v4
	s_or_b32 s7, vcc_lo, s7
	s_delay_alu instid0(SALU_CYCLE_1)
	s_and_not1_b32 exec_lo, exec_lo, s7
	s_cbranch_execnz .LBB2_117
.LBB2_118:
	s_or_b32 exec_lo, exec_lo, s6
	v_mov_b32_e32 v7, 0
	s_mov_b32 s7, exec_lo
	s_mov_b32 s6, exec_lo
	v_mbcnt_lo_u32_b32 v6, s7, 0
	global_load_b64 v[4:5], v7, s[2:3] offset:16
	v_cmpx_eq_u32_e32 0, v6
	s_cbranch_execz .LBB2_120
; %bb.119:
	s_bcnt1_i32_b32 s7, s7
	s_delay_alu instid0(SALU_CYCLE_1)
	v_mov_b32_e32 v6, s7
	s_waitcnt vmcnt(0)
	global_atomic_add_u64 v[4:5], v[6:7], off offset:8
.LBB2_120:
	s_or_b32 exec_lo, exec_lo, s6
	s_waitcnt vmcnt(0)
	global_load_b64 v[6:7], v[4:5], off offset:16
	s_waitcnt vmcnt(0)
	v_cmp_eq_u64_e32 vcc_lo, 0, v[6:7]
	s_cbranch_vccnz .LBB2_122
; %bb.121:
	global_load_b32 v4, v[4:5], off offset:24
	s_waitcnt vmcnt(0)
	v_dual_mov_b32 v5, 0 :: v_dual_and_b32 v8, 0xffffff, v4
	s_waitcnt_vscnt null, 0x0
	global_store_b64 v[6:7], v[4:5], off
	v_readfirstlane_b32 m0, v8
	s_sendmsg sendmsg(MSG_INTERRUPT)
.LBB2_122:
	s_or_b32 exec_lo, exec_lo, s1
	s_branch .LBB2_126
	.p2align	6
.LBB2_123:                              ;   in Loop: Header=BB2_126 Depth=1
	s_or_b32 exec_lo, exec_lo, s1
	s_delay_alu instid0(VALU_DEP_1) | instskip(NEXT) | instid1(VALU_DEP_1)
	v_readfirstlane_b32 s1, v4
	s_cmp_eq_u32 s1, 0
	s_cbranch_scc1 .LBB2_125
; %bb.124:                              ;   in Loop: Header=BB2_126 Depth=1
	s_sleep 1
	s_cbranch_execnz .LBB2_126
	s_branch .LBB2_128
	.p2align	6
.LBB2_125:
	s_branch .LBB2_128
.LBB2_126:                              ; =>This Inner Loop Header: Depth=1
	v_mov_b32_e32 v4, 1
	s_and_saveexec_b32 s1, s0
	s_cbranch_execz .LBB2_123
; %bb.127:                              ;   in Loop: Header=BB2_126 Depth=1
	global_load_b32 v4, v[12:13], off offset:20 glc
	s_waitcnt vmcnt(0)
	buffer_gl1_inv
	buffer_gl0_inv
	v_and_b32_e32 v4, 1, v4
	s_branch .LBB2_123
.LBB2_128:
	global_load_b64 v[4:5], v[14:15], off
	s_and_saveexec_b32 s1, s0
	s_cbranch_execz .LBB2_132
; %bb.129:
	v_mov_b32_e32 v12, 0
	s_clause 0x2
	global_load_b64 v[8:9], v12, s[2:3] offset:40
	global_load_b64 v[13:14], v12, s[2:3] offset:24 glc
	global_load_b64 v[10:11], v12, s[2:3]
	s_waitcnt vmcnt(2)
	v_add_co_u32 v15, vcc_lo, v8, 1
	v_add_co_ci_u32_e32 v16, vcc_lo, 0, v9, vcc_lo
	s_delay_alu instid0(VALU_DEP_2) | instskip(NEXT) | instid1(VALU_DEP_2)
	v_add_co_u32 v6, vcc_lo, v15, s4
	v_add_co_ci_u32_e32 v7, vcc_lo, s5, v16, vcc_lo
	s_delay_alu instid0(VALU_DEP_1) | instskip(SKIP_1) | instid1(VALU_DEP_1)
	v_cmp_eq_u64_e32 vcc_lo, 0, v[6:7]
	v_dual_cndmask_b32 v7, v7, v16 :: v_dual_cndmask_b32 v6, v6, v15
	v_and_b32_e32 v9, v7, v9
	s_delay_alu instid0(VALU_DEP_2) | instskip(NEXT) | instid1(VALU_DEP_2)
	v_and_b32_e32 v8, v6, v8
	v_mul_lo_u32 v9, v9, 24
	s_delay_alu instid0(VALU_DEP_2) | instskip(SKIP_1) | instid1(VALU_DEP_2)
	v_mul_hi_u32 v15, v8, 24
	v_mul_lo_u32 v8, v8, 24
	v_add_nc_u32_e32 v9, v15, v9
	s_waitcnt vmcnt(0)
	s_delay_alu instid0(VALU_DEP_2) | instskip(SKIP_1) | instid1(VALU_DEP_3)
	v_add_co_u32 v10, vcc_lo, v10, v8
	v_mov_b32_e32 v8, v13
	v_add_co_ci_u32_e32 v11, vcc_lo, v11, v9, vcc_lo
	v_mov_b32_e32 v9, v14
	global_store_b64 v[10:11], v[13:14], off
	s_waitcnt_vscnt null, 0x0
	global_atomic_cmpswap_b64 v[8:9], v12, v[6:9], s[2:3] offset:24 glc
	s_waitcnt vmcnt(0)
	v_cmp_ne_u64_e32 vcc_lo, v[8:9], v[13:14]
	s_and_b32 exec_lo, exec_lo, vcc_lo
	s_cbranch_execz .LBB2_132
; %bb.130:
	s_mov_b32 s0, 0
.LBB2_131:                              ; =>This Inner Loop Header: Depth=1
	s_sleep 1
	global_store_b64 v[10:11], v[8:9], off
	s_waitcnt_vscnt null, 0x0
	global_atomic_cmpswap_b64 v[13:14], v12, v[6:9], s[2:3] offset:24 glc
	s_waitcnt vmcnt(0)
	v_cmp_eq_u64_e32 vcc_lo, v[13:14], v[8:9]
	v_dual_mov_b32 v8, v13 :: v_dual_mov_b32 v9, v14
	s_or_b32 s0, vcc_lo, s0
	s_delay_alu instid0(SALU_CYCLE_1)
	s_and_not1_b32 exec_lo, exec_lo, s0
	s_cbranch_execnz .LBB2_131
.LBB2_132:
	s_or_b32 exec_lo, exec_lo, s1
.LBB2_133:
	s_getpc_b64 s[0:1]
	s_add_u32 s0, s0, .str@rel32@lo+4
	s_addc_u32 s1, s1, .str@rel32@hi+12
	s_mov_b64 s[4:5], 0
	s_cmp_lg_u64 s[0:1], 0
	s_cselect_b32 s6, -1, 0
	s_cmp_eq_u64 s[0:1], 0
	s_cbranch_scc1 .LBB2_137
; %bb.134:
	s_waitcnt vmcnt(0)
	v_mov_b32_e32 v6, 0
	s_getpc_b64 s[0:1]
	s_add_u32 s0, s0, .str@rel32@lo+3
	s_addc_u32 s1, s1, .str@rel32@hi+11
.LBB2_135:                              ; =>This Inner Loop Header: Depth=1
	global_load_u8 v7, v6, s[0:1] offset:1
	s_add_u32 s4, s0, 1
	s_addc_u32 s5, s1, 0
	s_delay_alu instid0(SALU_CYCLE_1)
	s_mov_b64 s[0:1], s[4:5]
	s_waitcnt vmcnt(0)
	v_cmp_ne_u16_e32 vcc_lo, 0, v7
	s_cbranch_vccnz .LBB2_135
; %bb.136:
	s_getpc_b64 s[0:1]
	s_add_u32 s0, s0, .str@rel32@lo+4
	s_addc_u32 s1, s1, .str@rel32@hi+12
	s_sub_u32 s0, s4, s0
	s_subb_u32 s1, s5, s1
	s_add_u32 s4, s0, 1
	s_addc_u32 s5, s1, 0
.LBB2_137:
	s_and_b32 vcc_lo, exec_lo, s6
	s_cbranch_vccz .LBB2_215
; %bb.138:
	s_waitcnt vmcnt(0)
	v_dual_mov_b32 v7, v5 :: v_dual_and_b32 v36, 2, v4
	v_dual_mov_b32 v10, 0 :: v_dual_mov_b32 v11, 2
	v_and_b32_e32 v6, -3, v4
	v_mov_b32_e32 v12, 1
	s_getpc_b64 s[6:7]
	s_add_u32 s6, s6, .str@rel32@lo+4
	s_addc_u32 s7, s7, .str@rel32@hi+12
	s_branch .LBB2_140
.LBB2_139:                              ;   in Loop: Header=BB2_140 Depth=1
	s_or_b32 exec_lo, exec_lo, s1
	s_sub_u32 s4, s4, s10
	s_subb_u32 s5, s5, s11
	s_add_u32 s6, s6, s10
	s_addc_u32 s7, s7, s11
	s_cmp_lg_u64 s[4:5], 0
	s_cbranch_scc0 .LBB2_216
.LBB2_140:                              ; =>This Loop Header: Depth=1
                                        ;     Child Loop BB2_149 Depth 2
                                        ;     Child Loop BB2_145 Depth 2
	;; [unrolled: 1-line block ×11, first 2 shown]
	v_cmp_lt_u64_e64 s0, s[4:5], 56
	v_cmp_gt_u64_e64 s1, s[4:5], 7
                                        ; implicit-def: $vgpr15_vgpr16
                                        ; implicit-def: $sgpr16
	s_delay_alu instid0(VALU_DEP_2) | instskip(SKIP_2) | instid1(VALU_DEP_1)
	s_and_b32 s0, s0, exec_lo
	s_cselect_b32 s11, s5, 0
	s_cselect_b32 s10, s4, 56
	s_and_b32 vcc_lo, exec_lo, s1
	s_mov_b32 s0, -1
	s_cbranch_vccz .LBB2_147
; %bb.141:                              ;   in Loop: Header=BB2_140 Depth=1
	s_and_not1_b32 vcc_lo, exec_lo, s0
	s_mov_b64 s[0:1], s[6:7]
	s_cbranch_vccz .LBB2_151
.LBB2_142:                              ;   in Loop: Header=BB2_140 Depth=1
	s_cmp_gt_u32 s16, 7
	s_cbranch_scc1 .LBB2_152
.LBB2_143:                              ;   in Loop: Header=BB2_140 Depth=1
	v_mov_b32_e32 v17, 0
	v_mov_b32_e32 v18, 0
	s_cmp_eq_u32 s16, 0
	s_cbranch_scc1 .LBB2_146
; %bb.144:                              ;   in Loop: Header=BB2_140 Depth=1
	s_mov_b64 s[12:13], 0
	s_mov_b64 s[14:15], 0
.LBB2_145:                              ;   Parent Loop BB2_140 Depth=1
                                        ; =>  This Inner Loop Header: Depth=2
	s_delay_alu instid0(SALU_CYCLE_1)
	s_add_u32 s18, s0, s14
	s_addc_u32 s19, s1, s15
	s_add_u32 s14, s14, 1
	global_load_u8 v8, v10, s[18:19]
	s_addc_u32 s15, s15, 0
	s_waitcnt vmcnt(0)
	v_and_b32_e32 v9, 0xffff, v8
	s_delay_alu instid0(VALU_DEP_1) | instskip(SKIP_3) | instid1(VALU_DEP_1)
	v_lshlrev_b64 v[8:9], s12, v[9:10]
	s_add_u32 s12, s12, 8
	s_addc_u32 s13, s13, 0
	s_cmp_lg_u32 s16, s14
	v_or_b32_e32 v17, v8, v17
	s_delay_alu instid0(VALU_DEP_2)
	v_or_b32_e32 v18, v9, v18
	s_cbranch_scc1 .LBB2_145
.LBB2_146:                              ;   in Loop: Header=BB2_140 Depth=1
	s_mov_b32 s17, 0
	s_cbranch_execz .LBB2_153
	s_branch .LBB2_154
.LBB2_147:                              ;   in Loop: Header=BB2_140 Depth=1
	v_mov_b32_e32 v15, 0
	v_mov_b32_e32 v16, 0
	s_cmp_eq_u64 s[4:5], 0
	s_mov_b64 s[0:1], 0
	s_cbranch_scc1 .LBB2_150
; %bb.148:                              ;   in Loop: Header=BB2_140 Depth=1
	v_mov_b32_e32 v15, 0
	v_mov_b32_e32 v16, 0
	s_lshl_b64 s[12:13], s[10:11], 3
	s_mov_b64 s[14:15], s[6:7]
.LBB2_149:                              ;   Parent Loop BB2_140 Depth=1
                                        ; =>  This Inner Loop Header: Depth=2
	global_load_u8 v8, v10, s[14:15]
	s_waitcnt vmcnt(0)
	v_and_b32_e32 v9, 0xffff, v8
	s_delay_alu instid0(VALU_DEP_1)
	v_lshlrev_b64 v[8:9], s0, v[9:10]
	s_add_u32 s0, s0, 8
	s_addc_u32 s1, s1, 0
	s_add_u32 s14, s14, 1
	s_addc_u32 s15, s15, 0
	s_cmp_lg_u32 s12, s0
	v_or_b32_e32 v15, v8, v15
	v_or_b32_e32 v16, v9, v16
	s_cbranch_scc1 .LBB2_149
.LBB2_150:                              ;   in Loop: Header=BB2_140 Depth=1
	s_mov_b32 s16, 0
	s_mov_b64 s[0:1], s[6:7]
	s_cbranch_execnz .LBB2_142
.LBB2_151:                              ;   in Loop: Header=BB2_140 Depth=1
	global_load_b64 v[15:16], v10, s[6:7]
	s_add_i32 s16, s10, -8
	s_add_u32 s0, s6, 8
	s_addc_u32 s1, s7, 0
	s_cmp_gt_u32 s16, 7
	s_cbranch_scc0 .LBB2_143
.LBB2_152:                              ;   in Loop: Header=BB2_140 Depth=1
                                        ; implicit-def: $vgpr17_vgpr18
                                        ; implicit-def: $sgpr17
.LBB2_153:                              ;   in Loop: Header=BB2_140 Depth=1
	global_load_b64 v[17:18], v10, s[0:1]
	s_add_i32 s17, s16, -8
	s_add_u32 s0, s0, 8
	s_addc_u32 s1, s1, 0
.LBB2_154:                              ;   in Loop: Header=BB2_140 Depth=1
	s_cmp_gt_u32 s17, 7
	s_cbranch_scc1 .LBB2_159
; %bb.155:                              ;   in Loop: Header=BB2_140 Depth=1
	v_mov_b32_e32 v19, 0
	v_mov_b32_e32 v20, 0
	s_cmp_eq_u32 s17, 0
	s_cbranch_scc1 .LBB2_158
; %bb.156:                              ;   in Loop: Header=BB2_140 Depth=1
	s_mov_b64 s[12:13], 0
	s_mov_b64 s[14:15], 0
.LBB2_157:                              ;   Parent Loop BB2_140 Depth=1
                                        ; =>  This Inner Loop Header: Depth=2
	s_delay_alu instid0(SALU_CYCLE_1)
	s_add_u32 s18, s0, s14
	s_addc_u32 s19, s1, s15
	s_add_u32 s14, s14, 1
	global_load_u8 v8, v10, s[18:19]
	s_addc_u32 s15, s15, 0
	s_waitcnt vmcnt(0)
	v_and_b32_e32 v9, 0xffff, v8
	s_delay_alu instid0(VALU_DEP_1) | instskip(SKIP_3) | instid1(VALU_DEP_1)
	v_lshlrev_b64 v[8:9], s12, v[9:10]
	s_add_u32 s12, s12, 8
	s_addc_u32 s13, s13, 0
	s_cmp_lg_u32 s17, s14
	v_or_b32_e32 v19, v8, v19
	s_delay_alu instid0(VALU_DEP_2)
	v_or_b32_e32 v20, v9, v20
	s_cbranch_scc1 .LBB2_157
.LBB2_158:                              ;   in Loop: Header=BB2_140 Depth=1
	s_mov_b32 s16, 0
	s_cbranch_execz .LBB2_160
	s_branch .LBB2_161
.LBB2_159:                              ;   in Loop: Header=BB2_140 Depth=1
                                        ; implicit-def: $sgpr16
.LBB2_160:                              ;   in Loop: Header=BB2_140 Depth=1
	global_load_b64 v[19:20], v10, s[0:1]
	s_add_i32 s16, s17, -8
	s_add_u32 s0, s0, 8
	s_addc_u32 s1, s1, 0
.LBB2_161:                              ;   in Loop: Header=BB2_140 Depth=1
	s_cmp_gt_u32 s16, 7
	s_cbranch_scc1 .LBB2_166
; %bb.162:                              ;   in Loop: Header=BB2_140 Depth=1
	v_mov_b32_e32 v21, 0
	v_mov_b32_e32 v22, 0
	s_cmp_eq_u32 s16, 0
	s_cbranch_scc1 .LBB2_165
; %bb.163:                              ;   in Loop: Header=BB2_140 Depth=1
	s_mov_b64 s[12:13], 0
	s_mov_b64 s[14:15], 0
.LBB2_164:                              ;   Parent Loop BB2_140 Depth=1
                                        ; =>  This Inner Loop Header: Depth=2
	s_delay_alu instid0(SALU_CYCLE_1)
	s_add_u32 s18, s0, s14
	s_addc_u32 s19, s1, s15
	s_add_u32 s14, s14, 1
	global_load_u8 v8, v10, s[18:19]
	s_addc_u32 s15, s15, 0
	s_waitcnt vmcnt(0)
	v_and_b32_e32 v9, 0xffff, v8
	s_delay_alu instid0(VALU_DEP_1) | instskip(SKIP_3) | instid1(VALU_DEP_1)
	v_lshlrev_b64 v[8:9], s12, v[9:10]
	s_add_u32 s12, s12, 8
	s_addc_u32 s13, s13, 0
	s_cmp_lg_u32 s16, s14
	v_or_b32_e32 v21, v8, v21
	s_delay_alu instid0(VALU_DEP_2)
	v_or_b32_e32 v22, v9, v22
	s_cbranch_scc1 .LBB2_164
.LBB2_165:                              ;   in Loop: Header=BB2_140 Depth=1
	s_mov_b32 s17, 0
	s_cbranch_execz .LBB2_167
	s_branch .LBB2_168
.LBB2_166:                              ;   in Loop: Header=BB2_140 Depth=1
                                        ; implicit-def: $vgpr21_vgpr22
                                        ; implicit-def: $sgpr17
.LBB2_167:                              ;   in Loop: Header=BB2_140 Depth=1
	global_load_b64 v[21:22], v10, s[0:1]
	s_add_i32 s17, s16, -8
	s_add_u32 s0, s0, 8
	s_addc_u32 s1, s1, 0
.LBB2_168:                              ;   in Loop: Header=BB2_140 Depth=1
	s_cmp_gt_u32 s17, 7
	s_cbranch_scc1 .LBB2_173
; %bb.169:                              ;   in Loop: Header=BB2_140 Depth=1
	v_mov_b32_e32 v23, 0
	v_mov_b32_e32 v24, 0
	s_cmp_eq_u32 s17, 0
	s_cbranch_scc1 .LBB2_172
; %bb.170:                              ;   in Loop: Header=BB2_140 Depth=1
	s_mov_b64 s[12:13], 0
	s_mov_b64 s[14:15], 0
.LBB2_171:                              ;   Parent Loop BB2_140 Depth=1
                                        ; =>  This Inner Loop Header: Depth=2
	s_delay_alu instid0(SALU_CYCLE_1)
	s_add_u32 s18, s0, s14
	s_addc_u32 s19, s1, s15
	s_add_u32 s14, s14, 1
	global_load_u8 v8, v10, s[18:19]
	s_addc_u32 s15, s15, 0
	s_waitcnt vmcnt(0)
	v_and_b32_e32 v9, 0xffff, v8
	s_delay_alu instid0(VALU_DEP_1) | instskip(SKIP_3) | instid1(VALU_DEP_1)
	v_lshlrev_b64 v[8:9], s12, v[9:10]
	s_add_u32 s12, s12, 8
	s_addc_u32 s13, s13, 0
	s_cmp_lg_u32 s17, s14
	v_or_b32_e32 v23, v8, v23
	s_delay_alu instid0(VALU_DEP_2)
	v_or_b32_e32 v24, v9, v24
	s_cbranch_scc1 .LBB2_171
.LBB2_172:                              ;   in Loop: Header=BB2_140 Depth=1
	s_mov_b32 s16, 0
	s_cbranch_execz .LBB2_174
	s_branch .LBB2_175
.LBB2_173:                              ;   in Loop: Header=BB2_140 Depth=1
                                        ; implicit-def: $sgpr16
.LBB2_174:                              ;   in Loop: Header=BB2_140 Depth=1
	global_load_b64 v[23:24], v10, s[0:1]
	s_add_i32 s16, s17, -8
	s_add_u32 s0, s0, 8
	s_addc_u32 s1, s1, 0
.LBB2_175:                              ;   in Loop: Header=BB2_140 Depth=1
	s_cmp_gt_u32 s16, 7
	s_cbranch_scc1 .LBB2_180
; %bb.176:                              ;   in Loop: Header=BB2_140 Depth=1
	v_mov_b32_e32 v25, 0
	v_mov_b32_e32 v26, 0
	s_cmp_eq_u32 s16, 0
	s_cbranch_scc1 .LBB2_179
; %bb.177:                              ;   in Loop: Header=BB2_140 Depth=1
	s_mov_b64 s[12:13], 0
	s_mov_b64 s[14:15], 0
.LBB2_178:                              ;   Parent Loop BB2_140 Depth=1
                                        ; =>  This Inner Loop Header: Depth=2
	s_delay_alu instid0(SALU_CYCLE_1)
	s_add_u32 s18, s0, s14
	s_addc_u32 s19, s1, s15
	s_add_u32 s14, s14, 1
	global_load_u8 v8, v10, s[18:19]
	s_addc_u32 s15, s15, 0
	s_waitcnt vmcnt(0)
	v_and_b32_e32 v9, 0xffff, v8
	s_delay_alu instid0(VALU_DEP_1) | instskip(SKIP_3) | instid1(VALU_DEP_1)
	v_lshlrev_b64 v[8:9], s12, v[9:10]
	s_add_u32 s12, s12, 8
	s_addc_u32 s13, s13, 0
	s_cmp_lg_u32 s16, s14
	v_or_b32_e32 v25, v8, v25
	s_delay_alu instid0(VALU_DEP_2)
	v_or_b32_e32 v26, v9, v26
	s_cbranch_scc1 .LBB2_178
.LBB2_179:                              ;   in Loop: Header=BB2_140 Depth=1
	s_mov_b32 s17, 0
	s_cbranch_execz .LBB2_181
	s_branch .LBB2_182
.LBB2_180:                              ;   in Loop: Header=BB2_140 Depth=1
                                        ; implicit-def: $vgpr25_vgpr26
                                        ; implicit-def: $sgpr17
.LBB2_181:                              ;   in Loop: Header=BB2_140 Depth=1
	global_load_b64 v[25:26], v10, s[0:1]
	s_add_i32 s17, s16, -8
	s_add_u32 s0, s0, 8
	s_addc_u32 s1, s1, 0
.LBB2_182:                              ;   in Loop: Header=BB2_140 Depth=1
	s_cmp_gt_u32 s17, 7
	s_cbranch_scc1 .LBB2_187
; %bb.183:                              ;   in Loop: Header=BB2_140 Depth=1
	v_mov_b32_e32 v27, 0
	v_mov_b32_e32 v28, 0
	s_cmp_eq_u32 s17, 0
	s_cbranch_scc1 .LBB2_186
; %bb.184:                              ;   in Loop: Header=BB2_140 Depth=1
	s_mov_b64 s[12:13], 0
	s_mov_b64 s[14:15], s[0:1]
.LBB2_185:                              ;   Parent Loop BB2_140 Depth=1
                                        ; =>  This Inner Loop Header: Depth=2
	global_load_u8 v8, v10, s[14:15]
	s_add_i32 s17, s17, -1
	s_waitcnt vmcnt(0)
	v_and_b32_e32 v9, 0xffff, v8
	s_delay_alu instid0(VALU_DEP_1)
	v_lshlrev_b64 v[8:9], s12, v[9:10]
	s_add_u32 s12, s12, 8
	s_addc_u32 s13, s13, 0
	s_add_u32 s14, s14, 1
	s_addc_u32 s15, s15, 0
	s_cmp_lg_u32 s17, 0
	v_or_b32_e32 v27, v8, v27
	v_or_b32_e32 v28, v9, v28
	s_cbranch_scc1 .LBB2_185
.LBB2_186:                              ;   in Loop: Header=BB2_140 Depth=1
	s_cbranch_execz .LBB2_188
	s_branch .LBB2_189
.LBB2_187:                              ;   in Loop: Header=BB2_140 Depth=1
.LBB2_188:                              ;   in Loop: Header=BB2_140 Depth=1
	global_load_b64 v[27:28], v10, s[0:1]
.LBB2_189:                              ;   in Loop: Header=BB2_140 Depth=1
	v_readfirstlane_b32 s0, v1
	s_waitcnt vmcnt(0)
	v_mov_b32_e32 v8, 0
	v_mov_b32_e32 v9, 0
	s_delay_alu instid0(VALU_DEP_3) | instskip(NEXT) | instid1(VALU_DEP_1)
	v_cmp_eq_u32_e64 s0, s0, v1
	s_and_saveexec_b32 s1, s0
	s_cbranch_execz .LBB2_195
; %bb.190:                              ;   in Loop: Header=BB2_140 Depth=1
	global_load_b64 v[31:32], v10, s[2:3] offset:24 glc
	s_waitcnt vmcnt(0)
	buffer_gl1_inv
	buffer_gl0_inv
	s_clause 0x1
	global_load_b64 v[8:9], v10, s[2:3] offset:40
	global_load_b64 v[13:14], v10, s[2:3]
	s_mov_b32 s12, exec_lo
	s_waitcnt vmcnt(1)
	v_and_b32_e32 v9, v9, v32
	v_and_b32_e32 v8, v8, v31
	s_delay_alu instid0(VALU_DEP_2) | instskip(NEXT) | instid1(VALU_DEP_2)
	v_mul_lo_u32 v9, v9, 24
	v_mul_hi_u32 v29, v8, 24
	v_mul_lo_u32 v8, v8, 24
	s_delay_alu instid0(VALU_DEP_2) | instskip(SKIP_1) | instid1(VALU_DEP_2)
	v_add_nc_u32_e32 v9, v29, v9
	s_waitcnt vmcnt(0)
	v_add_co_u32 v8, vcc_lo, v13, v8
	s_delay_alu instid0(VALU_DEP_2)
	v_add_co_ci_u32_e32 v9, vcc_lo, v14, v9, vcc_lo
	global_load_b64 v[29:30], v[8:9], off glc
	s_waitcnt vmcnt(0)
	global_atomic_cmpswap_b64 v[8:9], v10, v[29:32], s[2:3] offset:24 glc
	s_waitcnt vmcnt(0)
	buffer_gl1_inv
	buffer_gl0_inv
	v_cmpx_ne_u64_e64 v[8:9], v[31:32]
	s_cbranch_execz .LBB2_194
; %bb.191:                              ;   in Loop: Header=BB2_140 Depth=1
	s_mov_b32 s13, 0
	.p2align	6
.LBB2_192:                              ;   Parent Loop BB2_140 Depth=1
                                        ; =>  This Inner Loop Header: Depth=2
	s_sleep 1
	s_clause 0x1
	global_load_b64 v[13:14], v10, s[2:3] offset:40
	global_load_b64 v[29:30], v10, s[2:3]
	v_dual_mov_b32 v32, v9 :: v_dual_mov_b32 v31, v8
	s_waitcnt vmcnt(1)
	s_delay_alu instid0(VALU_DEP_1) | instskip(SKIP_1) | instid1(VALU_DEP_1)
	v_and_b32_e32 v13, v13, v31
	s_waitcnt vmcnt(0)
	v_mad_u64_u32 v[8:9], null, v13, 24, v[29:30]
	v_and_b32_e32 v29, v14, v32
	s_delay_alu instid0(VALU_DEP_1) | instskip(NEXT) | instid1(VALU_DEP_1)
	v_mad_u64_u32 v[13:14], null, v29, 24, v[9:10]
	v_mov_b32_e32 v9, v13
	global_load_b64 v[29:30], v[8:9], off glc
	s_waitcnt vmcnt(0)
	global_atomic_cmpswap_b64 v[8:9], v10, v[29:32], s[2:3] offset:24 glc
	s_waitcnt vmcnt(0)
	buffer_gl1_inv
	buffer_gl0_inv
	v_cmp_eq_u64_e32 vcc_lo, v[8:9], v[31:32]
	s_or_b32 s13, vcc_lo, s13
	s_delay_alu instid0(SALU_CYCLE_1)
	s_and_not1_b32 exec_lo, exec_lo, s13
	s_cbranch_execnz .LBB2_192
; %bb.193:                              ;   in Loop: Header=BB2_140 Depth=1
	s_or_b32 exec_lo, exec_lo, s13
.LBB2_194:                              ;   in Loop: Header=BB2_140 Depth=1
	s_delay_alu instid0(SALU_CYCLE_1)
	s_or_b32 exec_lo, exec_lo, s12
.LBB2_195:                              ;   in Loop: Header=BB2_140 Depth=1
	s_delay_alu instid0(SALU_CYCLE_1)
	s_or_b32 exec_lo, exec_lo, s1
	s_clause 0x1
	global_load_b64 v[13:14], v10, s[2:3] offset:40
	global_load_b128 v[29:32], v10, s[2:3]
	v_readfirstlane_b32 s12, v8
	v_readfirstlane_b32 s13, v9
	s_mov_b32 s1, exec_lo
	s_waitcnt vmcnt(1)
	v_readfirstlane_b32 s14, v13
	v_readfirstlane_b32 s15, v14
	s_delay_alu instid0(VALU_DEP_1) | instskip(NEXT) | instid1(SALU_CYCLE_1)
	s_and_b64 s[14:15], s[12:13], s[14:15]
	s_mul_i32 s16, s15, 24
	s_mul_hi_u32 s17, s14, 24
	s_mul_i32 s18, s14, 24
	s_add_i32 s17, s17, s16
	s_waitcnt vmcnt(0)
	v_add_co_u32 v33, vcc_lo, v29, s18
	v_add_co_ci_u32_e32 v34, vcc_lo, s17, v30, vcc_lo
	s_and_saveexec_b32 s16, s0
	s_cbranch_execz .LBB2_197
; %bb.196:                              ;   in Loop: Header=BB2_140 Depth=1
	v_mov_b32_e32 v9, s1
	global_store_b128 v[33:34], v[9:12], off offset:8
.LBB2_197:                              ;   in Loop: Header=BB2_140 Depth=1
	s_or_b32 exec_lo, exec_lo, s16
	s_lshl_b64 s[14:15], s[14:15], 12
	v_cmp_gt_u64_e64 vcc_lo, s[4:5], 56
	v_or_b32_e32 v9, v6, v36
	v_add_co_u32 v31, s1, v31, s14
	s_delay_alu instid0(VALU_DEP_1)
	v_add_co_ci_u32_e64 v32, s1, s15, v32, s1
	s_lshl_b32 s1, s10, 2
	v_or_b32_e32 v8, 0, v7
	v_cndmask_b32_e32 v6, v9, v6, vcc_lo
	s_add_i32 s1, s1, 28
	v_readfirstlane_b32 s14, v31
	s_and_b32 s1, s1, 0x1e0
	v_cndmask_b32_e32 v14, v8, v7, vcc_lo
	v_readfirstlane_b32 s15, v32
	v_and_or_b32 v13, 0xffffff1f, v6, s1
	s_clause 0x3
	global_store_b128 v35, v[13:16], s[14:15]
	global_store_b128 v35, v[17:20], s[14:15] offset:16
	global_store_b128 v35, v[21:24], s[14:15] offset:32
	;; [unrolled: 1-line block ×3, first 2 shown]
	s_and_saveexec_b32 s1, s0
	s_cbranch_execz .LBB2_205
; %bb.198:                              ;   in Loop: Header=BB2_140 Depth=1
	s_clause 0x1
	global_load_b64 v[17:18], v10, s[2:3] offset:32 glc
	global_load_b64 v[6:7], v10, s[2:3] offset:40
	v_dual_mov_b32 v15, s12 :: v_dual_mov_b32 v16, s13
	s_waitcnt vmcnt(0)
	v_readfirstlane_b32 s14, v6
	v_readfirstlane_b32 s15, v7
	s_delay_alu instid0(VALU_DEP_1) | instskip(NEXT) | instid1(SALU_CYCLE_1)
	s_and_b64 s[14:15], s[14:15], s[12:13]
	s_mul_i32 s15, s15, 24
	s_mul_hi_u32 s16, s14, 24
	s_mul_i32 s14, s14, 24
	s_add_i32 s16, s16, s15
	v_add_co_u32 v13, vcc_lo, v29, s14
	v_add_co_ci_u32_e32 v14, vcc_lo, s16, v30, vcc_lo
	s_mov_b32 s14, exec_lo
	global_store_b64 v[13:14], v[17:18], off
	s_waitcnt_vscnt null, 0x0
	global_atomic_cmpswap_b64 v[8:9], v10, v[15:18], s[2:3] offset:32 glc
	s_waitcnt vmcnt(0)
	v_cmpx_ne_u64_e64 v[8:9], v[17:18]
	s_cbranch_execz .LBB2_201
; %bb.199:                              ;   in Loop: Header=BB2_140 Depth=1
	s_mov_b32 s15, 0
.LBB2_200:                              ;   Parent Loop BB2_140 Depth=1
                                        ; =>  This Inner Loop Header: Depth=2
	v_dual_mov_b32 v6, s12 :: v_dual_mov_b32 v7, s13
	s_sleep 1
	global_store_b64 v[13:14], v[8:9], off
	s_waitcnt_vscnt null, 0x0
	global_atomic_cmpswap_b64 v[6:7], v10, v[6:9], s[2:3] offset:32 glc
	s_waitcnt vmcnt(0)
	v_cmp_eq_u64_e32 vcc_lo, v[6:7], v[8:9]
	v_dual_mov_b32 v9, v7 :: v_dual_mov_b32 v8, v6
	s_or_b32 s15, vcc_lo, s15
	s_delay_alu instid0(SALU_CYCLE_1)
	s_and_not1_b32 exec_lo, exec_lo, s15
	s_cbranch_execnz .LBB2_200
.LBB2_201:                              ;   in Loop: Header=BB2_140 Depth=1
	s_or_b32 exec_lo, exec_lo, s14
	global_load_b64 v[6:7], v10, s[2:3] offset:16
	s_mov_b32 s15, exec_lo
	s_mov_b32 s14, exec_lo
	v_mbcnt_lo_u32_b32 v8, s15, 0
	s_delay_alu instid0(VALU_DEP_1)
	v_cmpx_eq_u32_e32 0, v8
	s_cbranch_execz .LBB2_203
; %bb.202:                              ;   in Loop: Header=BB2_140 Depth=1
	s_bcnt1_i32_b32 s15, s15
	s_delay_alu instid0(SALU_CYCLE_1)
	v_mov_b32_e32 v9, s15
	s_waitcnt vmcnt(0)
	global_atomic_add_u64 v[6:7], v[9:10], off offset:8
.LBB2_203:                              ;   in Loop: Header=BB2_140 Depth=1
	s_or_b32 exec_lo, exec_lo, s14
	s_waitcnt vmcnt(0)
	global_load_b64 v[13:14], v[6:7], off offset:16
	s_waitcnt vmcnt(0)
	v_cmp_eq_u64_e32 vcc_lo, 0, v[13:14]
	s_cbranch_vccnz .LBB2_205
; %bb.204:                              ;   in Loop: Header=BB2_140 Depth=1
	global_load_b32 v9, v[6:7], off offset:24
	s_waitcnt vmcnt(0)
	v_and_b32_e32 v6, 0xffffff, v9
	s_waitcnt_vscnt null, 0x0
	global_store_b64 v[13:14], v[9:10], off
	v_readfirstlane_b32 m0, v6
	s_sendmsg sendmsg(MSG_INTERRUPT)
.LBB2_205:                              ;   in Loop: Header=BB2_140 Depth=1
	s_or_b32 exec_lo, exec_lo, s1
	v_add_co_u32 v6, vcc_lo, v31, v35
	v_add_co_ci_u32_e32 v7, vcc_lo, 0, v32, vcc_lo
	s_branch .LBB2_209
	.p2align	6
.LBB2_206:                              ;   in Loop: Header=BB2_209 Depth=2
	s_or_b32 exec_lo, exec_lo, s1
	s_delay_alu instid0(VALU_DEP_1) | instskip(NEXT) | instid1(VALU_DEP_1)
	v_readfirstlane_b32 s1, v8
	s_cmp_eq_u32 s1, 0
	s_cbranch_scc1 .LBB2_208
; %bb.207:                              ;   in Loop: Header=BB2_209 Depth=2
	s_sleep 1
	s_cbranch_execnz .LBB2_209
	s_branch .LBB2_211
	.p2align	6
.LBB2_208:                              ;   in Loop: Header=BB2_140 Depth=1
	s_branch .LBB2_211
.LBB2_209:                              ;   Parent Loop BB2_140 Depth=1
                                        ; =>  This Inner Loop Header: Depth=2
	v_mov_b32_e32 v8, 1
	s_and_saveexec_b32 s1, s0
	s_cbranch_execz .LBB2_206
; %bb.210:                              ;   in Loop: Header=BB2_209 Depth=2
	global_load_b32 v8, v[33:34], off offset:20 glc
	s_waitcnt vmcnt(0)
	buffer_gl1_inv
	buffer_gl0_inv
	v_and_b32_e32 v8, 1, v8
	s_branch .LBB2_206
.LBB2_211:                              ;   in Loop: Header=BB2_140 Depth=1
	global_load_b128 v[6:9], v[6:7], off
	s_and_saveexec_b32 s1, s0
	s_cbranch_execz .LBB2_139
; %bb.212:                              ;   in Loop: Header=BB2_140 Depth=1
	s_clause 0x2
	global_load_b64 v[8:9], v10, s[2:3] offset:40
	global_load_b64 v[17:18], v10, s[2:3] offset:24 glc
	global_load_b64 v[15:16], v10, s[2:3]
	s_waitcnt vmcnt(2)
	v_add_co_u32 v19, vcc_lo, v8, 1
	v_add_co_ci_u32_e32 v20, vcc_lo, 0, v9, vcc_lo
	s_delay_alu instid0(VALU_DEP_2) | instskip(NEXT) | instid1(VALU_DEP_2)
	v_add_co_u32 v13, vcc_lo, v19, s12
	v_add_co_ci_u32_e32 v14, vcc_lo, s13, v20, vcc_lo
	s_delay_alu instid0(VALU_DEP_1) | instskip(SKIP_1) | instid1(VALU_DEP_1)
	v_cmp_eq_u64_e32 vcc_lo, 0, v[13:14]
	v_dual_cndmask_b32 v14, v14, v20 :: v_dual_cndmask_b32 v13, v13, v19
	v_and_b32_e32 v9, v14, v9
	s_delay_alu instid0(VALU_DEP_2) | instskip(NEXT) | instid1(VALU_DEP_2)
	v_and_b32_e32 v8, v13, v8
	v_mul_lo_u32 v9, v9, 24
	s_delay_alu instid0(VALU_DEP_2) | instskip(SKIP_1) | instid1(VALU_DEP_2)
	v_mul_hi_u32 v19, v8, 24
	v_mul_lo_u32 v8, v8, 24
	v_add_nc_u32_e32 v9, v19, v9
	s_waitcnt vmcnt(0)
	s_delay_alu instid0(VALU_DEP_2) | instskip(SKIP_1) | instid1(VALU_DEP_3)
	v_add_co_u32 v8, vcc_lo, v15, v8
	v_mov_b32_e32 v15, v17
	v_add_co_ci_u32_e32 v9, vcc_lo, v16, v9, vcc_lo
	v_mov_b32_e32 v16, v18
	global_store_b64 v[8:9], v[17:18], off
	s_waitcnt_vscnt null, 0x0
	global_atomic_cmpswap_b64 v[15:16], v10, v[13:16], s[2:3] offset:24 glc
	s_waitcnt vmcnt(0)
	v_cmp_ne_u64_e32 vcc_lo, v[15:16], v[17:18]
	s_and_b32 exec_lo, exec_lo, vcc_lo
	s_cbranch_execz .LBB2_139
; %bb.213:                              ;   in Loop: Header=BB2_140 Depth=1
	s_mov_b32 s0, 0
.LBB2_214:                              ;   Parent Loop BB2_140 Depth=1
                                        ; =>  This Inner Loop Header: Depth=2
	s_sleep 1
	global_store_b64 v[8:9], v[15:16], off
	s_waitcnt_vscnt null, 0x0
	global_atomic_cmpswap_b64 v[17:18], v10, v[13:16], s[2:3] offset:24 glc
	s_waitcnt vmcnt(0)
	v_cmp_eq_u64_e32 vcc_lo, v[17:18], v[15:16]
	v_dual_mov_b32 v15, v17 :: v_dual_mov_b32 v16, v18
	s_or_b32 s0, vcc_lo, s0
	s_delay_alu instid0(SALU_CYCLE_1)
	s_and_not1_b32 exec_lo, exec_lo, s0
	s_cbranch_execnz .LBB2_214
	s_branch .LBB2_139
.LBB2_215:
                                        ; implicit-def: $vgpr6_vgpr7
	s_cbranch_execnz .LBB2_217
	s_branch .LBB2_244
.LBB2_216:
	s_branch .LBB2_244
.LBB2_217:
	v_readfirstlane_b32 s0, v1
	v_mov_b32_e32 v12, 0
	v_mov_b32_e32 v13, 0
	s_delay_alu instid0(VALU_DEP_3) | instskip(NEXT) | instid1(VALU_DEP_1)
	v_cmp_eq_u32_e64 s0, s0, v1
	s_and_saveexec_b32 s1, s0
	s_cbranch_execz .LBB2_223
; %bb.218:
	s_waitcnt vmcnt(0)
	v_mov_b32_e32 v6, 0
	s_mov_b32 s4, exec_lo
	global_load_b64 v[9:10], v6, s[2:3] offset:24 glc
	s_waitcnt vmcnt(0)
	buffer_gl1_inv
	buffer_gl0_inv
	s_clause 0x1
	global_load_b64 v[7:8], v6, s[2:3] offset:40
	global_load_b64 v[11:12], v6, s[2:3]
	s_waitcnt vmcnt(1)
	v_and_b32_e32 v7, v7, v9
	v_and_b32_e32 v8, v8, v10
	s_delay_alu instid0(VALU_DEP_2) | instskip(NEXT) | instid1(VALU_DEP_2)
	v_mul_hi_u32 v13, v7, 24
	v_mul_lo_u32 v8, v8, 24
	v_mul_lo_u32 v7, v7, 24
	s_delay_alu instid0(VALU_DEP_2) | instskip(SKIP_1) | instid1(VALU_DEP_2)
	v_add_nc_u32_e32 v8, v13, v8
	s_waitcnt vmcnt(0)
	v_add_co_u32 v7, vcc_lo, v11, v7
	s_delay_alu instid0(VALU_DEP_2)
	v_add_co_ci_u32_e32 v8, vcc_lo, v12, v8, vcc_lo
	global_load_b64 v[7:8], v[7:8], off glc
	s_waitcnt vmcnt(0)
	global_atomic_cmpswap_b64 v[12:13], v6, v[7:10], s[2:3] offset:24 glc
	s_waitcnt vmcnt(0)
	buffer_gl1_inv
	buffer_gl0_inv
	v_cmpx_ne_u64_e64 v[12:13], v[9:10]
	s_cbranch_execz .LBB2_222
; %bb.219:
	s_mov_b32 s5, 0
	.p2align	6
.LBB2_220:                              ; =>This Inner Loop Header: Depth=1
	s_sleep 1
	s_clause 0x1
	global_load_b64 v[7:8], v6, s[2:3] offset:40
	global_load_b64 v[14:15], v6, s[2:3]
	v_dual_mov_b32 v9, v12 :: v_dual_mov_b32 v10, v13
	s_waitcnt vmcnt(1)
	s_delay_alu instid0(VALU_DEP_1) | instskip(NEXT) | instid1(VALU_DEP_2)
	v_and_b32_e32 v7, v7, v9
	v_and_b32_e32 v8, v8, v10
	s_waitcnt vmcnt(0)
	s_delay_alu instid0(VALU_DEP_2) | instskip(NEXT) | instid1(VALU_DEP_1)
	v_mad_u64_u32 v[11:12], null, v7, 24, v[14:15]
	v_mov_b32_e32 v7, v12
	s_delay_alu instid0(VALU_DEP_1)
	v_mad_u64_u32 v[12:13], null, v8, 24, v[7:8]
	global_load_b64 v[7:8], v[11:12], off glc
	s_waitcnt vmcnt(0)
	global_atomic_cmpswap_b64 v[12:13], v6, v[7:10], s[2:3] offset:24 glc
	s_waitcnt vmcnt(0)
	buffer_gl1_inv
	buffer_gl0_inv
	v_cmp_eq_u64_e32 vcc_lo, v[12:13], v[9:10]
	s_or_b32 s5, vcc_lo, s5
	s_delay_alu instid0(SALU_CYCLE_1)
	s_and_not1_b32 exec_lo, exec_lo, s5
	s_cbranch_execnz .LBB2_220
; %bb.221:
	s_or_b32 exec_lo, exec_lo, s5
.LBB2_222:
	s_delay_alu instid0(SALU_CYCLE_1)
	s_or_b32 exec_lo, exec_lo, s4
.LBB2_223:
	s_delay_alu instid0(SALU_CYCLE_1)
	s_or_b32 exec_lo, exec_lo, s1
	s_waitcnt vmcnt(0)
	v_mov_b32_e32 v6, 0
	v_readfirstlane_b32 s4, v12
	v_readfirstlane_b32 s5, v13
	s_mov_b32 s1, exec_lo
	s_clause 0x1
	global_load_b64 v[14:15], v6, s[2:3] offset:40
	global_load_b128 v[8:11], v6, s[2:3]
	s_waitcnt vmcnt(1)
	v_readfirstlane_b32 s6, v14
	v_readfirstlane_b32 s7, v15
	s_delay_alu instid0(VALU_DEP_1) | instskip(NEXT) | instid1(SALU_CYCLE_1)
	s_and_b64 s[6:7], s[4:5], s[6:7]
	s_mul_i32 s10, s7, 24
	s_mul_hi_u32 s11, s6, 24
	s_mul_i32 s12, s6, 24
	s_add_i32 s11, s11, s10
	s_waitcnt vmcnt(0)
	v_add_co_u32 v12, vcc_lo, v8, s12
	v_add_co_ci_u32_e32 v13, vcc_lo, s11, v9, vcc_lo
	s_and_saveexec_b32 s10, s0
	s_cbranch_execz .LBB2_225
; %bb.224:
	v_dual_mov_b32 v14, s1 :: v_dual_mov_b32 v15, v6
	v_dual_mov_b32 v16, 2 :: v_dual_mov_b32 v17, 1
	global_store_b128 v[12:13], v[14:17], off offset:8
.LBB2_225:
	s_or_b32 exec_lo, exec_lo, s10
	s_lshl_b64 s[6:7], s[6:7], 12
	s_mov_b32 s12, 0
	v_add_co_u32 v10, vcc_lo, v10, s6
	v_add_co_ci_u32_e32 v11, vcc_lo, s7, v11, vcc_lo
	s_mov_b32 s15, s12
	s_delay_alu instid0(VALU_DEP_2)
	v_readfirstlane_b32 s6, v10
	v_add_co_u32 v10, vcc_lo, v10, v35
	s_mov_b32 s13, s12
	s_mov_b32 s14, s12
	v_and_or_b32 v4, 0xffffff1f, v4, 32
	v_mov_b32_e32 v7, v6
	v_readfirstlane_b32 s7, v11
	v_dual_mov_b32 v17, s15 :: v_dual_mov_b32 v14, s12
	v_add_co_ci_u32_e32 v11, vcc_lo, 0, v11, vcc_lo
	v_dual_mov_b32 v16, s14 :: v_dual_mov_b32 v15, s13
	s_clause 0x3
	global_store_b128 v35, v[4:7], s[6:7]
	global_store_b128 v35, v[14:17], s[6:7] offset:16
	global_store_b128 v35, v[14:17], s[6:7] offset:32
	;; [unrolled: 1-line block ×3, first 2 shown]
	s_and_saveexec_b32 s1, s0
	s_cbranch_execz .LBB2_233
; %bb.226:
	v_dual_mov_b32 v14, 0 :: v_dual_mov_b32 v15, s4
	v_mov_b32_e32 v16, s5
	s_clause 0x1
	global_load_b64 v[17:18], v14, s[2:3] offset:32 glc
	global_load_b64 v[4:5], v14, s[2:3] offset:40
	s_waitcnt vmcnt(0)
	v_readfirstlane_b32 s6, v4
	v_readfirstlane_b32 s7, v5
	s_delay_alu instid0(VALU_DEP_1) | instskip(NEXT) | instid1(SALU_CYCLE_1)
	s_and_b64 s[6:7], s[6:7], s[4:5]
	s_mul_i32 s7, s7, 24
	s_mul_hi_u32 s10, s6, 24
	s_mul_i32 s6, s6, 24
	s_add_i32 s10, s10, s7
	v_add_co_u32 v8, vcc_lo, v8, s6
	v_add_co_ci_u32_e32 v9, vcc_lo, s10, v9, vcc_lo
	s_mov_b32 s6, exec_lo
	global_store_b64 v[8:9], v[17:18], off
	s_waitcnt_vscnt null, 0x0
	global_atomic_cmpswap_b64 v[6:7], v14, v[15:18], s[2:3] offset:32 glc
	s_waitcnt vmcnt(0)
	v_cmpx_ne_u64_e64 v[6:7], v[17:18]
	s_cbranch_execz .LBB2_229
; %bb.227:
	s_mov_b32 s7, 0
.LBB2_228:                              ; =>This Inner Loop Header: Depth=1
	v_dual_mov_b32 v4, s4 :: v_dual_mov_b32 v5, s5
	s_sleep 1
	global_store_b64 v[8:9], v[6:7], off
	s_waitcnt_vscnt null, 0x0
	global_atomic_cmpswap_b64 v[4:5], v14, v[4:7], s[2:3] offset:32 glc
	s_waitcnt vmcnt(0)
	v_cmp_eq_u64_e32 vcc_lo, v[4:5], v[6:7]
	v_dual_mov_b32 v7, v5 :: v_dual_mov_b32 v6, v4
	s_or_b32 s7, vcc_lo, s7
	s_delay_alu instid0(SALU_CYCLE_1)
	s_and_not1_b32 exec_lo, exec_lo, s7
	s_cbranch_execnz .LBB2_228
.LBB2_229:
	s_or_b32 exec_lo, exec_lo, s6
	v_mov_b32_e32 v7, 0
	s_mov_b32 s7, exec_lo
	s_mov_b32 s6, exec_lo
	v_mbcnt_lo_u32_b32 v6, s7, 0
	global_load_b64 v[4:5], v7, s[2:3] offset:16
	v_cmpx_eq_u32_e32 0, v6
	s_cbranch_execz .LBB2_231
; %bb.230:
	s_bcnt1_i32_b32 s7, s7
	s_delay_alu instid0(SALU_CYCLE_1)
	v_mov_b32_e32 v6, s7
	s_waitcnt vmcnt(0)
	global_atomic_add_u64 v[4:5], v[6:7], off offset:8
.LBB2_231:
	s_or_b32 exec_lo, exec_lo, s6
	s_waitcnt vmcnt(0)
	global_load_b64 v[6:7], v[4:5], off offset:16
	s_waitcnt vmcnt(0)
	v_cmp_eq_u64_e32 vcc_lo, 0, v[6:7]
	s_cbranch_vccnz .LBB2_233
; %bb.232:
	global_load_b32 v4, v[4:5], off offset:24
	s_waitcnt vmcnt(0)
	v_dual_mov_b32 v5, 0 :: v_dual_and_b32 v8, 0xffffff, v4
	s_waitcnt_vscnt null, 0x0
	global_store_b64 v[6:7], v[4:5], off
	v_readfirstlane_b32 m0, v8
	s_sendmsg sendmsg(MSG_INTERRUPT)
.LBB2_233:
	s_or_b32 exec_lo, exec_lo, s1
	s_branch .LBB2_237
	.p2align	6
.LBB2_234:                              ;   in Loop: Header=BB2_237 Depth=1
	s_or_b32 exec_lo, exec_lo, s1
	s_delay_alu instid0(VALU_DEP_1) | instskip(NEXT) | instid1(VALU_DEP_1)
	v_readfirstlane_b32 s1, v4
	s_cmp_eq_u32 s1, 0
	s_cbranch_scc1 .LBB2_236
; %bb.235:                              ;   in Loop: Header=BB2_237 Depth=1
	s_sleep 1
	s_cbranch_execnz .LBB2_237
	s_branch .LBB2_239
	.p2align	6
.LBB2_236:
	s_branch .LBB2_239
.LBB2_237:                              ; =>This Inner Loop Header: Depth=1
	v_mov_b32_e32 v4, 1
	s_and_saveexec_b32 s1, s0
	s_cbranch_execz .LBB2_234
; %bb.238:                              ;   in Loop: Header=BB2_237 Depth=1
	global_load_b32 v4, v[12:13], off offset:20 glc
	s_waitcnt vmcnt(0)
	buffer_gl1_inv
	buffer_gl0_inv
	v_and_b32_e32 v4, 1, v4
	s_branch .LBB2_234
.LBB2_239:
	global_load_b64 v[6:7], v[10:11], off
	s_and_saveexec_b32 s1, s0
	s_cbranch_execz .LBB2_243
; %bb.240:
	v_mov_b32_e32 v12, 0
	s_clause 0x2
	global_load_b64 v[4:5], v12, s[2:3] offset:40
	global_load_b64 v[13:14], v12, s[2:3] offset:24 glc
	global_load_b64 v[10:11], v12, s[2:3]
	s_waitcnt vmcnt(2)
	v_add_co_u32 v15, vcc_lo, v4, 1
	v_add_co_ci_u32_e32 v16, vcc_lo, 0, v5, vcc_lo
	s_delay_alu instid0(VALU_DEP_2) | instskip(NEXT) | instid1(VALU_DEP_2)
	v_add_co_u32 v8, vcc_lo, v15, s4
	v_add_co_ci_u32_e32 v9, vcc_lo, s5, v16, vcc_lo
	s_delay_alu instid0(VALU_DEP_1) | instskip(SKIP_1) | instid1(VALU_DEP_1)
	v_cmp_eq_u64_e32 vcc_lo, 0, v[8:9]
	v_dual_cndmask_b32 v9, v9, v16 :: v_dual_cndmask_b32 v8, v8, v15
	v_and_b32_e32 v5, v9, v5
	s_delay_alu instid0(VALU_DEP_2) | instskip(NEXT) | instid1(VALU_DEP_2)
	v_and_b32_e32 v4, v8, v4
	v_mul_lo_u32 v5, v5, 24
	s_delay_alu instid0(VALU_DEP_2) | instskip(SKIP_1) | instid1(VALU_DEP_2)
	v_mul_hi_u32 v15, v4, 24
	v_mul_lo_u32 v4, v4, 24
	v_add_nc_u32_e32 v5, v15, v5
	s_waitcnt vmcnt(0)
	s_delay_alu instid0(VALU_DEP_2) | instskip(SKIP_1) | instid1(VALU_DEP_3)
	v_add_co_u32 v4, vcc_lo, v10, v4
	v_mov_b32_e32 v10, v13
	v_add_co_ci_u32_e32 v5, vcc_lo, v11, v5, vcc_lo
	v_mov_b32_e32 v11, v14
	global_store_b64 v[4:5], v[13:14], off
	s_waitcnt_vscnt null, 0x0
	global_atomic_cmpswap_b64 v[10:11], v12, v[8:11], s[2:3] offset:24 glc
	s_waitcnt vmcnt(0)
	v_cmp_ne_u64_e32 vcc_lo, v[10:11], v[13:14]
	s_and_b32 exec_lo, exec_lo, vcc_lo
	s_cbranch_execz .LBB2_243
; %bb.241:
	s_mov_b32 s0, 0
.LBB2_242:                              ; =>This Inner Loop Header: Depth=1
	s_sleep 1
	global_store_b64 v[4:5], v[10:11], off
	s_waitcnt_vscnt null, 0x0
	global_atomic_cmpswap_b64 v[13:14], v12, v[8:11], s[2:3] offset:24 glc
	s_waitcnt vmcnt(0)
	v_cmp_eq_u64_e32 vcc_lo, v[13:14], v[10:11]
	v_dual_mov_b32 v10, v13 :: v_dual_mov_b32 v11, v14
	s_or_b32 s0, vcc_lo, s0
	s_delay_alu instid0(SALU_CYCLE_1)
	s_and_not1_b32 exec_lo, exec_lo, s0
	s_cbranch_execnz .LBB2_242
.LBB2_243:
	s_or_b32 exec_lo, exec_lo, s1
.LBB2_244:
	v_readfirstlane_b32 s0, v1
	s_waitcnt vmcnt(0)
	v_mov_b32_e32 v4, 0
	v_mov_b32_e32 v5, 0
	s_delay_alu instid0(VALU_DEP_3) | instskip(NEXT) | instid1(VALU_DEP_1)
	v_cmp_eq_u32_e64 s0, s0, v1
	s_and_saveexec_b32 s1, s0
	s_cbranch_execz .LBB2_250
; %bb.245:
	v_mov_b32_e32 v1, 0
	s_mov_b32 s4, exec_lo
	global_load_b64 v[10:11], v1, s[2:3] offset:24 glc
	s_waitcnt vmcnt(0)
	buffer_gl1_inv
	buffer_gl0_inv
	s_clause 0x1
	global_load_b64 v[4:5], v1, s[2:3] offset:40
	global_load_b64 v[8:9], v1, s[2:3]
	s_waitcnt vmcnt(1)
	v_and_b32_e32 v4, v4, v10
	v_and_b32_e32 v5, v5, v11
	s_delay_alu instid0(VALU_DEP_2) | instskip(NEXT) | instid1(VALU_DEP_2)
	v_mul_hi_u32 v12, v4, 24
	v_mul_lo_u32 v5, v5, 24
	v_mul_lo_u32 v4, v4, 24
	s_delay_alu instid0(VALU_DEP_2) | instskip(SKIP_1) | instid1(VALU_DEP_2)
	v_add_nc_u32_e32 v5, v12, v5
	s_waitcnt vmcnt(0)
	v_add_co_u32 v4, vcc_lo, v8, v4
	s_delay_alu instid0(VALU_DEP_2)
	v_add_co_ci_u32_e32 v5, vcc_lo, v9, v5, vcc_lo
	global_load_b64 v[8:9], v[4:5], off glc
	s_waitcnt vmcnt(0)
	global_atomic_cmpswap_b64 v[4:5], v1, v[8:11], s[2:3] offset:24 glc
	s_waitcnt vmcnt(0)
	buffer_gl1_inv
	buffer_gl0_inv
	v_cmpx_ne_u64_e64 v[4:5], v[10:11]
	s_cbranch_execz .LBB2_249
; %bb.246:
	s_mov_b32 s5, 0
	.p2align	6
.LBB2_247:                              ; =>This Inner Loop Header: Depth=1
	s_sleep 1
	s_clause 0x1
	global_load_b64 v[8:9], v1, s[2:3] offset:40
	global_load_b64 v[12:13], v1, s[2:3]
	v_dual_mov_b32 v11, v5 :: v_dual_mov_b32 v10, v4
	s_waitcnt vmcnt(1)
	s_delay_alu instid0(VALU_DEP_1) | instskip(SKIP_1) | instid1(VALU_DEP_1)
	v_and_b32_e32 v8, v8, v10
	s_waitcnt vmcnt(0)
	v_mad_u64_u32 v[4:5], null, v8, 24, v[12:13]
	v_and_b32_e32 v12, v9, v11
	s_delay_alu instid0(VALU_DEP_1) | instskip(NEXT) | instid1(VALU_DEP_1)
	v_mad_u64_u32 v[8:9], null, v12, 24, v[5:6]
	v_mov_b32_e32 v5, v8
	global_load_b64 v[8:9], v[4:5], off glc
	s_waitcnt vmcnt(0)
	global_atomic_cmpswap_b64 v[4:5], v1, v[8:11], s[2:3] offset:24 glc
	s_waitcnt vmcnt(0)
	buffer_gl1_inv
	buffer_gl0_inv
	v_cmp_eq_u64_e32 vcc_lo, v[4:5], v[10:11]
	s_or_b32 s5, vcc_lo, s5
	s_delay_alu instid0(SALU_CYCLE_1)
	s_and_not1_b32 exec_lo, exec_lo, s5
	s_cbranch_execnz .LBB2_247
; %bb.248:
	s_or_b32 exec_lo, exec_lo, s5
.LBB2_249:
	s_delay_alu instid0(SALU_CYCLE_1)
	s_or_b32 exec_lo, exec_lo, s4
.LBB2_250:
	s_delay_alu instid0(SALU_CYCLE_1)
	s_or_b32 exec_lo, exec_lo, s1
	v_mov_b32_e32 v9, 0
	v_readfirstlane_b32 s4, v4
	v_readfirstlane_b32 s5, v5
	s_mov_b32 s1, exec_lo
	s_clause 0x1
	global_load_b64 v[14:15], v9, s[2:3] offset:40
	global_load_b128 v[10:13], v9, s[2:3]
	s_waitcnt vmcnt(1)
	v_readfirstlane_b32 s6, v14
	v_readfirstlane_b32 s7, v15
	s_delay_alu instid0(VALU_DEP_1) | instskip(NEXT) | instid1(SALU_CYCLE_1)
	s_and_b64 s[6:7], s[4:5], s[6:7]
	s_mul_i32 s10, s7, 24
	s_mul_hi_u32 s11, s6, 24
	s_mul_i32 s12, s6, 24
	s_add_i32 s11, s11, s10
	s_waitcnt vmcnt(0)
	v_add_co_u32 v14, vcc_lo, v10, s12
	v_add_co_ci_u32_e32 v15, vcc_lo, s11, v11, vcc_lo
	s_and_saveexec_b32 s10, s0
	s_cbranch_execz .LBB2_252
; %bb.251:
	v_dual_mov_b32 v8, s1 :: v_dual_mov_b32 v19, 1
	v_dual_mov_b32 v18, 2 :: v_dual_mov_b32 v17, v9
	s_delay_alu instid0(VALU_DEP_2)
	v_mov_b32_e32 v16, v8
	global_store_b128 v[14:15], v[16:19], off offset:8
.LBB2_252:
	s_or_b32 exec_lo, exec_lo, s10
	s_lshl_b64 s[6:7], s[6:7], 12
	s_mov_b32 s12, 0
	v_add_co_u32 v1, vcc_lo, v12, s6
	v_add_co_ci_u32_e32 v4, vcc_lo, s7, v13, vcc_lo
	s_mov_b32 s13, s12
	s_mov_b32 s14, s12
	;; [unrolled: 1-line block ×3, first 2 shown]
	s_delay_alu instid0(SALU_CYCLE_1)
	v_dual_mov_b32 v8, v0 :: v_dual_mov_b32 v19, s15
	v_add_co_u32 v0, vcc_lo, v1, v35
	v_and_or_b32 v6, 0xffffff1f, v6, 32
	v_readfirstlane_b32 s6, v1
	v_readfirstlane_b32 s7, v4
	v_add_co_ci_u32_e32 v1, vcc_lo, 0, v4, vcc_lo
	v_dual_mov_b32 v18, s14 :: v_dual_mov_b32 v17, s13
	v_mov_b32_e32 v16, s12
	s_clause 0x3
	global_store_b128 v35, v[6:9], s[6:7]
	global_store_b128 v35, v[16:19], s[6:7] offset:16
	global_store_b128 v35, v[16:19], s[6:7] offset:32
	;; [unrolled: 1-line block ×3, first 2 shown]
	s_and_saveexec_b32 s1, s0
	s_cbranch_execz .LBB2_260
; %bb.253:
	v_dual_mov_b32 v12, 0 :: v_dual_mov_b32 v17, s5
	v_mov_b32_e32 v16, s4
	s_clause 0x1
	global_load_b64 v[18:19], v12, s[2:3] offset:32 glc
	global_load_b64 v[4:5], v12, s[2:3] offset:40
	s_waitcnt vmcnt(0)
	v_readfirstlane_b32 s6, v4
	v_readfirstlane_b32 s7, v5
	s_delay_alu instid0(VALU_DEP_1) | instskip(NEXT) | instid1(SALU_CYCLE_1)
	s_and_b64 s[6:7], s[6:7], s[4:5]
	s_mul_i32 s7, s7, 24
	s_mul_hi_u32 s10, s6, 24
	s_mul_i32 s6, s6, 24
	s_add_i32 s10, s10, s7
	v_add_co_u32 v8, vcc_lo, v10, s6
	v_add_co_ci_u32_e32 v9, vcc_lo, s10, v11, vcc_lo
	s_mov_b32 s6, exec_lo
	global_store_b64 v[8:9], v[18:19], off
	s_waitcnt_vscnt null, 0x0
	global_atomic_cmpswap_b64 v[6:7], v12, v[16:19], s[2:3] offset:32 glc
	s_waitcnt vmcnt(0)
	v_cmpx_ne_u64_e64 v[6:7], v[18:19]
	s_cbranch_execz .LBB2_256
; %bb.254:
	s_mov_b32 s7, 0
.LBB2_255:                              ; =>This Inner Loop Header: Depth=1
	v_dual_mov_b32 v4, s4 :: v_dual_mov_b32 v5, s5
	s_sleep 1
	global_store_b64 v[8:9], v[6:7], off
	s_waitcnt_vscnt null, 0x0
	global_atomic_cmpswap_b64 v[4:5], v12, v[4:7], s[2:3] offset:32 glc
	s_waitcnt vmcnt(0)
	v_cmp_eq_u64_e32 vcc_lo, v[4:5], v[6:7]
	v_dual_mov_b32 v7, v5 :: v_dual_mov_b32 v6, v4
	s_or_b32 s7, vcc_lo, s7
	s_delay_alu instid0(SALU_CYCLE_1)
	s_and_not1_b32 exec_lo, exec_lo, s7
	s_cbranch_execnz .LBB2_255
.LBB2_256:
	s_or_b32 exec_lo, exec_lo, s6
	v_mov_b32_e32 v7, 0
	s_mov_b32 s7, exec_lo
	s_mov_b32 s6, exec_lo
	v_mbcnt_lo_u32_b32 v6, s7, 0
	global_load_b64 v[4:5], v7, s[2:3] offset:16
	v_cmpx_eq_u32_e32 0, v6
	s_cbranch_execz .LBB2_258
; %bb.257:
	s_bcnt1_i32_b32 s7, s7
	s_delay_alu instid0(SALU_CYCLE_1)
	v_mov_b32_e32 v6, s7
	s_waitcnt vmcnt(0)
	global_atomic_add_u64 v[4:5], v[6:7], off offset:8
.LBB2_258:
	s_or_b32 exec_lo, exec_lo, s6
	s_waitcnt vmcnt(0)
	global_load_b64 v[6:7], v[4:5], off offset:16
	s_waitcnt vmcnt(0)
	v_cmp_eq_u64_e32 vcc_lo, 0, v[6:7]
	s_cbranch_vccnz .LBB2_260
; %bb.259:
	global_load_b32 v4, v[4:5], off offset:24
	s_waitcnt vmcnt(0)
	v_dual_mov_b32 v5, 0 :: v_dual_and_b32 v8, 0xffffff, v4
	s_waitcnt_vscnt null, 0x0
	global_store_b64 v[6:7], v[4:5], off
	v_readfirstlane_b32 m0, v8
	s_sendmsg sendmsg(MSG_INTERRUPT)
.LBB2_260:
	s_or_b32 exec_lo, exec_lo, s1
	s_branch .LBB2_264
	.p2align	6
.LBB2_261:                              ;   in Loop: Header=BB2_264 Depth=1
	s_or_b32 exec_lo, exec_lo, s1
	s_delay_alu instid0(VALU_DEP_1) | instskip(NEXT) | instid1(VALU_DEP_1)
	v_readfirstlane_b32 s1, v4
	s_cmp_eq_u32 s1, 0
	s_cbranch_scc1 .LBB2_263
; %bb.262:                              ;   in Loop: Header=BB2_264 Depth=1
	s_sleep 1
	s_cbranch_execnz .LBB2_264
	s_branch .LBB2_266
	.p2align	6
.LBB2_263:
	s_branch .LBB2_266
.LBB2_264:                              ; =>This Inner Loop Header: Depth=1
	v_mov_b32_e32 v4, 1
	s_and_saveexec_b32 s1, s0
	s_cbranch_execz .LBB2_261
; %bb.265:                              ;   in Loop: Header=BB2_264 Depth=1
	global_load_b32 v4, v[14:15], off offset:20 glc
	s_waitcnt vmcnt(0)
	buffer_gl1_inv
	buffer_gl0_inv
	v_and_b32_e32 v4, 1, v4
	s_branch .LBB2_261
.LBB2_266:
	global_load_b64 v[0:1], v[0:1], off
	s_and_saveexec_b32 s1, s0
	s_cbranch_execz .LBB2_270
; %bb.267:
	v_mov_b32_e32 v10, 0
	s_clause 0x2
	global_load_b64 v[6:7], v10, s[2:3] offset:40
	global_load_b64 v[11:12], v10, s[2:3] offset:24 glc
	global_load_b64 v[8:9], v10, s[2:3]
	s_waitcnt vmcnt(2)
	v_add_co_u32 v13, vcc_lo, v6, 1
	v_add_co_ci_u32_e32 v14, vcc_lo, 0, v7, vcc_lo
	s_delay_alu instid0(VALU_DEP_2) | instskip(NEXT) | instid1(VALU_DEP_2)
	v_add_co_u32 v4, vcc_lo, v13, s4
	v_add_co_ci_u32_e32 v5, vcc_lo, s5, v14, vcc_lo
	s_delay_alu instid0(VALU_DEP_1) | instskip(SKIP_1) | instid1(VALU_DEP_1)
	v_cmp_eq_u64_e32 vcc_lo, 0, v[4:5]
	v_dual_cndmask_b32 v5, v5, v14 :: v_dual_cndmask_b32 v4, v4, v13
	v_and_b32_e32 v7, v5, v7
	s_delay_alu instid0(VALU_DEP_2) | instskip(NEXT) | instid1(VALU_DEP_2)
	v_and_b32_e32 v6, v4, v6
	v_mul_lo_u32 v7, v7, 24
	s_delay_alu instid0(VALU_DEP_2) | instskip(SKIP_1) | instid1(VALU_DEP_2)
	v_mul_hi_u32 v13, v6, 24
	v_mul_lo_u32 v6, v6, 24
	v_add_nc_u32_e32 v7, v13, v7
	s_waitcnt vmcnt(0)
	s_delay_alu instid0(VALU_DEP_2) | instskip(SKIP_1) | instid1(VALU_DEP_3)
	v_add_co_u32 v8, vcc_lo, v8, v6
	v_mov_b32_e32 v6, v11
	v_add_co_ci_u32_e32 v9, vcc_lo, v9, v7, vcc_lo
	v_mov_b32_e32 v7, v12
	global_store_b64 v[8:9], v[11:12], off
	s_waitcnt_vscnt null, 0x0
	global_atomic_cmpswap_b64 v[6:7], v10, v[4:7], s[2:3] offset:24 glc
	s_waitcnt vmcnt(0)
	v_cmp_ne_u64_e32 vcc_lo, v[6:7], v[11:12]
	s_and_b32 exec_lo, exec_lo, vcc_lo
	s_cbranch_execz .LBB2_270
; %bb.268:
	s_mov_b32 s0, 0
.LBB2_269:                              ; =>This Inner Loop Header: Depth=1
	s_sleep 1
	global_store_b64 v[8:9], v[6:7], off
	s_waitcnt_vscnt null, 0x0
	global_atomic_cmpswap_b64 v[11:12], v10, v[4:7], s[2:3] offset:24 glc
	s_waitcnt vmcnt(0)
	v_cmp_eq_u64_e32 vcc_lo, v[11:12], v[6:7]
	v_dual_mov_b32 v6, v11 :: v_dual_mov_b32 v7, v12
	s_or_b32 s0, vcc_lo, s0
	s_delay_alu instid0(SALU_CYCLE_1)
	s_and_not1_b32 exec_lo, exec_lo, s0
	s_cbranch_execnz .LBB2_269
.LBB2_270:
	s_or_b32 exec_lo, exec_lo, s1
	v_mov_b32_e32 v4, 0
	v_mov_b32_e32 v5, 0
	s_mov_b32 s0, exec_lo
	v_cmpx_ne_u64_e32 0, v[2:3]
	s_cbranch_execz .LBB2_274
; %bb.271:
	v_add_co_u32 v4, vcc_lo, v2, -1
	v_add_co_ci_u32_e32 v5, vcc_lo, -1, v3, vcc_lo
	s_mov_b32 s1, 0
.LBB2_272:                              ; =>This Inner Loop Header: Depth=1
	flat_load_u8 v8, v[4:5] offset:1
	v_add_co_u32 v6, vcc_lo, v4, 1
	v_add_co_ci_u32_e32 v7, vcc_lo, 0, v5, vcc_lo
	s_delay_alu instid0(VALU_DEP_1) | instskip(SKIP_3) | instid1(SALU_CYCLE_1)
	v_dual_mov_b32 v4, v6 :: v_dual_mov_b32 v5, v7
	s_waitcnt vmcnt(0) lgkmcnt(0)
	v_cmp_eq_u16_e32 vcc_lo, 0, v8
	s_or_b32 s1, vcc_lo, s1
	s_and_not1_b32 exec_lo, exec_lo, s1
	s_cbranch_execnz .LBB2_272
; %bb.273:
	s_or_b32 exec_lo, exec_lo, s1
	v_sub_co_u32 v4, vcc_lo, v6, v2
	v_sub_co_ci_u32_e32 v5, vcc_lo, v7, v3, vcc_lo
	s_delay_alu instid0(VALU_DEP_2) | instskip(NEXT) | instid1(VALU_DEP_2)
	v_add_co_u32 v4, vcc_lo, v4, 1
	v_add_co_ci_u32_e32 v5, vcc_lo, 0, v5, vcc_lo
.LBB2_274:
	s_or_b32 exec_lo, exec_lo, s0
	s_getpc_b64 s[0:1]
	s_add_u32 s0, s0, __ockl_printf_append_string_n@rel32@lo+4
	s_addc_u32 s1, s1, __ockl_printf_append_string_n@rel32@hi+12
	s_mov_b64 s[16:17], s[8:9]
	s_swappc_b64 s[30:31], s[0:1]
	v_dual_mov_b32 v2, 0x514 :: v_dual_mov_b32 v3, 0
	v_mov_b32_e32 v4, 1
	s_mov_b64 s[8:9], s[16:17]
	s_getpc_b64 s[0:1]
	s_add_u32 s0, s0, __ockl_printf_append_args@rel32@lo+4
	s_addc_u32 s1, s1, __ockl_printf_append_args@rel32@hi+12
	s_delay_alu instid0(SALU_CYCLE_1)
	s_swappc_b64 s[30:31], s[0:1]
	s_trap 2
	s_sendmsg_rtn_b32 s0, sendmsg(MSG_RTN_GET_DOORBELL)
	s_mov_b32 ttmp2, m0
	s_waitcnt lgkmcnt(0)
	s_and_b32 s0, s0, 0x3ff
	s_delay_alu instid0(SALU_CYCLE_1) | instskip(NEXT) | instid1(SALU_CYCLE_1)
	s_bitset1_b32 s0, 10
	s_mov_b32 m0, s0
	s_sendmsg sendmsg(MSG_INTERRUPT)
	s_mov_b32 m0, ttmp2
.LBB2_275:                              ; =>This Inner Loop Header: Depth=1
	s_sethalt 5
	s_branch .LBB2_275
.Lfunc_end2:
	.size	_ZL14no_device_codePKciS0_iS0_, .Lfunc_end2-_ZL14no_device_codePKciS0_iS0_
                                        ; -- End function
	.section	.AMDGPU.csdata,"",@progbits
; Function info:
; codeLenInByte = 10620
; NumSgprs: 36
; NumVgprs: 38
; ScratchSize: 16
; MemoryBound: 0
	.section	.text._ZL13mul_mat_f_idsIfLi32ELi11ELi1EEvPKT_PKfPKiS6_S6_Pfiiiiiiiiiiiiii15HIP_vector_typeIjLj3EES9_,"axG",@progbits,_ZL13mul_mat_f_idsIfLi32ELi11ELi1EEvPKT_PKfPKiS6_S6_Pfiiiiiiiiiiiiii15HIP_vector_typeIjLj3EES9_,comdat
	.globl	_ZL13mul_mat_f_idsIfLi32ELi11ELi1EEvPKT_PKfPKiS6_S6_Pfiiiiiiiiiiiiii15HIP_vector_typeIjLj3EES9_ ; -- Begin function _ZL13mul_mat_f_idsIfLi32ELi11ELi1EEvPKT_PKfPKiS6_S6_Pfiiiiiiiiiiiiii15HIP_vector_typeIjLj3EES9_
	.p2align	8
	.type	_ZL13mul_mat_f_idsIfLi32ELi11ELi1EEvPKT_PKfPKiS6_S6_Pfiiiiiiiiiiiiii15HIP_vector_typeIjLj3EES9_,@function
_ZL13mul_mat_f_idsIfLi32ELi11ELi1EEvPKT_PKfPKiS6_S6_Pfiiiiiiiiiiiiii15HIP_vector_typeIjLj3EES9_: ; @_ZL13mul_mat_f_idsIfLi32ELi11ELi1EEvPKT_PKfPKiS6_S6_Pfiiiiiiiiiiiiii15HIP_vector_typeIjLj3EES9_
; %bb.0:
	s_add_u32 s8, s0, 0x80
	s_addc_u32 s9, s1, 0
	s_getpc_b64 s[0:1]
	s_add_u32 s0, s0, __FUNCTION__._ZL13mul_mat_f_idsIfLi32ELi11ELi1EEvPKT_PKfPKiS6_S6_Pfiiiiiiiiiiiiii15HIP_vector_typeIjLj3EES9_@rel32@lo+4
	s_addc_u32 s1, s1, __FUNCTION__._ZL13mul_mat_f_idsIfLi32ELi11ELi1EEvPKT_PKfPKiS6_S6_Pfiiiiiiiiiiiiii15HIP_vector_typeIjLj3EES9_@rel32@hi+12
	v_dual_mov_b32 v0, 0x136 :: v_dual_mov_b32 v1, s0
	v_mov_b32_e32 v2, s1
	s_mov_b32 s32, 0
	s_getpc_b64 s[2:3]
	s_add_u32 s2, s2, _ZL14no_device_codePKciS0_iS0_@rel32@lo+4
	s_addc_u32 s3, s3, _ZL14no_device_codePKciS0_iS0_@rel32@hi+12
	s_delay_alu instid0(SALU_CYCLE_1)
	s_swappc_b64 s[30:31], s[2:3]
	.section	.rodata,"a",@progbits
	.p2align	6, 0x0
	.amdhsa_kernel _ZL13mul_mat_f_idsIfLi32ELi11ELi1EEvPKT_PKfPKiS6_S6_Pfiiiiiiiiiiiiii15HIP_vector_typeIjLj3EES9_
		.amdhsa_group_segment_fixed_size 0
		.amdhsa_private_segment_fixed_size 16
		.amdhsa_kernarg_size 384
		.amdhsa_user_sgpr_count 15
		.amdhsa_user_sgpr_dispatch_ptr 0
		.amdhsa_user_sgpr_queue_ptr 0
		.amdhsa_user_sgpr_kernarg_segment_ptr 1
		.amdhsa_user_sgpr_dispatch_id 0
		.amdhsa_user_sgpr_private_segment_size 0
		.amdhsa_wavefront_size32 1
		.amdhsa_uses_dynamic_stack 0
		.amdhsa_enable_private_segment 1
		.amdhsa_system_sgpr_workgroup_id_x 1
		.amdhsa_system_sgpr_workgroup_id_y 0
		.amdhsa_system_sgpr_workgroup_id_z 0
		.amdhsa_system_sgpr_workgroup_info 0
		.amdhsa_system_vgpr_workitem_id 0
		.amdhsa_next_free_vgpr 38
		.amdhsa_next_free_sgpr 34
		.amdhsa_reserve_vcc 1
		.amdhsa_float_round_mode_32 0
		.amdhsa_float_round_mode_16_64 0
		.amdhsa_float_denorm_mode_32 3
		.amdhsa_float_denorm_mode_16_64 3
		.amdhsa_dx10_clamp 1
		.amdhsa_ieee_mode 1
		.amdhsa_fp16_overflow 0
		.amdhsa_workgroup_processor_mode 1
		.amdhsa_memory_ordered 1
		.amdhsa_forward_progress 0
		.amdhsa_shared_vgpr_count 0
		.amdhsa_exception_fp_ieee_invalid_op 0
		.amdhsa_exception_fp_denorm_src 0
		.amdhsa_exception_fp_ieee_div_zero 0
		.amdhsa_exception_fp_ieee_overflow 0
		.amdhsa_exception_fp_ieee_underflow 0
		.amdhsa_exception_fp_ieee_inexact 0
		.amdhsa_exception_int_div_zero 0
	.end_amdhsa_kernel
	.section	.text._ZL13mul_mat_f_idsIfLi32ELi11ELi1EEvPKT_PKfPKiS6_S6_Pfiiiiiiiiiiiiii15HIP_vector_typeIjLj3EES9_,"axG",@progbits,_ZL13mul_mat_f_idsIfLi32ELi11ELi1EEvPKT_PKfPKiS6_S6_Pfiiiiiiiiiiiiii15HIP_vector_typeIjLj3EES9_,comdat
.Lfunc_end3:
	.size	_ZL13mul_mat_f_idsIfLi32ELi11ELi1EEvPKT_PKfPKiS6_S6_Pfiiiiiiiiiiiiii15HIP_vector_typeIjLj3EES9_, .Lfunc_end3-_ZL13mul_mat_f_idsIfLi32ELi11ELi1EEvPKT_PKfPKiS6_S6_Pfiiiiiiiiiiiiii15HIP_vector_typeIjLj3EES9_
                                        ; -- End function
	.section	.AMDGPU.csdata,"",@progbits
; Kernel info:
; codeLenInByte = 80
; NumSgprs: 36
; NumVgprs: 38
; ScratchSize: 16
; MemoryBound: 0
; FloatMode: 240
; IeeeMode: 1
; LDSByteSize: 0 bytes/workgroup (compile time only)
; SGPRBlocks: 4
; VGPRBlocks: 4
; NumSGPRsForWavesPerEU: 36
; NumVGPRsForWavesPerEU: 38
; Occupancy: 16
; WaveLimiterHint : 1
; COMPUTE_PGM_RSRC2:SCRATCH_EN: 1
; COMPUTE_PGM_RSRC2:USER_SGPR: 15
; COMPUTE_PGM_RSRC2:TRAP_HANDLER: 0
; COMPUTE_PGM_RSRC2:TGID_X_EN: 1
; COMPUTE_PGM_RSRC2:TGID_Y_EN: 0
; COMPUTE_PGM_RSRC2:TGID_Z_EN: 0
; COMPUTE_PGM_RSRC2:TIDIG_COMP_CNT: 0
	.section	.text._ZL9mul_mat_fIfLi32ELi11ELi1ELb1EEvPKT_PKfPKiPfiiiiiiiiiiiiiiii,"axG",@progbits,_ZL9mul_mat_fIfLi32ELi11ELi1ELb1EEvPKT_PKfPKiPfiiiiiiiiiiiiiiii,comdat
	.globl	_ZL9mul_mat_fIfLi32ELi11ELi1ELb1EEvPKT_PKfPKiPfiiiiiiiiiiiiiiii ; -- Begin function _ZL9mul_mat_fIfLi32ELi11ELi1ELb1EEvPKT_PKfPKiPfiiiiiiiiiiiiiiii
	.p2align	8
	.type	_ZL9mul_mat_fIfLi32ELi11ELi1ELb1EEvPKT_PKfPKiPfiiiiiiiiiiiiiiii,@function
_ZL9mul_mat_fIfLi32ELi11ELi1ELb1EEvPKT_PKfPKiPfiiiiiiiiiiiiiiii: ; @_ZL9mul_mat_fIfLi32ELi11ELi1ELb1EEvPKT_PKfPKiPfiiiiiiiiiiiiiiii
; %bb.0:
	s_add_u32 s8, s0, 0x60
	s_addc_u32 s9, s1, 0
	s_getpc_b64 s[0:1]
	s_add_u32 s0, s0, __FUNCTION__._ZL9mul_mat_fIfLi32ELi11ELi1ELb1EEvPKT_PKfPKiPfiiiiiiiiiiiiiiii@rel32@lo+4
	s_addc_u32 s1, s1, __FUNCTION__._ZL9mul_mat_fIfLi32ELi11ELi1ELb1EEvPKT_PKfPKiPfiiiiiiiiiiiiiiii@rel32@hi+12
	v_dual_mov_b32 v0, 59 :: v_dual_mov_b32 v1, s0
	v_mov_b32_e32 v2, s1
	s_mov_b32 s32, 0
	s_getpc_b64 s[2:3]
	s_add_u32 s2, s2, _ZL14no_device_codePKciS0_iS0_@rel32@lo+4
	s_addc_u32 s3, s3, _ZL14no_device_codePKciS0_iS0_@rel32@hi+12
	s_delay_alu instid0(SALU_CYCLE_1)
	s_swappc_b64 s[30:31], s[2:3]
	.section	.rodata,"a",@progbits
	.p2align	6, 0x0
	.amdhsa_kernel _ZL9mul_mat_fIfLi32ELi11ELi1ELb1EEvPKT_PKfPKiPfiiiiiiiiiiiiiiii
		.amdhsa_group_segment_fixed_size 0
		.amdhsa_private_segment_fixed_size 16
		.amdhsa_kernarg_size 352
		.amdhsa_user_sgpr_count 15
		.amdhsa_user_sgpr_dispatch_ptr 0
		.amdhsa_user_sgpr_queue_ptr 0
		.amdhsa_user_sgpr_kernarg_segment_ptr 1
		.amdhsa_user_sgpr_dispatch_id 0
		.amdhsa_user_sgpr_private_segment_size 0
		.amdhsa_wavefront_size32 1
		.amdhsa_uses_dynamic_stack 0
		.amdhsa_enable_private_segment 1
		.amdhsa_system_sgpr_workgroup_id_x 1
		.amdhsa_system_sgpr_workgroup_id_y 0
		.amdhsa_system_sgpr_workgroup_id_z 0
		.amdhsa_system_sgpr_workgroup_info 0
		.amdhsa_system_vgpr_workitem_id 0
		.amdhsa_next_free_vgpr 38
		.amdhsa_next_free_sgpr 34
		.amdhsa_reserve_vcc 1
		.amdhsa_float_round_mode_32 0
		.amdhsa_float_round_mode_16_64 0
		.amdhsa_float_denorm_mode_32 3
		.amdhsa_float_denorm_mode_16_64 3
		.amdhsa_dx10_clamp 1
		.amdhsa_ieee_mode 1
		.amdhsa_fp16_overflow 0
		.amdhsa_workgroup_processor_mode 1
		.amdhsa_memory_ordered 1
		.amdhsa_forward_progress 0
		.amdhsa_shared_vgpr_count 0
		.amdhsa_exception_fp_ieee_invalid_op 0
		.amdhsa_exception_fp_denorm_src 0
		.amdhsa_exception_fp_ieee_div_zero 0
		.amdhsa_exception_fp_ieee_overflow 0
		.amdhsa_exception_fp_ieee_underflow 0
		.amdhsa_exception_fp_ieee_inexact 0
		.amdhsa_exception_int_div_zero 0
	.end_amdhsa_kernel
	.section	.text._ZL9mul_mat_fIfLi32ELi11ELi1ELb1EEvPKT_PKfPKiPfiiiiiiiiiiiiiiii,"axG",@progbits,_ZL9mul_mat_fIfLi32ELi11ELi1ELb1EEvPKT_PKfPKiPfiiiiiiiiiiiiiiii,comdat
.Lfunc_end4:
	.size	_ZL9mul_mat_fIfLi32ELi11ELi1ELb1EEvPKT_PKfPKiPfiiiiiiiiiiiiiiii, .Lfunc_end4-_ZL9mul_mat_fIfLi32ELi11ELi1ELb1EEvPKT_PKfPKiPfiiiiiiiiiiiiiiii
                                        ; -- End function
	.section	.AMDGPU.csdata,"",@progbits
; Kernel info:
; codeLenInByte = 76
; NumSgprs: 36
; NumVgprs: 38
; ScratchSize: 16
; MemoryBound: 0
; FloatMode: 240
; IeeeMode: 1
; LDSByteSize: 0 bytes/workgroup (compile time only)
; SGPRBlocks: 4
; VGPRBlocks: 4
; NumSGPRsForWavesPerEU: 36
; NumVGPRsForWavesPerEU: 38
; Occupancy: 16
; WaveLimiterHint : 1
; COMPUTE_PGM_RSRC2:SCRATCH_EN: 1
; COMPUTE_PGM_RSRC2:USER_SGPR: 15
; COMPUTE_PGM_RSRC2:TRAP_HANDLER: 0
; COMPUTE_PGM_RSRC2:TGID_X_EN: 1
; COMPUTE_PGM_RSRC2:TGID_Y_EN: 0
; COMPUTE_PGM_RSRC2:TGID_Z_EN: 0
; COMPUTE_PGM_RSRC2:TIDIG_COMP_CNT: 0
	.section	.text._ZL9mul_mat_fIfLi32ELi11ELi1ELb0EEvPKT_PKfPKiPfiiiiiiiiiiiiiiii,"axG",@progbits,_ZL9mul_mat_fIfLi32ELi11ELi1ELb0EEvPKT_PKfPKiPfiiiiiiiiiiiiiiii,comdat
	.globl	_ZL9mul_mat_fIfLi32ELi11ELi1ELb0EEvPKT_PKfPKiPfiiiiiiiiiiiiiiii ; -- Begin function _ZL9mul_mat_fIfLi32ELi11ELi1ELb0EEvPKT_PKfPKiPfiiiiiiiiiiiiiiii
	.p2align	8
	.type	_ZL9mul_mat_fIfLi32ELi11ELi1ELb0EEvPKT_PKfPKiPfiiiiiiiiiiiiiiii,@function
_ZL9mul_mat_fIfLi32ELi11ELi1ELb0EEvPKT_PKfPKiPfiiiiiiiiiiiiiiii: ; @_ZL9mul_mat_fIfLi32ELi11ELi1ELb0EEvPKT_PKfPKiPfiiiiiiiiiiiiiiii
; %bb.0:
	s_add_u32 s8, s0, 0x60
	s_addc_u32 s9, s1, 0
	s_getpc_b64 s[0:1]
	s_add_u32 s0, s0, __FUNCTION__._ZL9mul_mat_fIfLi32ELi11ELi1ELb1EEvPKT_PKfPKiPfiiiiiiiiiiiiiiii@rel32@lo+4
	s_addc_u32 s1, s1, __FUNCTION__._ZL9mul_mat_fIfLi32ELi11ELi1ELb1EEvPKT_PKfPKiPfiiiiiiiiiiiiiiii@rel32@hi+12
	v_dual_mov_b32 v0, 59 :: v_dual_mov_b32 v1, s0
	v_mov_b32_e32 v2, s1
	s_mov_b32 s32, 0
	s_getpc_b64 s[2:3]
	s_add_u32 s2, s2, _ZL14no_device_codePKciS0_iS0_@rel32@lo+4
	s_addc_u32 s3, s3, _ZL14no_device_codePKciS0_iS0_@rel32@hi+12
	s_delay_alu instid0(SALU_CYCLE_1)
	s_swappc_b64 s[30:31], s[2:3]
	.section	.rodata,"a",@progbits
	.p2align	6, 0x0
	.amdhsa_kernel _ZL9mul_mat_fIfLi32ELi11ELi1ELb0EEvPKT_PKfPKiPfiiiiiiiiiiiiiiii
		.amdhsa_group_segment_fixed_size 0
		.amdhsa_private_segment_fixed_size 16
		.amdhsa_kernarg_size 352
		.amdhsa_user_sgpr_count 15
		.amdhsa_user_sgpr_dispatch_ptr 0
		.amdhsa_user_sgpr_queue_ptr 0
		.amdhsa_user_sgpr_kernarg_segment_ptr 1
		.amdhsa_user_sgpr_dispatch_id 0
		.amdhsa_user_sgpr_private_segment_size 0
		.amdhsa_wavefront_size32 1
		.amdhsa_uses_dynamic_stack 0
		.amdhsa_enable_private_segment 1
		.amdhsa_system_sgpr_workgroup_id_x 1
		.amdhsa_system_sgpr_workgroup_id_y 0
		.amdhsa_system_sgpr_workgroup_id_z 0
		.amdhsa_system_sgpr_workgroup_info 0
		.amdhsa_system_vgpr_workitem_id 0
		.amdhsa_next_free_vgpr 38
		.amdhsa_next_free_sgpr 34
		.amdhsa_reserve_vcc 1
		.amdhsa_float_round_mode_32 0
		.amdhsa_float_round_mode_16_64 0
		.amdhsa_float_denorm_mode_32 3
		.amdhsa_float_denorm_mode_16_64 3
		.amdhsa_dx10_clamp 1
		.amdhsa_ieee_mode 1
		.amdhsa_fp16_overflow 0
		.amdhsa_workgroup_processor_mode 1
		.amdhsa_memory_ordered 1
		.amdhsa_forward_progress 0
		.amdhsa_shared_vgpr_count 0
		.amdhsa_exception_fp_ieee_invalid_op 0
		.amdhsa_exception_fp_denorm_src 0
		.amdhsa_exception_fp_ieee_div_zero 0
		.amdhsa_exception_fp_ieee_overflow 0
		.amdhsa_exception_fp_ieee_underflow 0
		.amdhsa_exception_fp_ieee_inexact 0
		.amdhsa_exception_int_div_zero 0
	.end_amdhsa_kernel
	.section	.text._ZL9mul_mat_fIfLi32ELi11ELi1ELb0EEvPKT_PKfPKiPfiiiiiiiiiiiiiiii,"axG",@progbits,_ZL9mul_mat_fIfLi32ELi11ELi1ELb0EEvPKT_PKfPKiPfiiiiiiiiiiiiiiii,comdat
.Lfunc_end5:
	.size	_ZL9mul_mat_fIfLi32ELi11ELi1ELb0EEvPKT_PKfPKiPfiiiiiiiiiiiiiiii, .Lfunc_end5-_ZL9mul_mat_fIfLi32ELi11ELi1ELb0EEvPKT_PKfPKiPfiiiiiiiiiiiiiiii
                                        ; -- End function
	.section	.AMDGPU.csdata,"",@progbits
; Kernel info:
; codeLenInByte = 76
; NumSgprs: 36
; NumVgprs: 38
; ScratchSize: 16
; MemoryBound: 0
; FloatMode: 240
; IeeeMode: 1
; LDSByteSize: 0 bytes/workgroup (compile time only)
; SGPRBlocks: 4
; VGPRBlocks: 4
; NumSGPRsForWavesPerEU: 36
; NumVGPRsForWavesPerEU: 38
; Occupancy: 16
; WaveLimiterHint : 1
; COMPUTE_PGM_RSRC2:SCRATCH_EN: 1
; COMPUTE_PGM_RSRC2:USER_SGPR: 15
; COMPUTE_PGM_RSRC2:TRAP_HANDLER: 0
; COMPUTE_PGM_RSRC2:TGID_X_EN: 1
; COMPUTE_PGM_RSRC2:TGID_Y_EN: 0
; COMPUTE_PGM_RSRC2:TGID_Z_EN: 0
; COMPUTE_PGM_RSRC2:TIDIG_COMP_CNT: 0
	.section	.text._ZL13mul_mat_f_idsIfLi32ELi11ELi2EEvPKT_PKfPKiS6_S6_Pfiiiiiiiiiiiiii15HIP_vector_typeIjLj3EES9_,"axG",@progbits,_ZL13mul_mat_f_idsIfLi32ELi11ELi2EEvPKT_PKfPKiS6_S6_Pfiiiiiiiiiiiiii15HIP_vector_typeIjLj3EES9_,comdat
	.globl	_ZL13mul_mat_f_idsIfLi32ELi11ELi2EEvPKT_PKfPKiS6_S6_Pfiiiiiiiiiiiiii15HIP_vector_typeIjLj3EES9_ ; -- Begin function _ZL13mul_mat_f_idsIfLi32ELi11ELi2EEvPKT_PKfPKiS6_S6_Pfiiiiiiiiiiiiii15HIP_vector_typeIjLj3EES9_
	.p2align	8
	.type	_ZL13mul_mat_f_idsIfLi32ELi11ELi2EEvPKT_PKfPKiS6_S6_Pfiiiiiiiiiiiiii15HIP_vector_typeIjLj3EES9_,@function
_ZL13mul_mat_f_idsIfLi32ELi11ELi2EEvPKT_PKfPKiS6_S6_Pfiiiiiiiiiiiiii15HIP_vector_typeIjLj3EES9_: ; @_ZL13mul_mat_f_idsIfLi32ELi11ELi2EEvPKT_PKfPKiS6_S6_Pfiiiiiiiiiiiiii15HIP_vector_typeIjLj3EES9_
; %bb.0:
	s_add_u32 s8, s0, 0x80
	s_addc_u32 s9, s1, 0
	s_getpc_b64 s[0:1]
	s_add_u32 s0, s0, __FUNCTION__._ZL13mul_mat_f_idsIfLi32ELi11ELi1EEvPKT_PKfPKiS6_S6_Pfiiiiiiiiiiiiii15HIP_vector_typeIjLj3EES9_@rel32@lo+4
	s_addc_u32 s1, s1, __FUNCTION__._ZL13mul_mat_f_idsIfLi32ELi11ELi1EEvPKT_PKfPKiS6_S6_Pfiiiiiiiiiiiiii15HIP_vector_typeIjLj3EES9_@rel32@hi+12
	v_dual_mov_b32 v0, 0x136 :: v_dual_mov_b32 v1, s0
	v_mov_b32_e32 v2, s1
	s_mov_b32 s32, 0
	s_getpc_b64 s[2:3]
	s_add_u32 s2, s2, _ZL14no_device_codePKciS0_iS0_@rel32@lo+4
	s_addc_u32 s3, s3, _ZL14no_device_codePKciS0_iS0_@rel32@hi+12
	s_delay_alu instid0(SALU_CYCLE_1)
	s_swappc_b64 s[30:31], s[2:3]
	.section	.rodata,"a",@progbits
	.p2align	6, 0x0
	.amdhsa_kernel _ZL13mul_mat_f_idsIfLi32ELi11ELi2EEvPKT_PKfPKiS6_S6_Pfiiiiiiiiiiiiii15HIP_vector_typeIjLj3EES9_
		.amdhsa_group_segment_fixed_size 0
		.amdhsa_private_segment_fixed_size 16
		.amdhsa_kernarg_size 384
		.amdhsa_user_sgpr_count 15
		.amdhsa_user_sgpr_dispatch_ptr 0
		.amdhsa_user_sgpr_queue_ptr 0
		.amdhsa_user_sgpr_kernarg_segment_ptr 1
		.amdhsa_user_sgpr_dispatch_id 0
		.amdhsa_user_sgpr_private_segment_size 0
		.amdhsa_wavefront_size32 1
		.amdhsa_uses_dynamic_stack 0
		.amdhsa_enable_private_segment 1
		.amdhsa_system_sgpr_workgroup_id_x 1
		.amdhsa_system_sgpr_workgroup_id_y 0
		.amdhsa_system_sgpr_workgroup_id_z 0
		.amdhsa_system_sgpr_workgroup_info 0
		.amdhsa_system_vgpr_workitem_id 0
		.amdhsa_next_free_vgpr 38
		.amdhsa_next_free_sgpr 34
		.amdhsa_reserve_vcc 1
		.amdhsa_float_round_mode_32 0
		.amdhsa_float_round_mode_16_64 0
		.amdhsa_float_denorm_mode_32 3
		.amdhsa_float_denorm_mode_16_64 3
		.amdhsa_dx10_clamp 1
		.amdhsa_ieee_mode 1
		.amdhsa_fp16_overflow 0
		.amdhsa_workgroup_processor_mode 1
		.amdhsa_memory_ordered 1
		.amdhsa_forward_progress 0
		.amdhsa_shared_vgpr_count 0
		.amdhsa_exception_fp_ieee_invalid_op 0
		.amdhsa_exception_fp_denorm_src 0
		.amdhsa_exception_fp_ieee_div_zero 0
		.amdhsa_exception_fp_ieee_overflow 0
		.amdhsa_exception_fp_ieee_underflow 0
		.amdhsa_exception_fp_ieee_inexact 0
		.amdhsa_exception_int_div_zero 0
	.end_amdhsa_kernel
	.section	.text._ZL13mul_mat_f_idsIfLi32ELi11ELi2EEvPKT_PKfPKiS6_S6_Pfiiiiiiiiiiiiii15HIP_vector_typeIjLj3EES9_,"axG",@progbits,_ZL13mul_mat_f_idsIfLi32ELi11ELi2EEvPKT_PKfPKiS6_S6_Pfiiiiiiiiiiiiii15HIP_vector_typeIjLj3EES9_,comdat
.Lfunc_end6:
	.size	_ZL13mul_mat_f_idsIfLi32ELi11ELi2EEvPKT_PKfPKiS6_S6_Pfiiiiiiiiiiiiii15HIP_vector_typeIjLj3EES9_, .Lfunc_end6-_ZL13mul_mat_f_idsIfLi32ELi11ELi2EEvPKT_PKfPKiS6_S6_Pfiiiiiiiiiiiiii15HIP_vector_typeIjLj3EES9_
                                        ; -- End function
	.section	.AMDGPU.csdata,"",@progbits
; Kernel info:
; codeLenInByte = 80
; NumSgprs: 36
; NumVgprs: 38
; ScratchSize: 16
; MemoryBound: 0
; FloatMode: 240
; IeeeMode: 1
; LDSByteSize: 0 bytes/workgroup (compile time only)
; SGPRBlocks: 4
; VGPRBlocks: 4
; NumSGPRsForWavesPerEU: 36
; NumVGPRsForWavesPerEU: 38
; Occupancy: 16
; WaveLimiterHint : 1
; COMPUTE_PGM_RSRC2:SCRATCH_EN: 1
; COMPUTE_PGM_RSRC2:USER_SGPR: 15
; COMPUTE_PGM_RSRC2:TRAP_HANDLER: 0
; COMPUTE_PGM_RSRC2:TGID_X_EN: 1
; COMPUTE_PGM_RSRC2:TGID_Y_EN: 0
; COMPUTE_PGM_RSRC2:TGID_Z_EN: 0
; COMPUTE_PGM_RSRC2:TIDIG_COMP_CNT: 0
	.section	.text._ZL9mul_mat_fIfLi32ELi11ELi2ELb1EEvPKT_PKfPKiPfiiiiiiiiiiiiiiii,"axG",@progbits,_ZL9mul_mat_fIfLi32ELi11ELi2ELb1EEvPKT_PKfPKiPfiiiiiiiiiiiiiiii,comdat
	.globl	_ZL9mul_mat_fIfLi32ELi11ELi2ELb1EEvPKT_PKfPKiPfiiiiiiiiiiiiiiii ; -- Begin function _ZL9mul_mat_fIfLi32ELi11ELi2ELb1EEvPKT_PKfPKiPfiiiiiiiiiiiiiiii
	.p2align	8
	.type	_ZL9mul_mat_fIfLi32ELi11ELi2ELb1EEvPKT_PKfPKiPfiiiiiiiiiiiiiiii,@function
_ZL9mul_mat_fIfLi32ELi11ELi2ELb1EEvPKT_PKfPKiPfiiiiiiiiiiiiiiii: ; @_ZL9mul_mat_fIfLi32ELi11ELi2ELb1EEvPKT_PKfPKiPfiiiiiiiiiiiiiiii
; %bb.0:
	s_add_u32 s8, s0, 0x60
	s_addc_u32 s9, s1, 0
	s_getpc_b64 s[0:1]
	s_add_u32 s0, s0, __FUNCTION__._ZL9mul_mat_fIfLi32ELi11ELi1ELb1EEvPKT_PKfPKiPfiiiiiiiiiiiiiiii@rel32@lo+4
	s_addc_u32 s1, s1, __FUNCTION__._ZL9mul_mat_fIfLi32ELi11ELi1ELb1EEvPKT_PKfPKiPfiiiiiiiiiiiiiiii@rel32@hi+12
	v_dual_mov_b32 v0, 59 :: v_dual_mov_b32 v1, s0
	v_mov_b32_e32 v2, s1
	s_mov_b32 s32, 0
	s_getpc_b64 s[2:3]
	s_add_u32 s2, s2, _ZL14no_device_codePKciS0_iS0_@rel32@lo+4
	s_addc_u32 s3, s3, _ZL14no_device_codePKciS0_iS0_@rel32@hi+12
	s_delay_alu instid0(SALU_CYCLE_1)
	s_swappc_b64 s[30:31], s[2:3]
	.section	.rodata,"a",@progbits
	.p2align	6, 0x0
	.amdhsa_kernel _ZL9mul_mat_fIfLi32ELi11ELi2ELb1EEvPKT_PKfPKiPfiiiiiiiiiiiiiiii
		.amdhsa_group_segment_fixed_size 0
		.amdhsa_private_segment_fixed_size 16
		.amdhsa_kernarg_size 352
		.amdhsa_user_sgpr_count 15
		.amdhsa_user_sgpr_dispatch_ptr 0
		.amdhsa_user_sgpr_queue_ptr 0
		.amdhsa_user_sgpr_kernarg_segment_ptr 1
		.amdhsa_user_sgpr_dispatch_id 0
		.amdhsa_user_sgpr_private_segment_size 0
		.amdhsa_wavefront_size32 1
		.amdhsa_uses_dynamic_stack 0
		.amdhsa_enable_private_segment 1
		.amdhsa_system_sgpr_workgroup_id_x 1
		.amdhsa_system_sgpr_workgroup_id_y 0
		.amdhsa_system_sgpr_workgroup_id_z 0
		.amdhsa_system_sgpr_workgroup_info 0
		.amdhsa_system_vgpr_workitem_id 0
		.amdhsa_next_free_vgpr 38
		.amdhsa_next_free_sgpr 34
		.amdhsa_reserve_vcc 1
		.amdhsa_float_round_mode_32 0
		.amdhsa_float_round_mode_16_64 0
		.amdhsa_float_denorm_mode_32 3
		.amdhsa_float_denorm_mode_16_64 3
		.amdhsa_dx10_clamp 1
		.amdhsa_ieee_mode 1
		.amdhsa_fp16_overflow 0
		.amdhsa_workgroup_processor_mode 1
		.amdhsa_memory_ordered 1
		.amdhsa_forward_progress 0
		.amdhsa_shared_vgpr_count 0
		.amdhsa_exception_fp_ieee_invalid_op 0
		.amdhsa_exception_fp_denorm_src 0
		.amdhsa_exception_fp_ieee_div_zero 0
		.amdhsa_exception_fp_ieee_overflow 0
		.amdhsa_exception_fp_ieee_underflow 0
		.amdhsa_exception_fp_ieee_inexact 0
		.amdhsa_exception_int_div_zero 0
	.end_amdhsa_kernel
	.section	.text._ZL9mul_mat_fIfLi32ELi11ELi2ELb1EEvPKT_PKfPKiPfiiiiiiiiiiiiiiii,"axG",@progbits,_ZL9mul_mat_fIfLi32ELi11ELi2ELb1EEvPKT_PKfPKiPfiiiiiiiiiiiiiiii,comdat
.Lfunc_end7:
	.size	_ZL9mul_mat_fIfLi32ELi11ELi2ELb1EEvPKT_PKfPKiPfiiiiiiiiiiiiiiii, .Lfunc_end7-_ZL9mul_mat_fIfLi32ELi11ELi2ELb1EEvPKT_PKfPKiPfiiiiiiiiiiiiiiii
                                        ; -- End function
	.section	.AMDGPU.csdata,"",@progbits
; Kernel info:
; codeLenInByte = 76
; NumSgprs: 36
; NumVgprs: 38
; ScratchSize: 16
; MemoryBound: 0
; FloatMode: 240
; IeeeMode: 1
; LDSByteSize: 0 bytes/workgroup (compile time only)
; SGPRBlocks: 4
; VGPRBlocks: 4
; NumSGPRsForWavesPerEU: 36
; NumVGPRsForWavesPerEU: 38
; Occupancy: 16
; WaveLimiterHint : 1
; COMPUTE_PGM_RSRC2:SCRATCH_EN: 1
; COMPUTE_PGM_RSRC2:USER_SGPR: 15
; COMPUTE_PGM_RSRC2:TRAP_HANDLER: 0
; COMPUTE_PGM_RSRC2:TGID_X_EN: 1
; COMPUTE_PGM_RSRC2:TGID_Y_EN: 0
; COMPUTE_PGM_RSRC2:TGID_Z_EN: 0
; COMPUTE_PGM_RSRC2:TIDIG_COMP_CNT: 0
	.section	.text._ZL9mul_mat_fIfLi32ELi11ELi2ELb0EEvPKT_PKfPKiPfiiiiiiiiiiiiiiii,"axG",@progbits,_ZL9mul_mat_fIfLi32ELi11ELi2ELb0EEvPKT_PKfPKiPfiiiiiiiiiiiiiiii,comdat
	.globl	_ZL9mul_mat_fIfLi32ELi11ELi2ELb0EEvPKT_PKfPKiPfiiiiiiiiiiiiiiii ; -- Begin function _ZL9mul_mat_fIfLi32ELi11ELi2ELb0EEvPKT_PKfPKiPfiiiiiiiiiiiiiiii
	.p2align	8
	.type	_ZL9mul_mat_fIfLi32ELi11ELi2ELb0EEvPKT_PKfPKiPfiiiiiiiiiiiiiiii,@function
_ZL9mul_mat_fIfLi32ELi11ELi2ELb0EEvPKT_PKfPKiPfiiiiiiiiiiiiiiii: ; @_ZL9mul_mat_fIfLi32ELi11ELi2ELb0EEvPKT_PKfPKiPfiiiiiiiiiiiiiiii
; %bb.0:
	s_add_u32 s8, s0, 0x60
	s_addc_u32 s9, s1, 0
	s_getpc_b64 s[0:1]
	s_add_u32 s0, s0, __FUNCTION__._ZL9mul_mat_fIfLi32ELi11ELi1ELb1EEvPKT_PKfPKiPfiiiiiiiiiiiiiiii@rel32@lo+4
	s_addc_u32 s1, s1, __FUNCTION__._ZL9mul_mat_fIfLi32ELi11ELi1ELb1EEvPKT_PKfPKiPfiiiiiiiiiiiiiiii@rel32@hi+12
	v_dual_mov_b32 v0, 59 :: v_dual_mov_b32 v1, s0
	v_mov_b32_e32 v2, s1
	s_mov_b32 s32, 0
	s_getpc_b64 s[2:3]
	s_add_u32 s2, s2, _ZL14no_device_codePKciS0_iS0_@rel32@lo+4
	s_addc_u32 s3, s3, _ZL14no_device_codePKciS0_iS0_@rel32@hi+12
	s_delay_alu instid0(SALU_CYCLE_1)
	s_swappc_b64 s[30:31], s[2:3]
	.section	.rodata,"a",@progbits
	.p2align	6, 0x0
	.amdhsa_kernel _ZL9mul_mat_fIfLi32ELi11ELi2ELb0EEvPKT_PKfPKiPfiiiiiiiiiiiiiiii
		.amdhsa_group_segment_fixed_size 0
		.amdhsa_private_segment_fixed_size 16
		.amdhsa_kernarg_size 352
		.amdhsa_user_sgpr_count 15
		.amdhsa_user_sgpr_dispatch_ptr 0
		.amdhsa_user_sgpr_queue_ptr 0
		.amdhsa_user_sgpr_kernarg_segment_ptr 1
		.amdhsa_user_sgpr_dispatch_id 0
		.amdhsa_user_sgpr_private_segment_size 0
		.amdhsa_wavefront_size32 1
		.amdhsa_uses_dynamic_stack 0
		.amdhsa_enable_private_segment 1
		.amdhsa_system_sgpr_workgroup_id_x 1
		.amdhsa_system_sgpr_workgroup_id_y 0
		.amdhsa_system_sgpr_workgroup_id_z 0
		.amdhsa_system_sgpr_workgroup_info 0
		.amdhsa_system_vgpr_workitem_id 0
		.amdhsa_next_free_vgpr 38
		.amdhsa_next_free_sgpr 34
		.amdhsa_reserve_vcc 1
		.amdhsa_float_round_mode_32 0
		.amdhsa_float_round_mode_16_64 0
		.amdhsa_float_denorm_mode_32 3
		.amdhsa_float_denorm_mode_16_64 3
		.amdhsa_dx10_clamp 1
		.amdhsa_ieee_mode 1
		.amdhsa_fp16_overflow 0
		.amdhsa_workgroup_processor_mode 1
		.amdhsa_memory_ordered 1
		.amdhsa_forward_progress 0
		.amdhsa_shared_vgpr_count 0
		.amdhsa_exception_fp_ieee_invalid_op 0
		.amdhsa_exception_fp_denorm_src 0
		.amdhsa_exception_fp_ieee_div_zero 0
		.amdhsa_exception_fp_ieee_overflow 0
		.amdhsa_exception_fp_ieee_underflow 0
		.amdhsa_exception_fp_ieee_inexact 0
		.amdhsa_exception_int_div_zero 0
	.end_amdhsa_kernel
	.section	.text._ZL9mul_mat_fIfLi32ELi11ELi2ELb0EEvPKT_PKfPKiPfiiiiiiiiiiiiiiii,"axG",@progbits,_ZL9mul_mat_fIfLi32ELi11ELi2ELb0EEvPKT_PKfPKiPfiiiiiiiiiiiiiiii,comdat
.Lfunc_end8:
	.size	_ZL9mul_mat_fIfLi32ELi11ELi2ELb0EEvPKT_PKfPKiPfiiiiiiiiiiiiiiii, .Lfunc_end8-_ZL9mul_mat_fIfLi32ELi11ELi2ELb0EEvPKT_PKfPKiPfiiiiiiiiiiiiiiii
                                        ; -- End function
	.section	.AMDGPU.csdata,"",@progbits
; Kernel info:
; codeLenInByte = 76
; NumSgprs: 36
; NumVgprs: 38
; ScratchSize: 16
; MemoryBound: 0
; FloatMode: 240
; IeeeMode: 1
; LDSByteSize: 0 bytes/workgroup (compile time only)
; SGPRBlocks: 4
; VGPRBlocks: 4
; NumSGPRsForWavesPerEU: 36
; NumVGPRsForWavesPerEU: 38
; Occupancy: 16
; WaveLimiterHint : 1
; COMPUTE_PGM_RSRC2:SCRATCH_EN: 1
; COMPUTE_PGM_RSRC2:USER_SGPR: 15
; COMPUTE_PGM_RSRC2:TRAP_HANDLER: 0
; COMPUTE_PGM_RSRC2:TGID_X_EN: 1
; COMPUTE_PGM_RSRC2:TGID_Y_EN: 0
; COMPUTE_PGM_RSRC2:TGID_Z_EN: 0
; COMPUTE_PGM_RSRC2:TIDIG_COMP_CNT: 0
	.section	.text._ZL13mul_mat_f_idsIfLi32ELi11ELi3EEvPKT_PKfPKiS6_S6_Pfiiiiiiiiiiiiii15HIP_vector_typeIjLj3EES9_,"axG",@progbits,_ZL13mul_mat_f_idsIfLi32ELi11ELi3EEvPKT_PKfPKiS6_S6_Pfiiiiiiiiiiiiii15HIP_vector_typeIjLj3EES9_,comdat
	.globl	_ZL13mul_mat_f_idsIfLi32ELi11ELi3EEvPKT_PKfPKiS6_S6_Pfiiiiiiiiiiiiii15HIP_vector_typeIjLj3EES9_ ; -- Begin function _ZL13mul_mat_f_idsIfLi32ELi11ELi3EEvPKT_PKfPKiS6_S6_Pfiiiiiiiiiiiiii15HIP_vector_typeIjLj3EES9_
	.p2align	8
	.type	_ZL13mul_mat_f_idsIfLi32ELi11ELi3EEvPKT_PKfPKiS6_S6_Pfiiiiiiiiiiiiii15HIP_vector_typeIjLj3EES9_,@function
_ZL13mul_mat_f_idsIfLi32ELi11ELi3EEvPKT_PKfPKiS6_S6_Pfiiiiiiiiiiiiii15HIP_vector_typeIjLj3EES9_: ; @_ZL13mul_mat_f_idsIfLi32ELi11ELi3EEvPKT_PKfPKiS6_S6_Pfiiiiiiiiiiiiii15HIP_vector_typeIjLj3EES9_
; %bb.0:
	s_add_u32 s8, s0, 0x80
	s_addc_u32 s9, s1, 0
	s_getpc_b64 s[0:1]
	s_add_u32 s0, s0, __FUNCTION__._ZL13mul_mat_f_idsIfLi32ELi11ELi1EEvPKT_PKfPKiS6_S6_Pfiiiiiiiiiiiiii15HIP_vector_typeIjLj3EES9_@rel32@lo+4
	s_addc_u32 s1, s1, __FUNCTION__._ZL13mul_mat_f_idsIfLi32ELi11ELi1EEvPKT_PKfPKiS6_S6_Pfiiiiiiiiiiiiii15HIP_vector_typeIjLj3EES9_@rel32@hi+12
	v_dual_mov_b32 v0, 0x136 :: v_dual_mov_b32 v1, s0
	v_mov_b32_e32 v2, s1
	s_mov_b32 s32, 0
	s_getpc_b64 s[2:3]
	s_add_u32 s2, s2, _ZL14no_device_codePKciS0_iS0_@rel32@lo+4
	s_addc_u32 s3, s3, _ZL14no_device_codePKciS0_iS0_@rel32@hi+12
	s_delay_alu instid0(SALU_CYCLE_1)
	s_swappc_b64 s[30:31], s[2:3]
	.section	.rodata,"a",@progbits
	.p2align	6, 0x0
	.amdhsa_kernel _ZL13mul_mat_f_idsIfLi32ELi11ELi3EEvPKT_PKfPKiS6_S6_Pfiiiiiiiiiiiiii15HIP_vector_typeIjLj3EES9_
		.amdhsa_group_segment_fixed_size 0
		.amdhsa_private_segment_fixed_size 16
		.amdhsa_kernarg_size 384
		.amdhsa_user_sgpr_count 15
		.amdhsa_user_sgpr_dispatch_ptr 0
		.amdhsa_user_sgpr_queue_ptr 0
		.amdhsa_user_sgpr_kernarg_segment_ptr 1
		.amdhsa_user_sgpr_dispatch_id 0
		.amdhsa_user_sgpr_private_segment_size 0
		.amdhsa_wavefront_size32 1
		.amdhsa_uses_dynamic_stack 0
		.amdhsa_enable_private_segment 1
		.amdhsa_system_sgpr_workgroup_id_x 1
		.amdhsa_system_sgpr_workgroup_id_y 0
		.amdhsa_system_sgpr_workgroup_id_z 0
		.amdhsa_system_sgpr_workgroup_info 0
		.amdhsa_system_vgpr_workitem_id 0
		.amdhsa_next_free_vgpr 38
		.amdhsa_next_free_sgpr 34
		.amdhsa_reserve_vcc 1
		.amdhsa_float_round_mode_32 0
		.amdhsa_float_round_mode_16_64 0
		.amdhsa_float_denorm_mode_32 3
		.amdhsa_float_denorm_mode_16_64 3
		.amdhsa_dx10_clamp 1
		.amdhsa_ieee_mode 1
		.amdhsa_fp16_overflow 0
		.amdhsa_workgroup_processor_mode 1
		.amdhsa_memory_ordered 1
		.amdhsa_forward_progress 0
		.amdhsa_shared_vgpr_count 0
		.amdhsa_exception_fp_ieee_invalid_op 0
		.amdhsa_exception_fp_denorm_src 0
		.amdhsa_exception_fp_ieee_div_zero 0
		.amdhsa_exception_fp_ieee_overflow 0
		.amdhsa_exception_fp_ieee_underflow 0
		.amdhsa_exception_fp_ieee_inexact 0
		.amdhsa_exception_int_div_zero 0
	.end_amdhsa_kernel
	.section	.text._ZL13mul_mat_f_idsIfLi32ELi11ELi3EEvPKT_PKfPKiS6_S6_Pfiiiiiiiiiiiiii15HIP_vector_typeIjLj3EES9_,"axG",@progbits,_ZL13mul_mat_f_idsIfLi32ELi11ELi3EEvPKT_PKfPKiS6_S6_Pfiiiiiiiiiiiiii15HIP_vector_typeIjLj3EES9_,comdat
.Lfunc_end9:
	.size	_ZL13mul_mat_f_idsIfLi32ELi11ELi3EEvPKT_PKfPKiS6_S6_Pfiiiiiiiiiiiiii15HIP_vector_typeIjLj3EES9_, .Lfunc_end9-_ZL13mul_mat_f_idsIfLi32ELi11ELi3EEvPKT_PKfPKiS6_S6_Pfiiiiiiiiiiiiii15HIP_vector_typeIjLj3EES9_
                                        ; -- End function
	.section	.AMDGPU.csdata,"",@progbits
; Kernel info:
; codeLenInByte = 80
; NumSgprs: 36
; NumVgprs: 38
; ScratchSize: 16
; MemoryBound: 0
; FloatMode: 240
; IeeeMode: 1
; LDSByteSize: 0 bytes/workgroup (compile time only)
; SGPRBlocks: 4
; VGPRBlocks: 4
; NumSGPRsForWavesPerEU: 36
; NumVGPRsForWavesPerEU: 38
; Occupancy: 16
; WaveLimiterHint : 1
; COMPUTE_PGM_RSRC2:SCRATCH_EN: 1
; COMPUTE_PGM_RSRC2:USER_SGPR: 15
; COMPUTE_PGM_RSRC2:TRAP_HANDLER: 0
; COMPUTE_PGM_RSRC2:TGID_X_EN: 1
; COMPUTE_PGM_RSRC2:TGID_Y_EN: 0
; COMPUTE_PGM_RSRC2:TGID_Z_EN: 0
; COMPUTE_PGM_RSRC2:TIDIG_COMP_CNT: 0
	.section	.text._ZL9mul_mat_fIfLi32ELi11ELi3ELb1EEvPKT_PKfPKiPfiiiiiiiiiiiiiiii,"axG",@progbits,_ZL9mul_mat_fIfLi32ELi11ELi3ELb1EEvPKT_PKfPKiPfiiiiiiiiiiiiiiii,comdat
	.globl	_ZL9mul_mat_fIfLi32ELi11ELi3ELb1EEvPKT_PKfPKiPfiiiiiiiiiiiiiiii ; -- Begin function _ZL9mul_mat_fIfLi32ELi11ELi3ELb1EEvPKT_PKfPKiPfiiiiiiiiiiiiiiii
	.p2align	8
	.type	_ZL9mul_mat_fIfLi32ELi11ELi3ELb1EEvPKT_PKfPKiPfiiiiiiiiiiiiiiii,@function
_ZL9mul_mat_fIfLi32ELi11ELi3ELb1EEvPKT_PKfPKiPfiiiiiiiiiiiiiiii: ; @_ZL9mul_mat_fIfLi32ELi11ELi3ELb1EEvPKT_PKfPKiPfiiiiiiiiiiiiiiii
; %bb.0:
	s_add_u32 s8, s0, 0x60
	s_addc_u32 s9, s1, 0
	s_getpc_b64 s[0:1]
	s_add_u32 s0, s0, __FUNCTION__._ZL9mul_mat_fIfLi32ELi11ELi1ELb1EEvPKT_PKfPKiPfiiiiiiiiiiiiiiii@rel32@lo+4
	s_addc_u32 s1, s1, __FUNCTION__._ZL9mul_mat_fIfLi32ELi11ELi1ELb1EEvPKT_PKfPKiPfiiiiiiiiiiiiiiii@rel32@hi+12
	v_dual_mov_b32 v0, 59 :: v_dual_mov_b32 v1, s0
	v_mov_b32_e32 v2, s1
	s_mov_b32 s32, 0
	s_getpc_b64 s[2:3]
	s_add_u32 s2, s2, _ZL14no_device_codePKciS0_iS0_@rel32@lo+4
	s_addc_u32 s3, s3, _ZL14no_device_codePKciS0_iS0_@rel32@hi+12
	s_delay_alu instid0(SALU_CYCLE_1)
	s_swappc_b64 s[30:31], s[2:3]
	.section	.rodata,"a",@progbits
	.p2align	6, 0x0
	.amdhsa_kernel _ZL9mul_mat_fIfLi32ELi11ELi3ELb1EEvPKT_PKfPKiPfiiiiiiiiiiiiiiii
		.amdhsa_group_segment_fixed_size 0
		.amdhsa_private_segment_fixed_size 16
		.amdhsa_kernarg_size 352
		.amdhsa_user_sgpr_count 15
		.amdhsa_user_sgpr_dispatch_ptr 0
		.amdhsa_user_sgpr_queue_ptr 0
		.amdhsa_user_sgpr_kernarg_segment_ptr 1
		.amdhsa_user_sgpr_dispatch_id 0
		.amdhsa_user_sgpr_private_segment_size 0
		.amdhsa_wavefront_size32 1
		.amdhsa_uses_dynamic_stack 0
		.amdhsa_enable_private_segment 1
		.amdhsa_system_sgpr_workgroup_id_x 1
		.amdhsa_system_sgpr_workgroup_id_y 0
		.amdhsa_system_sgpr_workgroup_id_z 0
		.amdhsa_system_sgpr_workgroup_info 0
		.amdhsa_system_vgpr_workitem_id 0
		.amdhsa_next_free_vgpr 38
		.amdhsa_next_free_sgpr 34
		.amdhsa_reserve_vcc 1
		.amdhsa_float_round_mode_32 0
		.amdhsa_float_round_mode_16_64 0
		.amdhsa_float_denorm_mode_32 3
		.amdhsa_float_denorm_mode_16_64 3
		.amdhsa_dx10_clamp 1
		.amdhsa_ieee_mode 1
		.amdhsa_fp16_overflow 0
		.amdhsa_workgroup_processor_mode 1
		.amdhsa_memory_ordered 1
		.amdhsa_forward_progress 0
		.amdhsa_shared_vgpr_count 0
		.amdhsa_exception_fp_ieee_invalid_op 0
		.amdhsa_exception_fp_denorm_src 0
		.amdhsa_exception_fp_ieee_div_zero 0
		.amdhsa_exception_fp_ieee_overflow 0
		.amdhsa_exception_fp_ieee_underflow 0
		.amdhsa_exception_fp_ieee_inexact 0
		.amdhsa_exception_int_div_zero 0
	.end_amdhsa_kernel
	.section	.text._ZL9mul_mat_fIfLi32ELi11ELi3ELb1EEvPKT_PKfPKiPfiiiiiiiiiiiiiiii,"axG",@progbits,_ZL9mul_mat_fIfLi32ELi11ELi3ELb1EEvPKT_PKfPKiPfiiiiiiiiiiiiiiii,comdat
.Lfunc_end10:
	.size	_ZL9mul_mat_fIfLi32ELi11ELi3ELb1EEvPKT_PKfPKiPfiiiiiiiiiiiiiiii, .Lfunc_end10-_ZL9mul_mat_fIfLi32ELi11ELi3ELb1EEvPKT_PKfPKiPfiiiiiiiiiiiiiiii
                                        ; -- End function
	.section	.AMDGPU.csdata,"",@progbits
; Kernel info:
; codeLenInByte = 76
; NumSgprs: 36
; NumVgprs: 38
; ScratchSize: 16
; MemoryBound: 0
; FloatMode: 240
; IeeeMode: 1
; LDSByteSize: 0 bytes/workgroup (compile time only)
; SGPRBlocks: 4
; VGPRBlocks: 4
; NumSGPRsForWavesPerEU: 36
; NumVGPRsForWavesPerEU: 38
; Occupancy: 16
; WaveLimiterHint : 1
; COMPUTE_PGM_RSRC2:SCRATCH_EN: 1
; COMPUTE_PGM_RSRC2:USER_SGPR: 15
; COMPUTE_PGM_RSRC2:TRAP_HANDLER: 0
; COMPUTE_PGM_RSRC2:TGID_X_EN: 1
; COMPUTE_PGM_RSRC2:TGID_Y_EN: 0
; COMPUTE_PGM_RSRC2:TGID_Z_EN: 0
; COMPUTE_PGM_RSRC2:TIDIG_COMP_CNT: 0
	.section	.text._ZL9mul_mat_fIfLi32ELi11ELi3ELb0EEvPKT_PKfPKiPfiiiiiiiiiiiiiiii,"axG",@progbits,_ZL9mul_mat_fIfLi32ELi11ELi3ELb0EEvPKT_PKfPKiPfiiiiiiiiiiiiiiii,comdat
	.globl	_ZL9mul_mat_fIfLi32ELi11ELi3ELb0EEvPKT_PKfPKiPfiiiiiiiiiiiiiiii ; -- Begin function _ZL9mul_mat_fIfLi32ELi11ELi3ELb0EEvPKT_PKfPKiPfiiiiiiiiiiiiiiii
	.p2align	8
	.type	_ZL9mul_mat_fIfLi32ELi11ELi3ELb0EEvPKT_PKfPKiPfiiiiiiiiiiiiiiii,@function
_ZL9mul_mat_fIfLi32ELi11ELi3ELb0EEvPKT_PKfPKiPfiiiiiiiiiiiiiiii: ; @_ZL9mul_mat_fIfLi32ELi11ELi3ELb0EEvPKT_PKfPKiPfiiiiiiiiiiiiiiii
; %bb.0:
	s_add_u32 s8, s0, 0x60
	s_addc_u32 s9, s1, 0
	s_getpc_b64 s[0:1]
	s_add_u32 s0, s0, __FUNCTION__._ZL9mul_mat_fIfLi32ELi11ELi1ELb1EEvPKT_PKfPKiPfiiiiiiiiiiiiiiii@rel32@lo+4
	s_addc_u32 s1, s1, __FUNCTION__._ZL9mul_mat_fIfLi32ELi11ELi1ELb1EEvPKT_PKfPKiPfiiiiiiiiiiiiiiii@rel32@hi+12
	v_dual_mov_b32 v0, 59 :: v_dual_mov_b32 v1, s0
	v_mov_b32_e32 v2, s1
	s_mov_b32 s32, 0
	s_getpc_b64 s[2:3]
	s_add_u32 s2, s2, _ZL14no_device_codePKciS0_iS0_@rel32@lo+4
	s_addc_u32 s3, s3, _ZL14no_device_codePKciS0_iS0_@rel32@hi+12
	s_delay_alu instid0(SALU_CYCLE_1)
	s_swappc_b64 s[30:31], s[2:3]
	.section	.rodata,"a",@progbits
	.p2align	6, 0x0
	.amdhsa_kernel _ZL9mul_mat_fIfLi32ELi11ELi3ELb0EEvPKT_PKfPKiPfiiiiiiiiiiiiiiii
		.amdhsa_group_segment_fixed_size 0
		.amdhsa_private_segment_fixed_size 16
		.amdhsa_kernarg_size 352
		.amdhsa_user_sgpr_count 15
		.amdhsa_user_sgpr_dispatch_ptr 0
		.amdhsa_user_sgpr_queue_ptr 0
		.amdhsa_user_sgpr_kernarg_segment_ptr 1
		.amdhsa_user_sgpr_dispatch_id 0
		.amdhsa_user_sgpr_private_segment_size 0
		.amdhsa_wavefront_size32 1
		.amdhsa_uses_dynamic_stack 0
		.amdhsa_enable_private_segment 1
		.amdhsa_system_sgpr_workgroup_id_x 1
		.amdhsa_system_sgpr_workgroup_id_y 0
		.amdhsa_system_sgpr_workgroup_id_z 0
		.amdhsa_system_sgpr_workgroup_info 0
		.amdhsa_system_vgpr_workitem_id 0
		.amdhsa_next_free_vgpr 38
		.amdhsa_next_free_sgpr 34
		.amdhsa_reserve_vcc 1
		.amdhsa_float_round_mode_32 0
		.amdhsa_float_round_mode_16_64 0
		.amdhsa_float_denorm_mode_32 3
		.amdhsa_float_denorm_mode_16_64 3
		.amdhsa_dx10_clamp 1
		.amdhsa_ieee_mode 1
		.amdhsa_fp16_overflow 0
		.amdhsa_workgroup_processor_mode 1
		.amdhsa_memory_ordered 1
		.amdhsa_forward_progress 0
		.amdhsa_shared_vgpr_count 0
		.amdhsa_exception_fp_ieee_invalid_op 0
		.amdhsa_exception_fp_denorm_src 0
		.amdhsa_exception_fp_ieee_div_zero 0
		.amdhsa_exception_fp_ieee_overflow 0
		.amdhsa_exception_fp_ieee_underflow 0
		.amdhsa_exception_fp_ieee_inexact 0
		.amdhsa_exception_int_div_zero 0
	.end_amdhsa_kernel
	.section	.text._ZL9mul_mat_fIfLi32ELi11ELi3ELb0EEvPKT_PKfPKiPfiiiiiiiiiiiiiiii,"axG",@progbits,_ZL9mul_mat_fIfLi32ELi11ELi3ELb0EEvPKT_PKfPKiPfiiiiiiiiiiiiiiii,comdat
.Lfunc_end11:
	.size	_ZL9mul_mat_fIfLi32ELi11ELi3ELb0EEvPKT_PKfPKiPfiiiiiiiiiiiiiiii, .Lfunc_end11-_ZL9mul_mat_fIfLi32ELi11ELi3ELb0EEvPKT_PKfPKiPfiiiiiiiiiiiiiiii
                                        ; -- End function
	.section	.AMDGPU.csdata,"",@progbits
; Kernel info:
; codeLenInByte = 76
; NumSgprs: 36
; NumVgprs: 38
; ScratchSize: 16
; MemoryBound: 0
; FloatMode: 240
; IeeeMode: 1
; LDSByteSize: 0 bytes/workgroup (compile time only)
; SGPRBlocks: 4
; VGPRBlocks: 4
; NumSGPRsForWavesPerEU: 36
; NumVGPRsForWavesPerEU: 38
; Occupancy: 16
; WaveLimiterHint : 1
; COMPUTE_PGM_RSRC2:SCRATCH_EN: 1
; COMPUTE_PGM_RSRC2:USER_SGPR: 15
; COMPUTE_PGM_RSRC2:TRAP_HANDLER: 0
; COMPUTE_PGM_RSRC2:TGID_X_EN: 1
; COMPUTE_PGM_RSRC2:TGID_Y_EN: 0
; COMPUTE_PGM_RSRC2:TGID_Z_EN: 0
; COMPUTE_PGM_RSRC2:TIDIG_COMP_CNT: 0
	.section	.text._ZL13mul_mat_f_idsIfLi32ELi11ELi4EEvPKT_PKfPKiS6_S6_Pfiiiiiiiiiiiiii15HIP_vector_typeIjLj3EES9_,"axG",@progbits,_ZL13mul_mat_f_idsIfLi32ELi11ELi4EEvPKT_PKfPKiS6_S6_Pfiiiiiiiiiiiiii15HIP_vector_typeIjLj3EES9_,comdat
	.globl	_ZL13mul_mat_f_idsIfLi32ELi11ELi4EEvPKT_PKfPKiS6_S6_Pfiiiiiiiiiiiiii15HIP_vector_typeIjLj3EES9_ ; -- Begin function _ZL13mul_mat_f_idsIfLi32ELi11ELi4EEvPKT_PKfPKiS6_S6_Pfiiiiiiiiiiiiii15HIP_vector_typeIjLj3EES9_
	.p2align	8
	.type	_ZL13mul_mat_f_idsIfLi32ELi11ELi4EEvPKT_PKfPKiS6_S6_Pfiiiiiiiiiiiiii15HIP_vector_typeIjLj3EES9_,@function
_ZL13mul_mat_f_idsIfLi32ELi11ELi4EEvPKT_PKfPKiS6_S6_Pfiiiiiiiiiiiiii15HIP_vector_typeIjLj3EES9_: ; @_ZL13mul_mat_f_idsIfLi32ELi11ELi4EEvPKT_PKfPKiS6_S6_Pfiiiiiiiiiiiiii15HIP_vector_typeIjLj3EES9_
; %bb.0:
	s_add_u32 s8, s0, 0x80
	s_addc_u32 s9, s1, 0
	s_getpc_b64 s[0:1]
	s_add_u32 s0, s0, __FUNCTION__._ZL13mul_mat_f_idsIfLi32ELi11ELi1EEvPKT_PKfPKiS6_S6_Pfiiiiiiiiiiiiii15HIP_vector_typeIjLj3EES9_@rel32@lo+4
	s_addc_u32 s1, s1, __FUNCTION__._ZL13mul_mat_f_idsIfLi32ELi11ELi1EEvPKT_PKfPKiS6_S6_Pfiiiiiiiiiiiiii15HIP_vector_typeIjLj3EES9_@rel32@hi+12
	v_dual_mov_b32 v0, 0x136 :: v_dual_mov_b32 v1, s0
	v_mov_b32_e32 v2, s1
	s_mov_b32 s32, 0
	s_getpc_b64 s[2:3]
	s_add_u32 s2, s2, _ZL14no_device_codePKciS0_iS0_@rel32@lo+4
	s_addc_u32 s3, s3, _ZL14no_device_codePKciS0_iS0_@rel32@hi+12
	s_delay_alu instid0(SALU_CYCLE_1)
	s_swappc_b64 s[30:31], s[2:3]
	.section	.rodata,"a",@progbits
	.p2align	6, 0x0
	.amdhsa_kernel _ZL13mul_mat_f_idsIfLi32ELi11ELi4EEvPKT_PKfPKiS6_S6_Pfiiiiiiiiiiiiii15HIP_vector_typeIjLj3EES9_
		.amdhsa_group_segment_fixed_size 0
		.amdhsa_private_segment_fixed_size 16
		.amdhsa_kernarg_size 384
		.amdhsa_user_sgpr_count 15
		.amdhsa_user_sgpr_dispatch_ptr 0
		.amdhsa_user_sgpr_queue_ptr 0
		.amdhsa_user_sgpr_kernarg_segment_ptr 1
		.amdhsa_user_sgpr_dispatch_id 0
		.amdhsa_user_sgpr_private_segment_size 0
		.amdhsa_wavefront_size32 1
		.amdhsa_uses_dynamic_stack 0
		.amdhsa_enable_private_segment 1
		.amdhsa_system_sgpr_workgroup_id_x 1
		.amdhsa_system_sgpr_workgroup_id_y 0
		.amdhsa_system_sgpr_workgroup_id_z 0
		.amdhsa_system_sgpr_workgroup_info 0
		.amdhsa_system_vgpr_workitem_id 0
		.amdhsa_next_free_vgpr 38
		.amdhsa_next_free_sgpr 34
		.amdhsa_reserve_vcc 1
		.amdhsa_float_round_mode_32 0
		.amdhsa_float_round_mode_16_64 0
		.amdhsa_float_denorm_mode_32 3
		.amdhsa_float_denorm_mode_16_64 3
		.amdhsa_dx10_clamp 1
		.amdhsa_ieee_mode 1
		.amdhsa_fp16_overflow 0
		.amdhsa_workgroup_processor_mode 1
		.amdhsa_memory_ordered 1
		.amdhsa_forward_progress 0
		.amdhsa_shared_vgpr_count 0
		.amdhsa_exception_fp_ieee_invalid_op 0
		.amdhsa_exception_fp_denorm_src 0
		.amdhsa_exception_fp_ieee_div_zero 0
		.amdhsa_exception_fp_ieee_overflow 0
		.amdhsa_exception_fp_ieee_underflow 0
		.amdhsa_exception_fp_ieee_inexact 0
		.amdhsa_exception_int_div_zero 0
	.end_amdhsa_kernel
	.section	.text._ZL13mul_mat_f_idsIfLi32ELi11ELi4EEvPKT_PKfPKiS6_S6_Pfiiiiiiiiiiiiii15HIP_vector_typeIjLj3EES9_,"axG",@progbits,_ZL13mul_mat_f_idsIfLi32ELi11ELi4EEvPKT_PKfPKiS6_S6_Pfiiiiiiiiiiiiii15HIP_vector_typeIjLj3EES9_,comdat
.Lfunc_end12:
	.size	_ZL13mul_mat_f_idsIfLi32ELi11ELi4EEvPKT_PKfPKiS6_S6_Pfiiiiiiiiiiiiii15HIP_vector_typeIjLj3EES9_, .Lfunc_end12-_ZL13mul_mat_f_idsIfLi32ELi11ELi4EEvPKT_PKfPKiS6_S6_Pfiiiiiiiiiiiiii15HIP_vector_typeIjLj3EES9_
                                        ; -- End function
	.section	.AMDGPU.csdata,"",@progbits
; Kernel info:
; codeLenInByte = 80
; NumSgprs: 36
; NumVgprs: 38
; ScratchSize: 16
; MemoryBound: 0
; FloatMode: 240
; IeeeMode: 1
; LDSByteSize: 0 bytes/workgroup (compile time only)
; SGPRBlocks: 4
; VGPRBlocks: 4
; NumSGPRsForWavesPerEU: 36
; NumVGPRsForWavesPerEU: 38
; Occupancy: 16
; WaveLimiterHint : 1
; COMPUTE_PGM_RSRC2:SCRATCH_EN: 1
; COMPUTE_PGM_RSRC2:USER_SGPR: 15
; COMPUTE_PGM_RSRC2:TRAP_HANDLER: 0
; COMPUTE_PGM_RSRC2:TGID_X_EN: 1
; COMPUTE_PGM_RSRC2:TGID_Y_EN: 0
; COMPUTE_PGM_RSRC2:TGID_Z_EN: 0
; COMPUTE_PGM_RSRC2:TIDIG_COMP_CNT: 0
	.section	.text._ZL9mul_mat_fIfLi32ELi11ELi4ELb1EEvPKT_PKfPKiPfiiiiiiiiiiiiiiii,"axG",@progbits,_ZL9mul_mat_fIfLi32ELi11ELi4ELb1EEvPKT_PKfPKiPfiiiiiiiiiiiiiiii,comdat
	.globl	_ZL9mul_mat_fIfLi32ELi11ELi4ELb1EEvPKT_PKfPKiPfiiiiiiiiiiiiiiii ; -- Begin function _ZL9mul_mat_fIfLi32ELi11ELi4ELb1EEvPKT_PKfPKiPfiiiiiiiiiiiiiiii
	.p2align	8
	.type	_ZL9mul_mat_fIfLi32ELi11ELi4ELb1EEvPKT_PKfPKiPfiiiiiiiiiiiiiiii,@function
_ZL9mul_mat_fIfLi32ELi11ELi4ELb1EEvPKT_PKfPKiPfiiiiiiiiiiiiiiii: ; @_ZL9mul_mat_fIfLi32ELi11ELi4ELb1EEvPKT_PKfPKiPfiiiiiiiiiiiiiiii
; %bb.0:
	s_add_u32 s8, s0, 0x60
	s_addc_u32 s9, s1, 0
	s_getpc_b64 s[0:1]
	s_add_u32 s0, s0, __FUNCTION__._ZL9mul_mat_fIfLi32ELi11ELi1ELb1EEvPKT_PKfPKiPfiiiiiiiiiiiiiiii@rel32@lo+4
	s_addc_u32 s1, s1, __FUNCTION__._ZL9mul_mat_fIfLi32ELi11ELi1ELb1EEvPKT_PKfPKiPfiiiiiiiiiiiiiiii@rel32@hi+12
	v_dual_mov_b32 v0, 59 :: v_dual_mov_b32 v1, s0
	v_mov_b32_e32 v2, s1
	s_mov_b32 s32, 0
	s_getpc_b64 s[2:3]
	s_add_u32 s2, s2, _ZL14no_device_codePKciS0_iS0_@rel32@lo+4
	s_addc_u32 s3, s3, _ZL14no_device_codePKciS0_iS0_@rel32@hi+12
	s_delay_alu instid0(SALU_CYCLE_1)
	s_swappc_b64 s[30:31], s[2:3]
	.section	.rodata,"a",@progbits
	.p2align	6, 0x0
	.amdhsa_kernel _ZL9mul_mat_fIfLi32ELi11ELi4ELb1EEvPKT_PKfPKiPfiiiiiiiiiiiiiiii
		.amdhsa_group_segment_fixed_size 0
		.amdhsa_private_segment_fixed_size 16
		.amdhsa_kernarg_size 352
		.amdhsa_user_sgpr_count 15
		.amdhsa_user_sgpr_dispatch_ptr 0
		.amdhsa_user_sgpr_queue_ptr 0
		.amdhsa_user_sgpr_kernarg_segment_ptr 1
		.amdhsa_user_sgpr_dispatch_id 0
		.amdhsa_user_sgpr_private_segment_size 0
		.amdhsa_wavefront_size32 1
		.amdhsa_uses_dynamic_stack 0
		.amdhsa_enable_private_segment 1
		.amdhsa_system_sgpr_workgroup_id_x 1
		.amdhsa_system_sgpr_workgroup_id_y 0
		.amdhsa_system_sgpr_workgroup_id_z 0
		.amdhsa_system_sgpr_workgroup_info 0
		.amdhsa_system_vgpr_workitem_id 0
		.amdhsa_next_free_vgpr 38
		.amdhsa_next_free_sgpr 34
		.amdhsa_reserve_vcc 1
		.amdhsa_float_round_mode_32 0
		.amdhsa_float_round_mode_16_64 0
		.amdhsa_float_denorm_mode_32 3
		.amdhsa_float_denorm_mode_16_64 3
		.amdhsa_dx10_clamp 1
		.amdhsa_ieee_mode 1
		.amdhsa_fp16_overflow 0
		.amdhsa_workgroup_processor_mode 1
		.amdhsa_memory_ordered 1
		.amdhsa_forward_progress 0
		.amdhsa_shared_vgpr_count 0
		.amdhsa_exception_fp_ieee_invalid_op 0
		.amdhsa_exception_fp_denorm_src 0
		.amdhsa_exception_fp_ieee_div_zero 0
		.amdhsa_exception_fp_ieee_overflow 0
		.amdhsa_exception_fp_ieee_underflow 0
		.amdhsa_exception_fp_ieee_inexact 0
		.amdhsa_exception_int_div_zero 0
	.end_amdhsa_kernel
	.section	.text._ZL9mul_mat_fIfLi32ELi11ELi4ELb1EEvPKT_PKfPKiPfiiiiiiiiiiiiiiii,"axG",@progbits,_ZL9mul_mat_fIfLi32ELi11ELi4ELb1EEvPKT_PKfPKiPfiiiiiiiiiiiiiiii,comdat
.Lfunc_end13:
	.size	_ZL9mul_mat_fIfLi32ELi11ELi4ELb1EEvPKT_PKfPKiPfiiiiiiiiiiiiiiii, .Lfunc_end13-_ZL9mul_mat_fIfLi32ELi11ELi4ELb1EEvPKT_PKfPKiPfiiiiiiiiiiiiiiii
                                        ; -- End function
	.section	.AMDGPU.csdata,"",@progbits
; Kernel info:
; codeLenInByte = 76
; NumSgprs: 36
; NumVgprs: 38
; ScratchSize: 16
; MemoryBound: 0
; FloatMode: 240
; IeeeMode: 1
; LDSByteSize: 0 bytes/workgroup (compile time only)
; SGPRBlocks: 4
; VGPRBlocks: 4
; NumSGPRsForWavesPerEU: 36
; NumVGPRsForWavesPerEU: 38
; Occupancy: 16
; WaveLimiterHint : 1
; COMPUTE_PGM_RSRC2:SCRATCH_EN: 1
; COMPUTE_PGM_RSRC2:USER_SGPR: 15
; COMPUTE_PGM_RSRC2:TRAP_HANDLER: 0
; COMPUTE_PGM_RSRC2:TGID_X_EN: 1
; COMPUTE_PGM_RSRC2:TGID_Y_EN: 0
; COMPUTE_PGM_RSRC2:TGID_Z_EN: 0
; COMPUTE_PGM_RSRC2:TIDIG_COMP_CNT: 0
	.section	.text._ZL9mul_mat_fIfLi32ELi11ELi4ELb0EEvPKT_PKfPKiPfiiiiiiiiiiiiiiii,"axG",@progbits,_ZL9mul_mat_fIfLi32ELi11ELi4ELb0EEvPKT_PKfPKiPfiiiiiiiiiiiiiiii,comdat
	.globl	_ZL9mul_mat_fIfLi32ELi11ELi4ELb0EEvPKT_PKfPKiPfiiiiiiiiiiiiiiii ; -- Begin function _ZL9mul_mat_fIfLi32ELi11ELi4ELb0EEvPKT_PKfPKiPfiiiiiiiiiiiiiiii
	.p2align	8
	.type	_ZL9mul_mat_fIfLi32ELi11ELi4ELb0EEvPKT_PKfPKiPfiiiiiiiiiiiiiiii,@function
_ZL9mul_mat_fIfLi32ELi11ELi4ELb0EEvPKT_PKfPKiPfiiiiiiiiiiiiiiii: ; @_ZL9mul_mat_fIfLi32ELi11ELi4ELb0EEvPKT_PKfPKiPfiiiiiiiiiiiiiiii
; %bb.0:
	s_add_u32 s8, s0, 0x60
	s_addc_u32 s9, s1, 0
	s_getpc_b64 s[0:1]
	s_add_u32 s0, s0, __FUNCTION__._ZL9mul_mat_fIfLi32ELi11ELi1ELb1EEvPKT_PKfPKiPfiiiiiiiiiiiiiiii@rel32@lo+4
	s_addc_u32 s1, s1, __FUNCTION__._ZL9mul_mat_fIfLi32ELi11ELi1ELb1EEvPKT_PKfPKiPfiiiiiiiiiiiiiiii@rel32@hi+12
	v_dual_mov_b32 v0, 59 :: v_dual_mov_b32 v1, s0
	v_mov_b32_e32 v2, s1
	s_mov_b32 s32, 0
	s_getpc_b64 s[2:3]
	s_add_u32 s2, s2, _ZL14no_device_codePKciS0_iS0_@rel32@lo+4
	s_addc_u32 s3, s3, _ZL14no_device_codePKciS0_iS0_@rel32@hi+12
	s_delay_alu instid0(SALU_CYCLE_1)
	s_swappc_b64 s[30:31], s[2:3]
	.section	.rodata,"a",@progbits
	.p2align	6, 0x0
	.amdhsa_kernel _ZL9mul_mat_fIfLi32ELi11ELi4ELb0EEvPKT_PKfPKiPfiiiiiiiiiiiiiiii
		.amdhsa_group_segment_fixed_size 0
		.amdhsa_private_segment_fixed_size 16
		.amdhsa_kernarg_size 352
		.amdhsa_user_sgpr_count 15
		.amdhsa_user_sgpr_dispatch_ptr 0
		.amdhsa_user_sgpr_queue_ptr 0
		.amdhsa_user_sgpr_kernarg_segment_ptr 1
		.amdhsa_user_sgpr_dispatch_id 0
		.amdhsa_user_sgpr_private_segment_size 0
		.amdhsa_wavefront_size32 1
		.amdhsa_uses_dynamic_stack 0
		.amdhsa_enable_private_segment 1
		.amdhsa_system_sgpr_workgroup_id_x 1
		.amdhsa_system_sgpr_workgroup_id_y 0
		.amdhsa_system_sgpr_workgroup_id_z 0
		.amdhsa_system_sgpr_workgroup_info 0
		.amdhsa_system_vgpr_workitem_id 0
		.amdhsa_next_free_vgpr 38
		.amdhsa_next_free_sgpr 34
		.amdhsa_reserve_vcc 1
		.amdhsa_float_round_mode_32 0
		.amdhsa_float_round_mode_16_64 0
		.amdhsa_float_denorm_mode_32 3
		.amdhsa_float_denorm_mode_16_64 3
		.amdhsa_dx10_clamp 1
		.amdhsa_ieee_mode 1
		.amdhsa_fp16_overflow 0
		.amdhsa_workgroup_processor_mode 1
		.amdhsa_memory_ordered 1
		.amdhsa_forward_progress 0
		.amdhsa_shared_vgpr_count 0
		.amdhsa_exception_fp_ieee_invalid_op 0
		.amdhsa_exception_fp_denorm_src 0
		.amdhsa_exception_fp_ieee_div_zero 0
		.amdhsa_exception_fp_ieee_overflow 0
		.amdhsa_exception_fp_ieee_underflow 0
		.amdhsa_exception_fp_ieee_inexact 0
		.amdhsa_exception_int_div_zero 0
	.end_amdhsa_kernel
	.section	.text._ZL9mul_mat_fIfLi32ELi11ELi4ELb0EEvPKT_PKfPKiPfiiiiiiiiiiiiiiii,"axG",@progbits,_ZL9mul_mat_fIfLi32ELi11ELi4ELb0EEvPKT_PKfPKiPfiiiiiiiiiiiiiiii,comdat
.Lfunc_end14:
	.size	_ZL9mul_mat_fIfLi32ELi11ELi4ELb0EEvPKT_PKfPKiPfiiiiiiiiiiiiiiii, .Lfunc_end14-_ZL9mul_mat_fIfLi32ELi11ELi4ELb0EEvPKT_PKfPKiPfiiiiiiiiiiiiiiii
                                        ; -- End function
	.section	.AMDGPU.csdata,"",@progbits
; Kernel info:
; codeLenInByte = 76
; NumSgprs: 36
; NumVgprs: 38
; ScratchSize: 16
; MemoryBound: 0
; FloatMode: 240
; IeeeMode: 1
; LDSByteSize: 0 bytes/workgroup (compile time only)
; SGPRBlocks: 4
; VGPRBlocks: 4
; NumSGPRsForWavesPerEU: 36
; NumVGPRsForWavesPerEU: 38
; Occupancy: 16
; WaveLimiterHint : 1
; COMPUTE_PGM_RSRC2:SCRATCH_EN: 1
; COMPUTE_PGM_RSRC2:USER_SGPR: 15
; COMPUTE_PGM_RSRC2:TRAP_HANDLER: 0
; COMPUTE_PGM_RSRC2:TGID_X_EN: 1
; COMPUTE_PGM_RSRC2:TGID_Y_EN: 0
; COMPUTE_PGM_RSRC2:TGID_Z_EN: 0
; COMPUTE_PGM_RSRC2:TIDIG_COMP_CNT: 0
	.section	.text._ZL13mul_mat_f_idsIfLi32ELi11ELi5EEvPKT_PKfPKiS6_S6_Pfiiiiiiiiiiiiii15HIP_vector_typeIjLj3EES9_,"axG",@progbits,_ZL13mul_mat_f_idsIfLi32ELi11ELi5EEvPKT_PKfPKiS6_S6_Pfiiiiiiiiiiiiii15HIP_vector_typeIjLj3EES9_,comdat
	.globl	_ZL13mul_mat_f_idsIfLi32ELi11ELi5EEvPKT_PKfPKiS6_S6_Pfiiiiiiiiiiiiii15HIP_vector_typeIjLj3EES9_ ; -- Begin function _ZL13mul_mat_f_idsIfLi32ELi11ELi5EEvPKT_PKfPKiS6_S6_Pfiiiiiiiiiiiiii15HIP_vector_typeIjLj3EES9_
	.p2align	8
	.type	_ZL13mul_mat_f_idsIfLi32ELi11ELi5EEvPKT_PKfPKiS6_S6_Pfiiiiiiiiiiiiii15HIP_vector_typeIjLj3EES9_,@function
_ZL13mul_mat_f_idsIfLi32ELi11ELi5EEvPKT_PKfPKiS6_S6_Pfiiiiiiiiiiiiii15HIP_vector_typeIjLj3EES9_: ; @_ZL13mul_mat_f_idsIfLi32ELi11ELi5EEvPKT_PKfPKiS6_S6_Pfiiiiiiiiiiiiii15HIP_vector_typeIjLj3EES9_
; %bb.0:
	s_add_u32 s8, s0, 0x80
	s_addc_u32 s9, s1, 0
	s_getpc_b64 s[0:1]
	s_add_u32 s0, s0, __FUNCTION__._ZL13mul_mat_f_idsIfLi32ELi11ELi1EEvPKT_PKfPKiS6_S6_Pfiiiiiiiiiiiiii15HIP_vector_typeIjLj3EES9_@rel32@lo+4
	s_addc_u32 s1, s1, __FUNCTION__._ZL13mul_mat_f_idsIfLi32ELi11ELi1EEvPKT_PKfPKiS6_S6_Pfiiiiiiiiiiiiii15HIP_vector_typeIjLj3EES9_@rel32@hi+12
	v_dual_mov_b32 v0, 0x136 :: v_dual_mov_b32 v1, s0
	v_mov_b32_e32 v2, s1
	s_mov_b32 s32, 0
	s_getpc_b64 s[2:3]
	s_add_u32 s2, s2, _ZL14no_device_codePKciS0_iS0_@rel32@lo+4
	s_addc_u32 s3, s3, _ZL14no_device_codePKciS0_iS0_@rel32@hi+12
	s_delay_alu instid0(SALU_CYCLE_1)
	s_swappc_b64 s[30:31], s[2:3]
	.section	.rodata,"a",@progbits
	.p2align	6, 0x0
	.amdhsa_kernel _ZL13mul_mat_f_idsIfLi32ELi11ELi5EEvPKT_PKfPKiS6_S6_Pfiiiiiiiiiiiiii15HIP_vector_typeIjLj3EES9_
		.amdhsa_group_segment_fixed_size 0
		.amdhsa_private_segment_fixed_size 16
		.amdhsa_kernarg_size 384
		.amdhsa_user_sgpr_count 15
		.amdhsa_user_sgpr_dispatch_ptr 0
		.amdhsa_user_sgpr_queue_ptr 0
		.amdhsa_user_sgpr_kernarg_segment_ptr 1
		.amdhsa_user_sgpr_dispatch_id 0
		.amdhsa_user_sgpr_private_segment_size 0
		.amdhsa_wavefront_size32 1
		.amdhsa_uses_dynamic_stack 0
		.amdhsa_enable_private_segment 1
		.amdhsa_system_sgpr_workgroup_id_x 1
		.amdhsa_system_sgpr_workgroup_id_y 0
		.amdhsa_system_sgpr_workgroup_id_z 0
		.amdhsa_system_sgpr_workgroup_info 0
		.amdhsa_system_vgpr_workitem_id 0
		.amdhsa_next_free_vgpr 38
		.amdhsa_next_free_sgpr 34
		.amdhsa_reserve_vcc 1
		.amdhsa_float_round_mode_32 0
		.amdhsa_float_round_mode_16_64 0
		.amdhsa_float_denorm_mode_32 3
		.amdhsa_float_denorm_mode_16_64 3
		.amdhsa_dx10_clamp 1
		.amdhsa_ieee_mode 1
		.amdhsa_fp16_overflow 0
		.amdhsa_workgroup_processor_mode 1
		.amdhsa_memory_ordered 1
		.amdhsa_forward_progress 0
		.amdhsa_shared_vgpr_count 0
		.amdhsa_exception_fp_ieee_invalid_op 0
		.amdhsa_exception_fp_denorm_src 0
		.amdhsa_exception_fp_ieee_div_zero 0
		.amdhsa_exception_fp_ieee_overflow 0
		.amdhsa_exception_fp_ieee_underflow 0
		.amdhsa_exception_fp_ieee_inexact 0
		.amdhsa_exception_int_div_zero 0
	.end_amdhsa_kernel
	.section	.text._ZL13mul_mat_f_idsIfLi32ELi11ELi5EEvPKT_PKfPKiS6_S6_Pfiiiiiiiiiiiiii15HIP_vector_typeIjLj3EES9_,"axG",@progbits,_ZL13mul_mat_f_idsIfLi32ELi11ELi5EEvPKT_PKfPKiS6_S6_Pfiiiiiiiiiiiiii15HIP_vector_typeIjLj3EES9_,comdat
.Lfunc_end15:
	.size	_ZL13mul_mat_f_idsIfLi32ELi11ELi5EEvPKT_PKfPKiS6_S6_Pfiiiiiiiiiiiiii15HIP_vector_typeIjLj3EES9_, .Lfunc_end15-_ZL13mul_mat_f_idsIfLi32ELi11ELi5EEvPKT_PKfPKiS6_S6_Pfiiiiiiiiiiiiii15HIP_vector_typeIjLj3EES9_
                                        ; -- End function
	.section	.AMDGPU.csdata,"",@progbits
; Kernel info:
; codeLenInByte = 80
; NumSgprs: 36
; NumVgprs: 38
; ScratchSize: 16
; MemoryBound: 0
; FloatMode: 240
; IeeeMode: 1
; LDSByteSize: 0 bytes/workgroup (compile time only)
; SGPRBlocks: 4
; VGPRBlocks: 4
; NumSGPRsForWavesPerEU: 36
; NumVGPRsForWavesPerEU: 38
; Occupancy: 15
; WaveLimiterHint : 1
; COMPUTE_PGM_RSRC2:SCRATCH_EN: 1
; COMPUTE_PGM_RSRC2:USER_SGPR: 15
; COMPUTE_PGM_RSRC2:TRAP_HANDLER: 0
; COMPUTE_PGM_RSRC2:TGID_X_EN: 1
; COMPUTE_PGM_RSRC2:TGID_Y_EN: 0
; COMPUTE_PGM_RSRC2:TGID_Z_EN: 0
; COMPUTE_PGM_RSRC2:TIDIG_COMP_CNT: 0
	.section	.text._ZL9mul_mat_fIfLi32ELi11ELi5ELb1EEvPKT_PKfPKiPfiiiiiiiiiiiiiiii,"axG",@progbits,_ZL9mul_mat_fIfLi32ELi11ELi5ELb1EEvPKT_PKfPKiPfiiiiiiiiiiiiiiii,comdat
	.globl	_ZL9mul_mat_fIfLi32ELi11ELi5ELb1EEvPKT_PKfPKiPfiiiiiiiiiiiiiiii ; -- Begin function _ZL9mul_mat_fIfLi32ELi11ELi5ELb1EEvPKT_PKfPKiPfiiiiiiiiiiiiiiii
	.p2align	8
	.type	_ZL9mul_mat_fIfLi32ELi11ELi5ELb1EEvPKT_PKfPKiPfiiiiiiiiiiiiiiii,@function
_ZL9mul_mat_fIfLi32ELi11ELi5ELb1EEvPKT_PKfPKiPfiiiiiiiiiiiiiiii: ; @_ZL9mul_mat_fIfLi32ELi11ELi5ELb1EEvPKT_PKfPKiPfiiiiiiiiiiiiiiii
; %bb.0:
	s_add_u32 s8, s0, 0x60
	s_addc_u32 s9, s1, 0
	s_getpc_b64 s[0:1]
	s_add_u32 s0, s0, __FUNCTION__._ZL9mul_mat_fIfLi32ELi11ELi1ELb1EEvPKT_PKfPKiPfiiiiiiiiiiiiiiii@rel32@lo+4
	s_addc_u32 s1, s1, __FUNCTION__._ZL9mul_mat_fIfLi32ELi11ELi1ELb1EEvPKT_PKfPKiPfiiiiiiiiiiiiiiii@rel32@hi+12
	v_dual_mov_b32 v0, 59 :: v_dual_mov_b32 v1, s0
	v_mov_b32_e32 v2, s1
	s_mov_b32 s32, 0
	s_getpc_b64 s[2:3]
	s_add_u32 s2, s2, _ZL14no_device_codePKciS0_iS0_@rel32@lo+4
	s_addc_u32 s3, s3, _ZL14no_device_codePKciS0_iS0_@rel32@hi+12
	s_delay_alu instid0(SALU_CYCLE_1)
	s_swappc_b64 s[30:31], s[2:3]
	.section	.rodata,"a",@progbits
	.p2align	6, 0x0
	.amdhsa_kernel _ZL9mul_mat_fIfLi32ELi11ELi5ELb1EEvPKT_PKfPKiPfiiiiiiiiiiiiiiii
		.amdhsa_group_segment_fixed_size 0
		.amdhsa_private_segment_fixed_size 16
		.amdhsa_kernarg_size 352
		.amdhsa_user_sgpr_count 15
		.amdhsa_user_sgpr_dispatch_ptr 0
		.amdhsa_user_sgpr_queue_ptr 0
		.amdhsa_user_sgpr_kernarg_segment_ptr 1
		.amdhsa_user_sgpr_dispatch_id 0
		.amdhsa_user_sgpr_private_segment_size 0
		.amdhsa_wavefront_size32 1
		.amdhsa_uses_dynamic_stack 0
		.amdhsa_enable_private_segment 1
		.amdhsa_system_sgpr_workgroup_id_x 1
		.amdhsa_system_sgpr_workgroup_id_y 0
		.amdhsa_system_sgpr_workgroup_id_z 0
		.amdhsa_system_sgpr_workgroup_info 0
		.amdhsa_system_vgpr_workitem_id 0
		.amdhsa_next_free_vgpr 38
		.amdhsa_next_free_sgpr 34
		.amdhsa_reserve_vcc 1
		.amdhsa_float_round_mode_32 0
		.amdhsa_float_round_mode_16_64 0
		.amdhsa_float_denorm_mode_32 3
		.amdhsa_float_denorm_mode_16_64 3
		.amdhsa_dx10_clamp 1
		.amdhsa_ieee_mode 1
		.amdhsa_fp16_overflow 0
		.amdhsa_workgroup_processor_mode 1
		.amdhsa_memory_ordered 1
		.amdhsa_forward_progress 0
		.amdhsa_shared_vgpr_count 0
		.amdhsa_exception_fp_ieee_invalid_op 0
		.amdhsa_exception_fp_denorm_src 0
		.amdhsa_exception_fp_ieee_div_zero 0
		.amdhsa_exception_fp_ieee_overflow 0
		.amdhsa_exception_fp_ieee_underflow 0
		.amdhsa_exception_fp_ieee_inexact 0
		.amdhsa_exception_int_div_zero 0
	.end_amdhsa_kernel
	.section	.text._ZL9mul_mat_fIfLi32ELi11ELi5ELb1EEvPKT_PKfPKiPfiiiiiiiiiiiiiiii,"axG",@progbits,_ZL9mul_mat_fIfLi32ELi11ELi5ELb1EEvPKT_PKfPKiPfiiiiiiiiiiiiiiii,comdat
.Lfunc_end16:
	.size	_ZL9mul_mat_fIfLi32ELi11ELi5ELb1EEvPKT_PKfPKiPfiiiiiiiiiiiiiiii, .Lfunc_end16-_ZL9mul_mat_fIfLi32ELi11ELi5ELb1EEvPKT_PKfPKiPfiiiiiiiiiiiiiiii
                                        ; -- End function
	.section	.AMDGPU.csdata,"",@progbits
; Kernel info:
; codeLenInByte = 76
; NumSgprs: 36
; NumVgprs: 38
; ScratchSize: 16
; MemoryBound: 0
; FloatMode: 240
; IeeeMode: 1
; LDSByteSize: 0 bytes/workgroup (compile time only)
; SGPRBlocks: 4
; VGPRBlocks: 4
; NumSGPRsForWavesPerEU: 36
; NumVGPRsForWavesPerEU: 38
; Occupancy: 15
; WaveLimiterHint : 1
; COMPUTE_PGM_RSRC2:SCRATCH_EN: 1
; COMPUTE_PGM_RSRC2:USER_SGPR: 15
; COMPUTE_PGM_RSRC2:TRAP_HANDLER: 0
; COMPUTE_PGM_RSRC2:TGID_X_EN: 1
; COMPUTE_PGM_RSRC2:TGID_Y_EN: 0
; COMPUTE_PGM_RSRC2:TGID_Z_EN: 0
; COMPUTE_PGM_RSRC2:TIDIG_COMP_CNT: 0
	.section	.text._ZL9mul_mat_fIfLi32ELi11ELi5ELb0EEvPKT_PKfPKiPfiiiiiiiiiiiiiiii,"axG",@progbits,_ZL9mul_mat_fIfLi32ELi11ELi5ELb0EEvPKT_PKfPKiPfiiiiiiiiiiiiiiii,comdat
	.globl	_ZL9mul_mat_fIfLi32ELi11ELi5ELb0EEvPKT_PKfPKiPfiiiiiiiiiiiiiiii ; -- Begin function _ZL9mul_mat_fIfLi32ELi11ELi5ELb0EEvPKT_PKfPKiPfiiiiiiiiiiiiiiii
	.p2align	8
	.type	_ZL9mul_mat_fIfLi32ELi11ELi5ELb0EEvPKT_PKfPKiPfiiiiiiiiiiiiiiii,@function
_ZL9mul_mat_fIfLi32ELi11ELi5ELb0EEvPKT_PKfPKiPfiiiiiiiiiiiiiiii: ; @_ZL9mul_mat_fIfLi32ELi11ELi5ELb0EEvPKT_PKfPKiPfiiiiiiiiiiiiiiii
; %bb.0:
	s_add_u32 s8, s0, 0x60
	s_addc_u32 s9, s1, 0
	s_getpc_b64 s[0:1]
	s_add_u32 s0, s0, __FUNCTION__._ZL9mul_mat_fIfLi32ELi11ELi1ELb1EEvPKT_PKfPKiPfiiiiiiiiiiiiiiii@rel32@lo+4
	s_addc_u32 s1, s1, __FUNCTION__._ZL9mul_mat_fIfLi32ELi11ELi1ELb1EEvPKT_PKfPKiPfiiiiiiiiiiiiiiii@rel32@hi+12
	v_dual_mov_b32 v0, 59 :: v_dual_mov_b32 v1, s0
	v_mov_b32_e32 v2, s1
	s_mov_b32 s32, 0
	s_getpc_b64 s[2:3]
	s_add_u32 s2, s2, _ZL14no_device_codePKciS0_iS0_@rel32@lo+4
	s_addc_u32 s3, s3, _ZL14no_device_codePKciS0_iS0_@rel32@hi+12
	s_delay_alu instid0(SALU_CYCLE_1)
	s_swappc_b64 s[30:31], s[2:3]
	.section	.rodata,"a",@progbits
	.p2align	6, 0x0
	.amdhsa_kernel _ZL9mul_mat_fIfLi32ELi11ELi5ELb0EEvPKT_PKfPKiPfiiiiiiiiiiiiiiii
		.amdhsa_group_segment_fixed_size 0
		.amdhsa_private_segment_fixed_size 16
		.amdhsa_kernarg_size 352
		.amdhsa_user_sgpr_count 15
		.amdhsa_user_sgpr_dispatch_ptr 0
		.amdhsa_user_sgpr_queue_ptr 0
		.amdhsa_user_sgpr_kernarg_segment_ptr 1
		.amdhsa_user_sgpr_dispatch_id 0
		.amdhsa_user_sgpr_private_segment_size 0
		.amdhsa_wavefront_size32 1
		.amdhsa_uses_dynamic_stack 0
		.amdhsa_enable_private_segment 1
		.amdhsa_system_sgpr_workgroup_id_x 1
		.amdhsa_system_sgpr_workgroup_id_y 0
		.amdhsa_system_sgpr_workgroup_id_z 0
		.amdhsa_system_sgpr_workgroup_info 0
		.amdhsa_system_vgpr_workitem_id 0
		.amdhsa_next_free_vgpr 38
		.amdhsa_next_free_sgpr 34
		.amdhsa_reserve_vcc 1
		.amdhsa_float_round_mode_32 0
		.amdhsa_float_round_mode_16_64 0
		.amdhsa_float_denorm_mode_32 3
		.amdhsa_float_denorm_mode_16_64 3
		.amdhsa_dx10_clamp 1
		.amdhsa_ieee_mode 1
		.amdhsa_fp16_overflow 0
		.amdhsa_workgroup_processor_mode 1
		.amdhsa_memory_ordered 1
		.amdhsa_forward_progress 0
		.amdhsa_shared_vgpr_count 0
		.amdhsa_exception_fp_ieee_invalid_op 0
		.amdhsa_exception_fp_denorm_src 0
		.amdhsa_exception_fp_ieee_div_zero 0
		.amdhsa_exception_fp_ieee_overflow 0
		.amdhsa_exception_fp_ieee_underflow 0
		.amdhsa_exception_fp_ieee_inexact 0
		.amdhsa_exception_int_div_zero 0
	.end_amdhsa_kernel
	.section	.text._ZL9mul_mat_fIfLi32ELi11ELi5ELb0EEvPKT_PKfPKiPfiiiiiiiiiiiiiiii,"axG",@progbits,_ZL9mul_mat_fIfLi32ELi11ELi5ELb0EEvPKT_PKfPKiPfiiiiiiiiiiiiiiii,comdat
.Lfunc_end17:
	.size	_ZL9mul_mat_fIfLi32ELi11ELi5ELb0EEvPKT_PKfPKiPfiiiiiiiiiiiiiiii, .Lfunc_end17-_ZL9mul_mat_fIfLi32ELi11ELi5ELb0EEvPKT_PKfPKiPfiiiiiiiiiiiiiiii
                                        ; -- End function
	.section	.AMDGPU.csdata,"",@progbits
; Kernel info:
; codeLenInByte = 76
; NumSgprs: 36
; NumVgprs: 38
; ScratchSize: 16
; MemoryBound: 0
; FloatMode: 240
; IeeeMode: 1
; LDSByteSize: 0 bytes/workgroup (compile time only)
; SGPRBlocks: 4
; VGPRBlocks: 4
; NumSGPRsForWavesPerEU: 36
; NumVGPRsForWavesPerEU: 38
; Occupancy: 15
; WaveLimiterHint : 1
; COMPUTE_PGM_RSRC2:SCRATCH_EN: 1
; COMPUTE_PGM_RSRC2:USER_SGPR: 15
; COMPUTE_PGM_RSRC2:TRAP_HANDLER: 0
; COMPUTE_PGM_RSRC2:TGID_X_EN: 1
; COMPUTE_PGM_RSRC2:TGID_Y_EN: 0
; COMPUTE_PGM_RSRC2:TGID_Z_EN: 0
; COMPUTE_PGM_RSRC2:TIDIG_COMP_CNT: 0
	.section	.text._ZL13mul_mat_f_idsIfLi32ELi11ELi6EEvPKT_PKfPKiS6_S6_Pfiiiiiiiiiiiiii15HIP_vector_typeIjLj3EES9_,"axG",@progbits,_ZL13mul_mat_f_idsIfLi32ELi11ELi6EEvPKT_PKfPKiS6_S6_Pfiiiiiiiiiiiiii15HIP_vector_typeIjLj3EES9_,comdat
	.globl	_ZL13mul_mat_f_idsIfLi32ELi11ELi6EEvPKT_PKfPKiS6_S6_Pfiiiiiiiiiiiiii15HIP_vector_typeIjLj3EES9_ ; -- Begin function _ZL13mul_mat_f_idsIfLi32ELi11ELi6EEvPKT_PKfPKiS6_S6_Pfiiiiiiiiiiiiii15HIP_vector_typeIjLj3EES9_
	.p2align	8
	.type	_ZL13mul_mat_f_idsIfLi32ELi11ELi6EEvPKT_PKfPKiS6_S6_Pfiiiiiiiiiiiiii15HIP_vector_typeIjLj3EES9_,@function
_ZL13mul_mat_f_idsIfLi32ELi11ELi6EEvPKT_PKfPKiS6_S6_Pfiiiiiiiiiiiiii15HIP_vector_typeIjLj3EES9_: ; @_ZL13mul_mat_f_idsIfLi32ELi11ELi6EEvPKT_PKfPKiS6_S6_Pfiiiiiiiiiiiiii15HIP_vector_typeIjLj3EES9_
; %bb.0:
	s_add_u32 s8, s0, 0x80
	s_addc_u32 s9, s1, 0
	s_getpc_b64 s[0:1]
	s_add_u32 s0, s0, __FUNCTION__._ZL13mul_mat_f_idsIfLi32ELi11ELi1EEvPKT_PKfPKiS6_S6_Pfiiiiiiiiiiiiii15HIP_vector_typeIjLj3EES9_@rel32@lo+4
	s_addc_u32 s1, s1, __FUNCTION__._ZL13mul_mat_f_idsIfLi32ELi11ELi1EEvPKT_PKfPKiS6_S6_Pfiiiiiiiiiiiiii15HIP_vector_typeIjLj3EES9_@rel32@hi+12
	v_dual_mov_b32 v0, 0x136 :: v_dual_mov_b32 v1, s0
	v_mov_b32_e32 v2, s1
	s_mov_b32 s32, 0
	s_getpc_b64 s[2:3]
	s_add_u32 s2, s2, _ZL14no_device_codePKciS0_iS0_@rel32@lo+4
	s_addc_u32 s3, s3, _ZL14no_device_codePKciS0_iS0_@rel32@hi+12
	s_delay_alu instid0(SALU_CYCLE_1)
	s_swappc_b64 s[30:31], s[2:3]
	.section	.rodata,"a",@progbits
	.p2align	6, 0x0
	.amdhsa_kernel _ZL13mul_mat_f_idsIfLi32ELi11ELi6EEvPKT_PKfPKiS6_S6_Pfiiiiiiiiiiiiii15HIP_vector_typeIjLj3EES9_
		.amdhsa_group_segment_fixed_size 0
		.amdhsa_private_segment_fixed_size 16
		.amdhsa_kernarg_size 384
		.amdhsa_user_sgpr_count 15
		.amdhsa_user_sgpr_dispatch_ptr 0
		.amdhsa_user_sgpr_queue_ptr 0
		.amdhsa_user_sgpr_kernarg_segment_ptr 1
		.amdhsa_user_sgpr_dispatch_id 0
		.amdhsa_user_sgpr_private_segment_size 0
		.amdhsa_wavefront_size32 1
		.amdhsa_uses_dynamic_stack 0
		.amdhsa_enable_private_segment 1
		.amdhsa_system_sgpr_workgroup_id_x 1
		.amdhsa_system_sgpr_workgroup_id_y 0
		.amdhsa_system_sgpr_workgroup_id_z 0
		.amdhsa_system_sgpr_workgroup_info 0
		.amdhsa_system_vgpr_workitem_id 0
		.amdhsa_next_free_vgpr 38
		.amdhsa_next_free_sgpr 34
		.amdhsa_reserve_vcc 1
		.amdhsa_float_round_mode_32 0
		.amdhsa_float_round_mode_16_64 0
		.amdhsa_float_denorm_mode_32 3
		.amdhsa_float_denorm_mode_16_64 3
		.amdhsa_dx10_clamp 1
		.amdhsa_ieee_mode 1
		.amdhsa_fp16_overflow 0
		.amdhsa_workgroup_processor_mode 1
		.amdhsa_memory_ordered 1
		.amdhsa_forward_progress 0
		.amdhsa_shared_vgpr_count 0
		.amdhsa_exception_fp_ieee_invalid_op 0
		.amdhsa_exception_fp_denorm_src 0
		.amdhsa_exception_fp_ieee_div_zero 0
		.amdhsa_exception_fp_ieee_overflow 0
		.amdhsa_exception_fp_ieee_underflow 0
		.amdhsa_exception_fp_ieee_inexact 0
		.amdhsa_exception_int_div_zero 0
	.end_amdhsa_kernel
	.section	.text._ZL13mul_mat_f_idsIfLi32ELi11ELi6EEvPKT_PKfPKiS6_S6_Pfiiiiiiiiiiiiii15HIP_vector_typeIjLj3EES9_,"axG",@progbits,_ZL13mul_mat_f_idsIfLi32ELi11ELi6EEvPKT_PKfPKiS6_S6_Pfiiiiiiiiiiiiii15HIP_vector_typeIjLj3EES9_,comdat
.Lfunc_end18:
	.size	_ZL13mul_mat_f_idsIfLi32ELi11ELi6EEvPKT_PKfPKiS6_S6_Pfiiiiiiiiiiiiii15HIP_vector_typeIjLj3EES9_, .Lfunc_end18-_ZL13mul_mat_f_idsIfLi32ELi11ELi6EEvPKT_PKfPKiS6_S6_Pfiiiiiiiiiiiiii15HIP_vector_typeIjLj3EES9_
                                        ; -- End function
	.section	.AMDGPU.csdata,"",@progbits
; Kernel info:
; codeLenInByte = 80
; NumSgprs: 36
; NumVgprs: 38
; ScratchSize: 16
; MemoryBound: 0
; FloatMode: 240
; IeeeMode: 1
; LDSByteSize: 0 bytes/workgroup (compile time only)
; SGPRBlocks: 4
; VGPRBlocks: 4
; NumSGPRsForWavesPerEU: 36
; NumVGPRsForWavesPerEU: 38
; Occupancy: 15
; WaveLimiterHint : 1
; COMPUTE_PGM_RSRC2:SCRATCH_EN: 1
; COMPUTE_PGM_RSRC2:USER_SGPR: 15
; COMPUTE_PGM_RSRC2:TRAP_HANDLER: 0
; COMPUTE_PGM_RSRC2:TGID_X_EN: 1
; COMPUTE_PGM_RSRC2:TGID_Y_EN: 0
; COMPUTE_PGM_RSRC2:TGID_Z_EN: 0
; COMPUTE_PGM_RSRC2:TIDIG_COMP_CNT: 0
	.section	.text._ZL9mul_mat_fIfLi32ELi11ELi6ELb1EEvPKT_PKfPKiPfiiiiiiiiiiiiiiii,"axG",@progbits,_ZL9mul_mat_fIfLi32ELi11ELi6ELb1EEvPKT_PKfPKiPfiiiiiiiiiiiiiiii,comdat
	.globl	_ZL9mul_mat_fIfLi32ELi11ELi6ELb1EEvPKT_PKfPKiPfiiiiiiiiiiiiiiii ; -- Begin function _ZL9mul_mat_fIfLi32ELi11ELi6ELb1EEvPKT_PKfPKiPfiiiiiiiiiiiiiiii
	.p2align	8
	.type	_ZL9mul_mat_fIfLi32ELi11ELi6ELb1EEvPKT_PKfPKiPfiiiiiiiiiiiiiiii,@function
_ZL9mul_mat_fIfLi32ELi11ELi6ELb1EEvPKT_PKfPKiPfiiiiiiiiiiiiiiii: ; @_ZL9mul_mat_fIfLi32ELi11ELi6ELb1EEvPKT_PKfPKiPfiiiiiiiiiiiiiiii
; %bb.0:
	s_add_u32 s8, s0, 0x60
	s_addc_u32 s9, s1, 0
	s_getpc_b64 s[0:1]
	s_add_u32 s0, s0, __FUNCTION__._ZL9mul_mat_fIfLi32ELi11ELi1ELb1EEvPKT_PKfPKiPfiiiiiiiiiiiiiiii@rel32@lo+4
	s_addc_u32 s1, s1, __FUNCTION__._ZL9mul_mat_fIfLi32ELi11ELi1ELb1EEvPKT_PKfPKiPfiiiiiiiiiiiiiiii@rel32@hi+12
	v_dual_mov_b32 v0, 59 :: v_dual_mov_b32 v1, s0
	v_mov_b32_e32 v2, s1
	s_mov_b32 s32, 0
	s_getpc_b64 s[2:3]
	s_add_u32 s2, s2, _ZL14no_device_codePKciS0_iS0_@rel32@lo+4
	s_addc_u32 s3, s3, _ZL14no_device_codePKciS0_iS0_@rel32@hi+12
	s_delay_alu instid0(SALU_CYCLE_1)
	s_swappc_b64 s[30:31], s[2:3]
	.section	.rodata,"a",@progbits
	.p2align	6, 0x0
	.amdhsa_kernel _ZL9mul_mat_fIfLi32ELi11ELi6ELb1EEvPKT_PKfPKiPfiiiiiiiiiiiiiiii
		.amdhsa_group_segment_fixed_size 0
		.amdhsa_private_segment_fixed_size 16
		.amdhsa_kernarg_size 352
		.amdhsa_user_sgpr_count 15
		.amdhsa_user_sgpr_dispatch_ptr 0
		.amdhsa_user_sgpr_queue_ptr 0
		.amdhsa_user_sgpr_kernarg_segment_ptr 1
		.amdhsa_user_sgpr_dispatch_id 0
		.amdhsa_user_sgpr_private_segment_size 0
		.amdhsa_wavefront_size32 1
		.amdhsa_uses_dynamic_stack 0
		.amdhsa_enable_private_segment 1
		.amdhsa_system_sgpr_workgroup_id_x 1
		.amdhsa_system_sgpr_workgroup_id_y 0
		.amdhsa_system_sgpr_workgroup_id_z 0
		.amdhsa_system_sgpr_workgroup_info 0
		.amdhsa_system_vgpr_workitem_id 0
		.amdhsa_next_free_vgpr 38
		.amdhsa_next_free_sgpr 34
		.amdhsa_reserve_vcc 1
		.amdhsa_float_round_mode_32 0
		.amdhsa_float_round_mode_16_64 0
		.amdhsa_float_denorm_mode_32 3
		.amdhsa_float_denorm_mode_16_64 3
		.amdhsa_dx10_clamp 1
		.amdhsa_ieee_mode 1
		.amdhsa_fp16_overflow 0
		.amdhsa_workgroup_processor_mode 1
		.amdhsa_memory_ordered 1
		.amdhsa_forward_progress 0
		.amdhsa_shared_vgpr_count 0
		.amdhsa_exception_fp_ieee_invalid_op 0
		.amdhsa_exception_fp_denorm_src 0
		.amdhsa_exception_fp_ieee_div_zero 0
		.amdhsa_exception_fp_ieee_overflow 0
		.amdhsa_exception_fp_ieee_underflow 0
		.amdhsa_exception_fp_ieee_inexact 0
		.amdhsa_exception_int_div_zero 0
	.end_amdhsa_kernel
	.section	.text._ZL9mul_mat_fIfLi32ELi11ELi6ELb1EEvPKT_PKfPKiPfiiiiiiiiiiiiiiii,"axG",@progbits,_ZL9mul_mat_fIfLi32ELi11ELi6ELb1EEvPKT_PKfPKiPfiiiiiiiiiiiiiiii,comdat
.Lfunc_end19:
	.size	_ZL9mul_mat_fIfLi32ELi11ELi6ELb1EEvPKT_PKfPKiPfiiiiiiiiiiiiiiii, .Lfunc_end19-_ZL9mul_mat_fIfLi32ELi11ELi6ELb1EEvPKT_PKfPKiPfiiiiiiiiiiiiiiii
                                        ; -- End function
	.section	.AMDGPU.csdata,"",@progbits
; Kernel info:
; codeLenInByte = 76
; NumSgprs: 36
; NumVgprs: 38
; ScratchSize: 16
; MemoryBound: 0
; FloatMode: 240
; IeeeMode: 1
; LDSByteSize: 0 bytes/workgroup (compile time only)
; SGPRBlocks: 4
; VGPRBlocks: 4
; NumSGPRsForWavesPerEU: 36
; NumVGPRsForWavesPerEU: 38
; Occupancy: 15
; WaveLimiterHint : 1
; COMPUTE_PGM_RSRC2:SCRATCH_EN: 1
; COMPUTE_PGM_RSRC2:USER_SGPR: 15
; COMPUTE_PGM_RSRC2:TRAP_HANDLER: 0
; COMPUTE_PGM_RSRC2:TGID_X_EN: 1
; COMPUTE_PGM_RSRC2:TGID_Y_EN: 0
; COMPUTE_PGM_RSRC2:TGID_Z_EN: 0
; COMPUTE_PGM_RSRC2:TIDIG_COMP_CNT: 0
	.section	.text._ZL9mul_mat_fIfLi32ELi11ELi6ELb0EEvPKT_PKfPKiPfiiiiiiiiiiiiiiii,"axG",@progbits,_ZL9mul_mat_fIfLi32ELi11ELi6ELb0EEvPKT_PKfPKiPfiiiiiiiiiiiiiiii,comdat
	.globl	_ZL9mul_mat_fIfLi32ELi11ELi6ELb0EEvPKT_PKfPKiPfiiiiiiiiiiiiiiii ; -- Begin function _ZL9mul_mat_fIfLi32ELi11ELi6ELb0EEvPKT_PKfPKiPfiiiiiiiiiiiiiiii
	.p2align	8
	.type	_ZL9mul_mat_fIfLi32ELi11ELi6ELb0EEvPKT_PKfPKiPfiiiiiiiiiiiiiiii,@function
_ZL9mul_mat_fIfLi32ELi11ELi6ELb0EEvPKT_PKfPKiPfiiiiiiiiiiiiiiii: ; @_ZL9mul_mat_fIfLi32ELi11ELi6ELb0EEvPKT_PKfPKiPfiiiiiiiiiiiiiiii
; %bb.0:
	s_add_u32 s8, s0, 0x60
	s_addc_u32 s9, s1, 0
	s_getpc_b64 s[0:1]
	s_add_u32 s0, s0, __FUNCTION__._ZL9mul_mat_fIfLi32ELi11ELi1ELb1EEvPKT_PKfPKiPfiiiiiiiiiiiiiiii@rel32@lo+4
	s_addc_u32 s1, s1, __FUNCTION__._ZL9mul_mat_fIfLi32ELi11ELi1ELb1EEvPKT_PKfPKiPfiiiiiiiiiiiiiiii@rel32@hi+12
	v_dual_mov_b32 v0, 59 :: v_dual_mov_b32 v1, s0
	v_mov_b32_e32 v2, s1
	s_mov_b32 s32, 0
	s_getpc_b64 s[2:3]
	s_add_u32 s2, s2, _ZL14no_device_codePKciS0_iS0_@rel32@lo+4
	s_addc_u32 s3, s3, _ZL14no_device_codePKciS0_iS0_@rel32@hi+12
	s_delay_alu instid0(SALU_CYCLE_1)
	s_swappc_b64 s[30:31], s[2:3]
	.section	.rodata,"a",@progbits
	.p2align	6, 0x0
	.amdhsa_kernel _ZL9mul_mat_fIfLi32ELi11ELi6ELb0EEvPKT_PKfPKiPfiiiiiiiiiiiiiiii
		.amdhsa_group_segment_fixed_size 0
		.amdhsa_private_segment_fixed_size 16
		.amdhsa_kernarg_size 352
		.amdhsa_user_sgpr_count 15
		.amdhsa_user_sgpr_dispatch_ptr 0
		.amdhsa_user_sgpr_queue_ptr 0
		.amdhsa_user_sgpr_kernarg_segment_ptr 1
		.amdhsa_user_sgpr_dispatch_id 0
		.amdhsa_user_sgpr_private_segment_size 0
		.amdhsa_wavefront_size32 1
		.amdhsa_uses_dynamic_stack 0
		.amdhsa_enable_private_segment 1
		.amdhsa_system_sgpr_workgroup_id_x 1
		.amdhsa_system_sgpr_workgroup_id_y 0
		.amdhsa_system_sgpr_workgroup_id_z 0
		.amdhsa_system_sgpr_workgroup_info 0
		.amdhsa_system_vgpr_workitem_id 0
		.amdhsa_next_free_vgpr 38
		.amdhsa_next_free_sgpr 34
		.amdhsa_reserve_vcc 1
		.amdhsa_float_round_mode_32 0
		.amdhsa_float_round_mode_16_64 0
		.amdhsa_float_denorm_mode_32 3
		.amdhsa_float_denorm_mode_16_64 3
		.amdhsa_dx10_clamp 1
		.amdhsa_ieee_mode 1
		.amdhsa_fp16_overflow 0
		.amdhsa_workgroup_processor_mode 1
		.amdhsa_memory_ordered 1
		.amdhsa_forward_progress 0
		.amdhsa_shared_vgpr_count 0
		.amdhsa_exception_fp_ieee_invalid_op 0
		.amdhsa_exception_fp_denorm_src 0
		.amdhsa_exception_fp_ieee_div_zero 0
		.amdhsa_exception_fp_ieee_overflow 0
		.amdhsa_exception_fp_ieee_underflow 0
		.amdhsa_exception_fp_ieee_inexact 0
		.amdhsa_exception_int_div_zero 0
	.end_amdhsa_kernel
	.section	.text._ZL9mul_mat_fIfLi32ELi11ELi6ELb0EEvPKT_PKfPKiPfiiiiiiiiiiiiiiii,"axG",@progbits,_ZL9mul_mat_fIfLi32ELi11ELi6ELb0EEvPKT_PKfPKiPfiiiiiiiiiiiiiiii,comdat
.Lfunc_end20:
	.size	_ZL9mul_mat_fIfLi32ELi11ELi6ELb0EEvPKT_PKfPKiPfiiiiiiiiiiiiiiii, .Lfunc_end20-_ZL9mul_mat_fIfLi32ELi11ELi6ELb0EEvPKT_PKfPKiPfiiiiiiiiiiiiiiii
                                        ; -- End function
	.section	.AMDGPU.csdata,"",@progbits
; Kernel info:
; codeLenInByte = 76
; NumSgprs: 36
; NumVgprs: 38
; ScratchSize: 16
; MemoryBound: 0
; FloatMode: 240
; IeeeMode: 1
; LDSByteSize: 0 bytes/workgroup (compile time only)
; SGPRBlocks: 4
; VGPRBlocks: 4
; NumSGPRsForWavesPerEU: 36
; NumVGPRsForWavesPerEU: 38
; Occupancy: 15
; WaveLimiterHint : 1
; COMPUTE_PGM_RSRC2:SCRATCH_EN: 1
; COMPUTE_PGM_RSRC2:USER_SGPR: 15
; COMPUTE_PGM_RSRC2:TRAP_HANDLER: 0
; COMPUTE_PGM_RSRC2:TGID_X_EN: 1
; COMPUTE_PGM_RSRC2:TGID_Y_EN: 0
; COMPUTE_PGM_RSRC2:TGID_Z_EN: 0
; COMPUTE_PGM_RSRC2:TIDIG_COMP_CNT: 0
	.section	.text._ZL13mul_mat_f_idsIfLi32ELi11ELi7EEvPKT_PKfPKiS6_S6_Pfiiiiiiiiiiiiii15HIP_vector_typeIjLj3EES9_,"axG",@progbits,_ZL13mul_mat_f_idsIfLi32ELi11ELi7EEvPKT_PKfPKiS6_S6_Pfiiiiiiiiiiiiii15HIP_vector_typeIjLj3EES9_,comdat
	.globl	_ZL13mul_mat_f_idsIfLi32ELi11ELi7EEvPKT_PKfPKiS6_S6_Pfiiiiiiiiiiiiii15HIP_vector_typeIjLj3EES9_ ; -- Begin function _ZL13mul_mat_f_idsIfLi32ELi11ELi7EEvPKT_PKfPKiS6_S6_Pfiiiiiiiiiiiiii15HIP_vector_typeIjLj3EES9_
	.p2align	8
	.type	_ZL13mul_mat_f_idsIfLi32ELi11ELi7EEvPKT_PKfPKiS6_S6_Pfiiiiiiiiiiiiii15HIP_vector_typeIjLj3EES9_,@function
_ZL13mul_mat_f_idsIfLi32ELi11ELi7EEvPKT_PKfPKiS6_S6_Pfiiiiiiiiiiiiii15HIP_vector_typeIjLj3EES9_: ; @_ZL13mul_mat_f_idsIfLi32ELi11ELi7EEvPKT_PKfPKiS6_S6_Pfiiiiiiiiiiiiii15HIP_vector_typeIjLj3EES9_
; %bb.0:
	s_add_u32 s8, s0, 0x80
	s_addc_u32 s9, s1, 0
	s_getpc_b64 s[0:1]
	s_add_u32 s0, s0, __FUNCTION__._ZL13mul_mat_f_idsIfLi32ELi11ELi1EEvPKT_PKfPKiS6_S6_Pfiiiiiiiiiiiiii15HIP_vector_typeIjLj3EES9_@rel32@lo+4
	s_addc_u32 s1, s1, __FUNCTION__._ZL13mul_mat_f_idsIfLi32ELi11ELi1EEvPKT_PKfPKiS6_S6_Pfiiiiiiiiiiiiii15HIP_vector_typeIjLj3EES9_@rel32@hi+12
	v_dual_mov_b32 v0, 0x136 :: v_dual_mov_b32 v1, s0
	v_mov_b32_e32 v2, s1
	s_mov_b32 s32, 0
	s_getpc_b64 s[2:3]
	s_add_u32 s2, s2, _ZL14no_device_codePKciS0_iS0_@rel32@lo+4
	s_addc_u32 s3, s3, _ZL14no_device_codePKciS0_iS0_@rel32@hi+12
	s_delay_alu instid0(SALU_CYCLE_1)
	s_swappc_b64 s[30:31], s[2:3]
	.section	.rodata,"a",@progbits
	.p2align	6, 0x0
	.amdhsa_kernel _ZL13mul_mat_f_idsIfLi32ELi11ELi7EEvPKT_PKfPKiS6_S6_Pfiiiiiiiiiiiiii15HIP_vector_typeIjLj3EES9_
		.amdhsa_group_segment_fixed_size 0
		.amdhsa_private_segment_fixed_size 16
		.amdhsa_kernarg_size 384
		.amdhsa_user_sgpr_count 15
		.amdhsa_user_sgpr_dispatch_ptr 0
		.amdhsa_user_sgpr_queue_ptr 0
		.amdhsa_user_sgpr_kernarg_segment_ptr 1
		.amdhsa_user_sgpr_dispatch_id 0
		.amdhsa_user_sgpr_private_segment_size 0
		.amdhsa_wavefront_size32 1
		.amdhsa_uses_dynamic_stack 0
		.amdhsa_enable_private_segment 1
		.amdhsa_system_sgpr_workgroup_id_x 1
		.amdhsa_system_sgpr_workgroup_id_y 0
		.amdhsa_system_sgpr_workgroup_id_z 0
		.amdhsa_system_sgpr_workgroup_info 0
		.amdhsa_system_vgpr_workitem_id 0
		.amdhsa_next_free_vgpr 38
		.amdhsa_next_free_sgpr 34
		.amdhsa_reserve_vcc 1
		.amdhsa_float_round_mode_32 0
		.amdhsa_float_round_mode_16_64 0
		.amdhsa_float_denorm_mode_32 3
		.amdhsa_float_denorm_mode_16_64 3
		.amdhsa_dx10_clamp 1
		.amdhsa_ieee_mode 1
		.amdhsa_fp16_overflow 0
		.amdhsa_workgroup_processor_mode 1
		.amdhsa_memory_ordered 1
		.amdhsa_forward_progress 0
		.amdhsa_shared_vgpr_count 0
		.amdhsa_exception_fp_ieee_invalid_op 0
		.amdhsa_exception_fp_denorm_src 0
		.amdhsa_exception_fp_ieee_div_zero 0
		.amdhsa_exception_fp_ieee_overflow 0
		.amdhsa_exception_fp_ieee_underflow 0
		.amdhsa_exception_fp_ieee_inexact 0
		.amdhsa_exception_int_div_zero 0
	.end_amdhsa_kernel
	.section	.text._ZL13mul_mat_f_idsIfLi32ELi11ELi7EEvPKT_PKfPKiS6_S6_Pfiiiiiiiiiiiiii15HIP_vector_typeIjLj3EES9_,"axG",@progbits,_ZL13mul_mat_f_idsIfLi32ELi11ELi7EEvPKT_PKfPKiS6_S6_Pfiiiiiiiiiiiiii15HIP_vector_typeIjLj3EES9_,comdat
.Lfunc_end21:
	.size	_ZL13mul_mat_f_idsIfLi32ELi11ELi7EEvPKT_PKfPKiS6_S6_Pfiiiiiiiiiiiiii15HIP_vector_typeIjLj3EES9_, .Lfunc_end21-_ZL13mul_mat_f_idsIfLi32ELi11ELi7EEvPKT_PKfPKiS6_S6_Pfiiiiiiiiiiiiii15HIP_vector_typeIjLj3EES9_
                                        ; -- End function
	.section	.AMDGPU.csdata,"",@progbits
; Kernel info:
; codeLenInByte = 80
; NumSgprs: 36
; NumVgprs: 38
; ScratchSize: 16
; MemoryBound: 0
; FloatMode: 240
; IeeeMode: 1
; LDSByteSize: 0 bytes/workgroup (compile time only)
; SGPRBlocks: 4
; VGPRBlocks: 4
; NumSGPRsForWavesPerEU: 36
; NumVGPRsForWavesPerEU: 38
; Occupancy: 16
; WaveLimiterHint : 1
; COMPUTE_PGM_RSRC2:SCRATCH_EN: 1
; COMPUTE_PGM_RSRC2:USER_SGPR: 15
; COMPUTE_PGM_RSRC2:TRAP_HANDLER: 0
; COMPUTE_PGM_RSRC2:TGID_X_EN: 1
; COMPUTE_PGM_RSRC2:TGID_Y_EN: 0
; COMPUTE_PGM_RSRC2:TGID_Z_EN: 0
; COMPUTE_PGM_RSRC2:TIDIG_COMP_CNT: 0
	.section	.text._ZL9mul_mat_fIfLi32ELi11ELi7ELb1EEvPKT_PKfPKiPfiiiiiiiiiiiiiiii,"axG",@progbits,_ZL9mul_mat_fIfLi32ELi11ELi7ELb1EEvPKT_PKfPKiPfiiiiiiiiiiiiiiii,comdat
	.globl	_ZL9mul_mat_fIfLi32ELi11ELi7ELb1EEvPKT_PKfPKiPfiiiiiiiiiiiiiiii ; -- Begin function _ZL9mul_mat_fIfLi32ELi11ELi7ELb1EEvPKT_PKfPKiPfiiiiiiiiiiiiiiii
	.p2align	8
	.type	_ZL9mul_mat_fIfLi32ELi11ELi7ELb1EEvPKT_PKfPKiPfiiiiiiiiiiiiiiii,@function
_ZL9mul_mat_fIfLi32ELi11ELi7ELb1EEvPKT_PKfPKiPfiiiiiiiiiiiiiiii: ; @_ZL9mul_mat_fIfLi32ELi11ELi7ELb1EEvPKT_PKfPKiPfiiiiiiiiiiiiiiii
; %bb.0:
	s_add_u32 s8, s0, 0x60
	s_addc_u32 s9, s1, 0
	s_getpc_b64 s[0:1]
	s_add_u32 s0, s0, __FUNCTION__._ZL9mul_mat_fIfLi32ELi11ELi1ELb1EEvPKT_PKfPKiPfiiiiiiiiiiiiiiii@rel32@lo+4
	s_addc_u32 s1, s1, __FUNCTION__._ZL9mul_mat_fIfLi32ELi11ELi1ELb1EEvPKT_PKfPKiPfiiiiiiiiiiiiiiii@rel32@hi+12
	v_dual_mov_b32 v0, 59 :: v_dual_mov_b32 v1, s0
	v_mov_b32_e32 v2, s1
	s_mov_b32 s32, 0
	s_getpc_b64 s[2:3]
	s_add_u32 s2, s2, _ZL14no_device_codePKciS0_iS0_@rel32@lo+4
	s_addc_u32 s3, s3, _ZL14no_device_codePKciS0_iS0_@rel32@hi+12
	s_delay_alu instid0(SALU_CYCLE_1)
	s_swappc_b64 s[30:31], s[2:3]
	.section	.rodata,"a",@progbits
	.p2align	6, 0x0
	.amdhsa_kernel _ZL9mul_mat_fIfLi32ELi11ELi7ELb1EEvPKT_PKfPKiPfiiiiiiiiiiiiiiii
		.amdhsa_group_segment_fixed_size 0
		.amdhsa_private_segment_fixed_size 16
		.amdhsa_kernarg_size 352
		.amdhsa_user_sgpr_count 15
		.amdhsa_user_sgpr_dispatch_ptr 0
		.amdhsa_user_sgpr_queue_ptr 0
		.amdhsa_user_sgpr_kernarg_segment_ptr 1
		.amdhsa_user_sgpr_dispatch_id 0
		.amdhsa_user_sgpr_private_segment_size 0
		.amdhsa_wavefront_size32 1
		.amdhsa_uses_dynamic_stack 0
		.amdhsa_enable_private_segment 1
		.amdhsa_system_sgpr_workgroup_id_x 1
		.amdhsa_system_sgpr_workgroup_id_y 0
		.amdhsa_system_sgpr_workgroup_id_z 0
		.amdhsa_system_sgpr_workgroup_info 0
		.amdhsa_system_vgpr_workitem_id 0
		.amdhsa_next_free_vgpr 38
		.amdhsa_next_free_sgpr 34
		.amdhsa_reserve_vcc 1
		.amdhsa_float_round_mode_32 0
		.amdhsa_float_round_mode_16_64 0
		.amdhsa_float_denorm_mode_32 3
		.amdhsa_float_denorm_mode_16_64 3
		.amdhsa_dx10_clamp 1
		.amdhsa_ieee_mode 1
		.amdhsa_fp16_overflow 0
		.amdhsa_workgroup_processor_mode 1
		.amdhsa_memory_ordered 1
		.amdhsa_forward_progress 0
		.amdhsa_shared_vgpr_count 0
		.amdhsa_exception_fp_ieee_invalid_op 0
		.amdhsa_exception_fp_denorm_src 0
		.amdhsa_exception_fp_ieee_div_zero 0
		.amdhsa_exception_fp_ieee_overflow 0
		.amdhsa_exception_fp_ieee_underflow 0
		.amdhsa_exception_fp_ieee_inexact 0
		.amdhsa_exception_int_div_zero 0
	.end_amdhsa_kernel
	.section	.text._ZL9mul_mat_fIfLi32ELi11ELi7ELb1EEvPKT_PKfPKiPfiiiiiiiiiiiiiiii,"axG",@progbits,_ZL9mul_mat_fIfLi32ELi11ELi7ELb1EEvPKT_PKfPKiPfiiiiiiiiiiiiiiii,comdat
.Lfunc_end22:
	.size	_ZL9mul_mat_fIfLi32ELi11ELi7ELb1EEvPKT_PKfPKiPfiiiiiiiiiiiiiiii, .Lfunc_end22-_ZL9mul_mat_fIfLi32ELi11ELi7ELb1EEvPKT_PKfPKiPfiiiiiiiiiiiiiiii
                                        ; -- End function
	.section	.AMDGPU.csdata,"",@progbits
; Kernel info:
; codeLenInByte = 76
; NumSgprs: 36
; NumVgprs: 38
; ScratchSize: 16
; MemoryBound: 0
; FloatMode: 240
; IeeeMode: 1
; LDSByteSize: 0 bytes/workgroup (compile time only)
; SGPRBlocks: 4
; VGPRBlocks: 4
; NumSGPRsForWavesPerEU: 36
; NumVGPRsForWavesPerEU: 38
; Occupancy: 16
; WaveLimiterHint : 1
; COMPUTE_PGM_RSRC2:SCRATCH_EN: 1
; COMPUTE_PGM_RSRC2:USER_SGPR: 15
; COMPUTE_PGM_RSRC2:TRAP_HANDLER: 0
; COMPUTE_PGM_RSRC2:TGID_X_EN: 1
; COMPUTE_PGM_RSRC2:TGID_Y_EN: 0
; COMPUTE_PGM_RSRC2:TGID_Z_EN: 0
; COMPUTE_PGM_RSRC2:TIDIG_COMP_CNT: 0
	.section	.text._ZL9mul_mat_fIfLi32ELi11ELi7ELb0EEvPKT_PKfPKiPfiiiiiiiiiiiiiiii,"axG",@progbits,_ZL9mul_mat_fIfLi32ELi11ELi7ELb0EEvPKT_PKfPKiPfiiiiiiiiiiiiiiii,comdat
	.globl	_ZL9mul_mat_fIfLi32ELi11ELi7ELb0EEvPKT_PKfPKiPfiiiiiiiiiiiiiiii ; -- Begin function _ZL9mul_mat_fIfLi32ELi11ELi7ELb0EEvPKT_PKfPKiPfiiiiiiiiiiiiiiii
	.p2align	8
	.type	_ZL9mul_mat_fIfLi32ELi11ELi7ELb0EEvPKT_PKfPKiPfiiiiiiiiiiiiiiii,@function
_ZL9mul_mat_fIfLi32ELi11ELi7ELb0EEvPKT_PKfPKiPfiiiiiiiiiiiiiiii: ; @_ZL9mul_mat_fIfLi32ELi11ELi7ELb0EEvPKT_PKfPKiPfiiiiiiiiiiiiiiii
; %bb.0:
	s_add_u32 s8, s0, 0x60
	s_addc_u32 s9, s1, 0
	s_getpc_b64 s[0:1]
	s_add_u32 s0, s0, __FUNCTION__._ZL9mul_mat_fIfLi32ELi11ELi1ELb1EEvPKT_PKfPKiPfiiiiiiiiiiiiiiii@rel32@lo+4
	s_addc_u32 s1, s1, __FUNCTION__._ZL9mul_mat_fIfLi32ELi11ELi1ELb1EEvPKT_PKfPKiPfiiiiiiiiiiiiiiii@rel32@hi+12
	v_dual_mov_b32 v0, 59 :: v_dual_mov_b32 v1, s0
	v_mov_b32_e32 v2, s1
	s_mov_b32 s32, 0
	s_getpc_b64 s[2:3]
	s_add_u32 s2, s2, _ZL14no_device_codePKciS0_iS0_@rel32@lo+4
	s_addc_u32 s3, s3, _ZL14no_device_codePKciS0_iS0_@rel32@hi+12
	s_delay_alu instid0(SALU_CYCLE_1)
	s_swappc_b64 s[30:31], s[2:3]
	.section	.rodata,"a",@progbits
	.p2align	6, 0x0
	.amdhsa_kernel _ZL9mul_mat_fIfLi32ELi11ELi7ELb0EEvPKT_PKfPKiPfiiiiiiiiiiiiiiii
		.amdhsa_group_segment_fixed_size 0
		.amdhsa_private_segment_fixed_size 16
		.amdhsa_kernarg_size 352
		.amdhsa_user_sgpr_count 15
		.amdhsa_user_sgpr_dispatch_ptr 0
		.amdhsa_user_sgpr_queue_ptr 0
		.amdhsa_user_sgpr_kernarg_segment_ptr 1
		.amdhsa_user_sgpr_dispatch_id 0
		.amdhsa_user_sgpr_private_segment_size 0
		.amdhsa_wavefront_size32 1
		.amdhsa_uses_dynamic_stack 0
		.amdhsa_enable_private_segment 1
		.amdhsa_system_sgpr_workgroup_id_x 1
		.amdhsa_system_sgpr_workgroup_id_y 0
		.amdhsa_system_sgpr_workgroup_id_z 0
		.amdhsa_system_sgpr_workgroup_info 0
		.amdhsa_system_vgpr_workitem_id 0
		.amdhsa_next_free_vgpr 38
		.amdhsa_next_free_sgpr 34
		.amdhsa_reserve_vcc 1
		.amdhsa_float_round_mode_32 0
		.amdhsa_float_round_mode_16_64 0
		.amdhsa_float_denorm_mode_32 3
		.amdhsa_float_denorm_mode_16_64 3
		.amdhsa_dx10_clamp 1
		.amdhsa_ieee_mode 1
		.amdhsa_fp16_overflow 0
		.amdhsa_workgroup_processor_mode 1
		.amdhsa_memory_ordered 1
		.amdhsa_forward_progress 0
		.amdhsa_shared_vgpr_count 0
		.amdhsa_exception_fp_ieee_invalid_op 0
		.amdhsa_exception_fp_denorm_src 0
		.amdhsa_exception_fp_ieee_div_zero 0
		.amdhsa_exception_fp_ieee_overflow 0
		.amdhsa_exception_fp_ieee_underflow 0
		.amdhsa_exception_fp_ieee_inexact 0
		.amdhsa_exception_int_div_zero 0
	.end_amdhsa_kernel
	.section	.text._ZL9mul_mat_fIfLi32ELi11ELi7ELb0EEvPKT_PKfPKiPfiiiiiiiiiiiiiiii,"axG",@progbits,_ZL9mul_mat_fIfLi32ELi11ELi7ELb0EEvPKT_PKfPKiPfiiiiiiiiiiiiiiii,comdat
.Lfunc_end23:
	.size	_ZL9mul_mat_fIfLi32ELi11ELi7ELb0EEvPKT_PKfPKiPfiiiiiiiiiiiiiiii, .Lfunc_end23-_ZL9mul_mat_fIfLi32ELi11ELi7ELb0EEvPKT_PKfPKiPfiiiiiiiiiiiiiiii
                                        ; -- End function
	.section	.AMDGPU.csdata,"",@progbits
; Kernel info:
; codeLenInByte = 76
; NumSgprs: 36
; NumVgprs: 38
; ScratchSize: 16
; MemoryBound: 0
; FloatMode: 240
; IeeeMode: 1
; LDSByteSize: 0 bytes/workgroup (compile time only)
; SGPRBlocks: 4
; VGPRBlocks: 4
; NumSGPRsForWavesPerEU: 36
; NumVGPRsForWavesPerEU: 38
; Occupancy: 16
; WaveLimiterHint : 1
; COMPUTE_PGM_RSRC2:SCRATCH_EN: 1
; COMPUTE_PGM_RSRC2:USER_SGPR: 15
; COMPUTE_PGM_RSRC2:TRAP_HANDLER: 0
; COMPUTE_PGM_RSRC2:TGID_X_EN: 1
; COMPUTE_PGM_RSRC2:TGID_Y_EN: 0
; COMPUTE_PGM_RSRC2:TGID_Z_EN: 0
; COMPUTE_PGM_RSRC2:TIDIG_COMP_CNT: 0
	.section	.text._ZL13mul_mat_f_idsIfLi32ELi11ELi8EEvPKT_PKfPKiS6_S6_Pfiiiiiiiiiiiiii15HIP_vector_typeIjLj3EES9_,"axG",@progbits,_ZL13mul_mat_f_idsIfLi32ELi11ELi8EEvPKT_PKfPKiS6_S6_Pfiiiiiiiiiiiiii15HIP_vector_typeIjLj3EES9_,comdat
	.globl	_ZL13mul_mat_f_idsIfLi32ELi11ELi8EEvPKT_PKfPKiS6_S6_Pfiiiiiiiiiiiiii15HIP_vector_typeIjLj3EES9_ ; -- Begin function _ZL13mul_mat_f_idsIfLi32ELi11ELi8EEvPKT_PKfPKiS6_S6_Pfiiiiiiiiiiiiii15HIP_vector_typeIjLj3EES9_
	.p2align	8
	.type	_ZL13mul_mat_f_idsIfLi32ELi11ELi8EEvPKT_PKfPKiS6_S6_Pfiiiiiiiiiiiiii15HIP_vector_typeIjLj3EES9_,@function
_ZL13mul_mat_f_idsIfLi32ELi11ELi8EEvPKT_PKfPKiS6_S6_Pfiiiiiiiiiiiiii15HIP_vector_typeIjLj3EES9_: ; @_ZL13mul_mat_f_idsIfLi32ELi11ELi8EEvPKT_PKfPKiS6_S6_Pfiiiiiiiiiiiiii15HIP_vector_typeIjLj3EES9_
; %bb.0:
	s_add_u32 s8, s0, 0x80
	s_addc_u32 s9, s1, 0
	s_getpc_b64 s[0:1]
	s_add_u32 s0, s0, __FUNCTION__._ZL13mul_mat_f_idsIfLi32ELi11ELi1EEvPKT_PKfPKiS6_S6_Pfiiiiiiiiiiiiii15HIP_vector_typeIjLj3EES9_@rel32@lo+4
	s_addc_u32 s1, s1, __FUNCTION__._ZL13mul_mat_f_idsIfLi32ELi11ELi1EEvPKT_PKfPKiS6_S6_Pfiiiiiiiiiiiiii15HIP_vector_typeIjLj3EES9_@rel32@hi+12
	v_dual_mov_b32 v0, 0x136 :: v_dual_mov_b32 v1, s0
	v_mov_b32_e32 v2, s1
	s_mov_b32 s32, 0
	s_getpc_b64 s[2:3]
	s_add_u32 s2, s2, _ZL14no_device_codePKciS0_iS0_@rel32@lo+4
	s_addc_u32 s3, s3, _ZL14no_device_codePKciS0_iS0_@rel32@hi+12
	s_delay_alu instid0(SALU_CYCLE_1)
	s_swappc_b64 s[30:31], s[2:3]
	.section	.rodata,"a",@progbits
	.p2align	6, 0x0
	.amdhsa_kernel _ZL13mul_mat_f_idsIfLi32ELi11ELi8EEvPKT_PKfPKiS6_S6_Pfiiiiiiiiiiiiii15HIP_vector_typeIjLj3EES9_
		.amdhsa_group_segment_fixed_size 0
		.amdhsa_private_segment_fixed_size 16
		.amdhsa_kernarg_size 384
		.amdhsa_user_sgpr_count 15
		.amdhsa_user_sgpr_dispatch_ptr 0
		.amdhsa_user_sgpr_queue_ptr 0
		.amdhsa_user_sgpr_kernarg_segment_ptr 1
		.amdhsa_user_sgpr_dispatch_id 0
		.amdhsa_user_sgpr_private_segment_size 0
		.amdhsa_wavefront_size32 1
		.amdhsa_uses_dynamic_stack 0
		.amdhsa_enable_private_segment 1
		.amdhsa_system_sgpr_workgroup_id_x 1
		.amdhsa_system_sgpr_workgroup_id_y 0
		.amdhsa_system_sgpr_workgroup_id_z 0
		.amdhsa_system_sgpr_workgroup_info 0
		.amdhsa_system_vgpr_workitem_id 0
		.amdhsa_next_free_vgpr 38
		.amdhsa_next_free_sgpr 34
		.amdhsa_reserve_vcc 1
		.amdhsa_float_round_mode_32 0
		.amdhsa_float_round_mode_16_64 0
		.amdhsa_float_denorm_mode_32 3
		.amdhsa_float_denorm_mode_16_64 3
		.amdhsa_dx10_clamp 1
		.amdhsa_ieee_mode 1
		.amdhsa_fp16_overflow 0
		.amdhsa_workgroup_processor_mode 1
		.amdhsa_memory_ordered 1
		.amdhsa_forward_progress 0
		.amdhsa_shared_vgpr_count 0
		.amdhsa_exception_fp_ieee_invalid_op 0
		.amdhsa_exception_fp_denorm_src 0
		.amdhsa_exception_fp_ieee_div_zero 0
		.amdhsa_exception_fp_ieee_overflow 0
		.amdhsa_exception_fp_ieee_underflow 0
		.amdhsa_exception_fp_ieee_inexact 0
		.amdhsa_exception_int_div_zero 0
	.end_amdhsa_kernel
	.section	.text._ZL13mul_mat_f_idsIfLi32ELi11ELi8EEvPKT_PKfPKiS6_S6_Pfiiiiiiiiiiiiii15HIP_vector_typeIjLj3EES9_,"axG",@progbits,_ZL13mul_mat_f_idsIfLi32ELi11ELi8EEvPKT_PKfPKiS6_S6_Pfiiiiiiiiiiiiii15HIP_vector_typeIjLj3EES9_,comdat
.Lfunc_end24:
	.size	_ZL13mul_mat_f_idsIfLi32ELi11ELi8EEvPKT_PKfPKiS6_S6_Pfiiiiiiiiiiiiii15HIP_vector_typeIjLj3EES9_, .Lfunc_end24-_ZL13mul_mat_f_idsIfLi32ELi11ELi8EEvPKT_PKfPKiS6_S6_Pfiiiiiiiiiiiiii15HIP_vector_typeIjLj3EES9_
                                        ; -- End function
	.section	.AMDGPU.csdata,"",@progbits
; Kernel info:
; codeLenInByte = 80
; NumSgprs: 36
; NumVgprs: 38
; ScratchSize: 16
; MemoryBound: 0
; FloatMode: 240
; IeeeMode: 1
; LDSByteSize: 0 bytes/workgroup (compile time only)
; SGPRBlocks: 4
; VGPRBlocks: 4
; NumSGPRsForWavesPerEU: 36
; NumVGPRsForWavesPerEU: 38
; Occupancy: 16
; WaveLimiterHint : 1
; COMPUTE_PGM_RSRC2:SCRATCH_EN: 1
; COMPUTE_PGM_RSRC2:USER_SGPR: 15
; COMPUTE_PGM_RSRC2:TRAP_HANDLER: 0
; COMPUTE_PGM_RSRC2:TGID_X_EN: 1
; COMPUTE_PGM_RSRC2:TGID_Y_EN: 0
; COMPUTE_PGM_RSRC2:TGID_Z_EN: 0
; COMPUTE_PGM_RSRC2:TIDIG_COMP_CNT: 0
	.section	.text._ZL9mul_mat_fIfLi32ELi11ELi8ELb1EEvPKT_PKfPKiPfiiiiiiiiiiiiiiii,"axG",@progbits,_ZL9mul_mat_fIfLi32ELi11ELi8ELb1EEvPKT_PKfPKiPfiiiiiiiiiiiiiiii,comdat
	.globl	_ZL9mul_mat_fIfLi32ELi11ELi8ELb1EEvPKT_PKfPKiPfiiiiiiiiiiiiiiii ; -- Begin function _ZL9mul_mat_fIfLi32ELi11ELi8ELb1EEvPKT_PKfPKiPfiiiiiiiiiiiiiiii
	.p2align	8
	.type	_ZL9mul_mat_fIfLi32ELi11ELi8ELb1EEvPKT_PKfPKiPfiiiiiiiiiiiiiiii,@function
_ZL9mul_mat_fIfLi32ELi11ELi8ELb1EEvPKT_PKfPKiPfiiiiiiiiiiiiiiii: ; @_ZL9mul_mat_fIfLi32ELi11ELi8ELb1EEvPKT_PKfPKiPfiiiiiiiiiiiiiiii
; %bb.0:
	s_add_u32 s8, s0, 0x60
	s_addc_u32 s9, s1, 0
	s_getpc_b64 s[0:1]
	s_add_u32 s0, s0, __FUNCTION__._ZL9mul_mat_fIfLi32ELi11ELi1ELb1EEvPKT_PKfPKiPfiiiiiiiiiiiiiiii@rel32@lo+4
	s_addc_u32 s1, s1, __FUNCTION__._ZL9mul_mat_fIfLi32ELi11ELi1ELb1EEvPKT_PKfPKiPfiiiiiiiiiiiiiiii@rel32@hi+12
	v_dual_mov_b32 v0, 59 :: v_dual_mov_b32 v1, s0
	v_mov_b32_e32 v2, s1
	s_mov_b32 s32, 0
	s_getpc_b64 s[2:3]
	s_add_u32 s2, s2, _ZL14no_device_codePKciS0_iS0_@rel32@lo+4
	s_addc_u32 s3, s3, _ZL14no_device_codePKciS0_iS0_@rel32@hi+12
	s_delay_alu instid0(SALU_CYCLE_1)
	s_swappc_b64 s[30:31], s[2:3]
	.section	.rodata,"a",@progbits
	.p2align	6, 0x0
	.amdhsa_kernel _ZL9mul_mat_fIfLi32ELi11ELi8ELb1EEvPKT_PKfPKiPfiiiiiiiiiiiiiiii
		.amdhsa_group_segment_fixed_size 0
		.amdhsa_private_segment_fixed_size 16
		.amdhsa_kernarg_size 352
		.amdhsa_user_sgpr_count 15
		.amdhsa_user_sgpr_dispatch_ptr 0
		.amdhsa_user_sgpr_queue_ptr 0
		.amdhsa_user_sgpr_kernarg_segment_ptr 1
		.amdhsa_user_sgpr_dispatch_id 0
		.amdhsa_user_sgpr_private_segment_size 0
		.amdhsa_wavefront_size32 1
		.amdhsa_uses_dynamic_stack 0
		.amdhsa_enable_private_segment 1
		.amdhsa_system_sgpr_workgroup_id_x 1
		.amdhsa_system_sgpr_workgroup_id_y 0
		.amdhsa_system_sgpr_workgroup_id_z 0
		.amdhsa_system_sgpr_workgroup_info 0
		.amdhsa_system_vgpr_workitem_id 0
		.amdhsa_next_free_vgpr 38
		.amdhsa_next_free_sgpr 34
		.amdhsa_reserve_vcc 1
		.amdhsa_float_round_mode_32 0
		.amdhsa_float_round_mode_16_64 0
		.amdhsa_float_denorm_mode_32 3
		.amdhsa_float_denorm_mode_16_64 3
		.amdhsa_dx10_clamp 1
		.amdhsa_ieee_mode 1
		.amdhsa_fp16_overflow 0
		.amdhsa_workgroup_processor_mode 1
		.amdhsa_memory_ordered 1
		.amdhsa_forward_progress 0
		.amdhsa_shared_vgpr_count 0
		.amdhsa_exception_fp_ieee_invalid_op 0
		.amdhsa_exception_fp_denorm_src 0
		.amdhsa_exception_fp_ieee_div_zero 0
		.amdhsa_exception_fp_ieee_overflow 0
		.amdhsa_exception_fp_ieee_underflow 0
		.amdhsa_exception_fp_ieee_inexact 0
		.amdhsa_exception_int_div_zero 0
	.end_amdhsa_kernel
	.section	.text._ZL9mul_mat_fIfLi32ELi11ELi8ELb1EEvPKT_PKfPKiPfiiiiiiiiiiiiiiii,"axG",@progbits,_ZL9mul_mat_fIfLi32ELi11ELi8ELb1EEvPKT_PKfPKiPfiiiiiiiiiiiiiiii,comdat
.Lfunc_end25:
	.size	_ZL9mul_mat_fIfLi32ELi11ELi8ELb1EEvPKT_PKfPKiPfiiiiiiiiiiiiiiii, .Lfunc_end25-_ZL9mul_mat_fIfLi32ELi11ELi8ELb1EEvPKT_PKfPKiPfiiiiiiiiiiiiiiii
                                        ; -- End function
	.section	.AMDGPU.csdata,"",@progbits
; Kernel info:
; codeLenInByte = 76
; NumSgprs: 36
; NumVgprs: 38
; ScratchSize: 16
; MemoryBound: 0
; FloatMode: 240
; IeeeMode: 1
; LDSByteSize: 0 bytes/workgroup (compile time only)
; SGPRBlocks: 4
; VGPRBlocks: 4
; NumSGPRsForWavesPerEU: 36
; NumVGPRsForWavesPerEU: 38
; Occupancy: 16
; WaveLimiterHint : 1
; COMPUTE_PGM_RSRC2:SCRATCH_EN: 1
; COMPUTE_PGM_RSRC2:USER_SGPR: 15
; COMPUTE_PGM_RSRC2:TRAP_HANDLER: 0
; COMPUTE_PGM_RSRC2:TGID_X_EN: 1
; COMPUTE_PGM_RSRC2:TGID_Y_EN: 0
; COMPUTE_PGM_RSRC2:TGID_Z_EN: 0
; COMPUTE_PGM_RSRC2:TIDIG_COMP_CNT: 0
	.section	.text._ZL9mul_mat_fIfLi32ELi11ELi8ELb0EEvPKT_PKfPKiPfiiiiiiiiiiiiiiii,"axG",@progbits,_ZL9mul_mat_fIfLi32ELi11ELi8ELb0EEvPKT_PKfPKiPfiiiiiiiiiiiiiiii,comdat
	.globl	_ZL9mul_mat_fIfLi32ELi11ELi8ELb0EEvPKT_PKfPKiPfiiiiiiiiiiiiiiii ; -- Begin function _ZL9mul_mat_fIfLi32ELi11ELi8ELb0EEvPKT_PKfPKiPfiiiiiiiiiiiiiiii
	.p2align	8
	.type	_ZL9mul_mat_fIfLi32ELi11ELi8ELb0EEvPKT_PKfPKiPfiiiiiiiiiiiiiiii,@function
_ZL9mul_mat_fIfLi32ELi11ELi8ELb0EEvPKT_PKfPKiPfiiiiiiiiiiiiiiii: ; @_ZL9mul_mat_fIfLi32ELi11ELi8ELb0EEvPKT_PKfPKiPfiiiiiiiiiiiiiiii
; %bb.0:
	s_add_u32 s8, s0, 0x60
	s_addc_u32 s9, s1, 0
	s_getpc_b64 s[0:1]
	s_add_u32 s0, s0, __FUNCTION__._ZL9mul_mat_fIfLi32ELi11ELi1ELb1EEvPKT_PKfPKiPfiiiiiiiiiiiiiiii@rel32@lo+4
	s_addc_u32 s1, s1, __FUNCTION__._ZL9mul_mat_fIfLi32ELi11ELi1ELb1EEvPKT_PKfPKiPfiiiiiiiiiiiiiiii@rel32@hi+12
	v_dual_mov_b32 v0, 59 :: v_dual_mov_b32 v1, s0
	v_mov_b32_e32 v2, s1
	s_mov_b32 s32, 0
	s_getpc_b64 s[2:3]
	s_add_u32 s2, s2, _ZL14no_device_codePKciS0_iS0_@rel32@lo+4
	s_addc_u32 s3, s3, _ZL14no_device_codePKciS0_iS0_@rel32@hi+12
	s_delay_alu instid0(SALU_CYCLE_1)
	s_swappc_b64 s[30:31], s[2:3]
	.section	.rodata,"a",@progbits
	.p2align	6, 0x0
	.amdhsa_kernel _ZL9mul_mat_fIfLi32ELi11ELi8ELb0EEvPKT_PKfPKiPfiiiiiiiiiiiiiiii
		.amdhsa_group_segment_fixed_size 0
		.amdhsa_private_segment_fixed_size 16
		.amdhsa_kernarg_size 352
		.amdhsa_user_sgpr_count 15
		.amdhsa_user_sgpr_dispatch_ptr 0
		.amdhsa_user_sgpr_queue_ptr 0
		.amdhsa_user_sgpr_kernarg_segment_ptr 1
		.amdhsa_user_sgpr_dispatch_id 0
		.amdhsa_user_sgpr_private_segment_size 0
		.amdhsa_wavefront_size32 1
		.amdhsa_uses_dynamic_stack 0
		.amdhsa_enable_private_segment 1
		.amdhsa_system_sgpr_workgroup_id_x 1
		.amdhsa_system_sgpr_workgroup_id_y 0
		.amdhsa_system_sgpr_workgroup_id_z 0
		.amdhsa_system_sgpr_workgroup_info 0
		.amdhsa_system_vgpr_workitem_id 0
		.amdhsa_next_free_vgpr 38
		.amdhsa_next_free_sgpr 34
		.amdhsa_reserve_vcc 1
		.amdhsa_float_round_mode_32 0
		.amdhsa_float_round_mode_16_64 0
		.amdhsa_float_denorm_mode_32 3
		.amdhsa_float_denorm_mode_16_64 3
		.amdhsa_dx10_clamp 1
		.amdhsa_ieee_mode 1
		.amdhsa_fp16_overflow 0
		.amdhsa_workgroup_processor_mode 1
		.amdhsa_memory_ordered 1
		.amdhsa_forward_progress 0
		.amdhsa_shared_vgpr_count 0
		.amdhsa_exception_fp_ieee_invalid_op 0
		.amdhsa_exception_fp_denorm_src 0
		.amdhsa_exception_fp_ieee_div_zero 0
		.amdhsa_exception_fp_ieee_overflow 0
		.amdhsa_exception_fp_ieee_underflow 0
		.amdhsa_exception_fp_ieee_inexact 0
		.amdhsa_exception_int_div_zero 0
	.end_amdhsa_kernel
	.section	.text._ZL9mul_mat_fIfLi32ELi11ELi8ELb0EEvPKT_PKfPKiPfiiiiiiiiiiiiiiii,"axG",@progbits,_ZL9mul_mat_fIfLi32ELi11ELi8ELb0EEvPKT_PKfPKiPfiiiiiiiiiiiiiiii,comdat
.Lfunc_end26:
	.size	_ZL9mul_mat_fIfLi32ELi11ELi8ELb0EEvPKT_PKfPKiPfiiiiiiiiiiiiiiii, .Lfunc_end26-_ZL9mul_mat_fIfLi32ELi11ELi8ELb0EEvPKT_PKfPKiPfiiiiiiiiiiiiiiii
                                        ; -- End function
	.section	.AMDGPU.csdata,"",@progbits
; Kernel info:
; codeLenInByte = 76
; NumSgprs: 36
; NumVgprs: 38
; ScratchSize: 16
; MemoryBound: 0
; FloatMode: 240
; IeeeMode: 1
; LDSByteSize: 0 bytes/workgroup (compile time only)
; SGPRBlocks: 4
; VGPRBlocks: 4
; NumSGPRsForWavesPerEU: 36
; NumVGPRsForWavesPerEU: 38
; Occupancy: 16
; WaveLimiterHint : 1
; COMPUTE_PGM_RSRC2:SCRATCH_EN: 1
; COMPUTE_PGM_RSRC2:USER_SGPR: 15
; COMPUTE_PGM_RSRC2:TRAP_HANDLER: 0
; COMPUTE_PGM_RSRC2:TGID_X_EN: 1
; COMPUTE_PGM_RSRC2:TGID_Y_EN: 0
; COMPUTE_PGM_RSRC2:TGID_Z_EN: 0
; COMPUTE_PGM_RSRC2:TIDIG_COMP_CNT: 0
	.section	.text._ZL13mul_mat_f_idsI7__half2Li32ELi11ELi1EEvPKT_PKfPKiS7_S7_Pfiiiiiiiiiiiiii15HIP_vector_typeIjLj3EESA_,"axG",@progbits,_ZL13mul_mat_f_idsI7__half2Li32ELi11ELi1EEvPKT_PKfPKiS7_S7_Pfiiiiiiiiiiiiii15HIP_vector_typeIjLj3EESA_,comdat
	.globl	_ZL13mul_mat_f_idsI7__half2Li32ELi11ELi1EEvPKT_PKfPKiS7_S7_Pfiiiiiiiiiiiiii15HIP_vector_typeIjLj3EESA_ ; -- Begin function _ZL13mul_mat_f_idsI7__half2Li32ELi11ELi1EEvPKT_PKfPKiS7_S7_Pfiiiiiiiiiiiiii15HIP_vector_typeIjLj3EESA_
	.p2align	8
	.type	_ZL13mul_mat_f_idsI7__half2Li32ELi11ELi1EEvPKT_PKfPKiS7_S7_Pfiiiiiiiiiiiiii15HIP_vector_typeIjLj3EESA_,@function
_ZL13mul_mat_f_idsI7__half2Li32ELi11ELi1EEvPKT_PKfPKiS7_S7_Pfiiiiiiiiiiiiii15HIP_vector_typeIjLj3EESA_: ; @_ZL13mul_mat_f_idsI7__half2Li32ELi11ELi1EEvPKT_PKfPKiS7_S7_Pfiiiiiiiiiiiiii15HIP_vector_typeIjLj3EESA_
; %bb.0:
	s_load_b64 s[4:5], s[0:1], 0x20
	s_mov_b32 s2, s15
	s_ashr_i32 s15, s14, 31
	s_delay_alu instid0(SALU_CYCLE_1)
	s_lshl_b64 s[6:7], s[14:15], 2
	s_waitcnt lgkmcnt(0)
	s_add_u32 s4, s4, s6
	s_addc_u32 s5, s5, s7
	s_load_b64 s[30:31], s[4:5], 0x0
	s_waitcnt lgkmcnt(0)
	s_sub_i32 s33, s31, s30
	s_delay_alu instid0(SALU_CYCLE_1) | instskip(NEXT) | instid1(SALU_CYCLE_1)
	s_add_i32 s3, s33, 10
	s_mul_hi_i32 s3, s3, 0x2e8ba2e9
	s_delay_alu instid0(SALU_CYCLE_1) | instskip(SKIP_1) | instid1(SALU_CYCLE_1)
	s_lshr_b32 s4, s3, 31
	s_ashr_i32 s3, s3, 1
	s_add_i32 s3, s3, s4
	s_delay_alu instid0(SALU_CYCLE_1)
	s_cmp_ge_i32 s2, s3
	s_cbranch_scc1 .LBB27_73
; %bb.1:
	s_clause 0x4
	s_load_b128 s[8:11], s[0:1], 0x30
	s_load_b64 s[24:25], s[0:1], 0x40
	s_load_b128 s[4:7], s[0:1], 0x4c
	s_load_b128 s[16:19], s[0:1], 0x68
	s_load_b64 s[26:27], s[0:1], 0x78
	v_bfe_u32 v105, v0, 10, 10
	v_and_b32_e32 v106, 0x3ff, v0
	s_ashr_i32 s31, s30, 31
	s_waitcnt lgkmcnt(0)
	s_mov_b32 s7, exec_lo
                                        ; implicit-def: $sgpr3
                                        ; implicit-def: $vgpr108
	v_lshlrev_b32_e32 v107, 5, v105
	v_and_b32_e32 v16, 15, v106
	s_delay_alu instid0(VALU_DEP_2) | instskip(NEXT) | instid1(VALU_DEP_1)
	v_or_b32_e32 v80, v107, v106
	v_cmpx_le_i32_e64 s8, v80
	s_xor_b32 s7, exec_lo, s7
; %bb.2:
	s_delay_alu instid0(VALU_DEP_3)
	v_mul_u32_u24_e32 v108, 0x90, v16
	s_mov_b32 s3, 0
                                        ; implicit-def: $vgpr80
                                        ; implicit-def: $vgpr16
; %bb.3:
	s_or_saveexec_b32 s36, s7
	s_clause 0x1
	s_load_b64 s[34:35], s[0:1], 0x18
	s_load_b64 s[28:29], s[0:1], 0x28
	v_dual_mov_b32 v7, s3 :: v_dual_mov_b32 v6, s3
	v_dual_mov_b32 v5, s3 :: v_dual_mov_b32 v4, s3
	;; [unrolled: 1-line block ×8, first 2 shown]
	s_lshl_b32 s7, s13, 5
	s_mul_i32 s2, s2, 11
	s_xor_b32 exec_lo, exec_lo, s36
	s_cbranch_execz .LBB27_40
; %bb.4:
	s_clause 0x1
	s_load_b128 s[20:23], s[0:1], 0x0
	s_load_b64 s[12:13], s[0:1], 0x10
	s_mul_i32 s0, s7, s11
	s_mul_i32 s14, s14, s4
	s_ashr_i32 s1, s0, 31
	s_ashr_i32 s15, s14, 31
	s_lshl_b64 s[0:1], s[0:1], 2
	s_lshl_b64 s[14:15], s[14:15], 2
	v_dual_mov_b32 v110, 0 :: v_dual_lshlrev_b32 v1, 2, v106
	s_add_u32 s0, s14, s0
	s_addc_u32 s47, s15, s1
	v_lshlrev_b32_e32 v2, 7, v105
	v_mad_u32_u24 v0, 0x900, v105, 0
	v_mov_b32_e32 v9, v110
	v_mul_u32_u24_e32 v108, 0x90, v16
	v_mov_b32_e32 v8, 0
	s_delay_alu instid0(VALU_DEP_4)
	v_dual_mov_b32 v10, v110 :: v_dual_add_nc_u32 v109, v0, v1
	v_mov_b32_e32 v11, v110
	s_waitcnt lgkmcnt(0)
	s_add_u32 s1, s0, s20
	s_addc_u32 s4, s47, s21
	s_lshl_b64 s[14:15], s[30:31], 2
	v_add_co_u32 v2, s0, s0, v2
	s_add_u32 s14, s12, s14
	s_addc_u32 s15, s13, s15
	s_cmp_lt_i32 s2, s33
	v_add_co_ci_u32_e64 v3, null, s47, 0, s0
	s_cselect_b32 s37, -1, 0
	s_ashr_i32 s3, s2, 31
	v_add_co_u32 v1, vcc_lo, v2, v1
	s_lshl_b64 s[12:13], s[2:3], 2
	v_add_co_ci_u32_e32 v2, vcc_lo, 0, v3, vcc_lo
	s_add_u32 s12, s14, s12
	s_addc_u32 s13, s15, s13
	s_add_i32 s3, s2, 1
	v_add_co_u32 v81, vcc_lo, s20, v1
	s_cmp_lt_i32 s3, s33
	v_add_co_ci_u32_e32 v82, vcc_lo, s21, v2, vcc_lo
	s_cselect_b32 s3, -1, 0
	s_add_i32 s14, s2, 2
	v_add_nc_u32_e32 v111, v0, v108
	s_cmp_lt_i32 s14, s33
	v_mov_b32_e32 v12, v110
	s_cselect_b32 s38, -1, 0
	s_add_i32 s14, s2, 3
	v_mov_b32_e32 v13, v110
	s_cmp_lt_i32 s14, s33
	v_mov_b32_e32 v14, v110
	s_cselect_b32 s39, -1, 0
	s_add_i32 s14, s2, 4
	v_mov_b32_e32 v15, v110
	;; [unrolled: 5-line block ×6, first 2 shown]
	s_cmp_lt_i32 s15, s33
	s_mov_b32 s14, s11
	s_cselect_b32 s46, -1, 0
	s_add_i32 s15, s2, 9
	s_mov_b32 s41, 0
	s_cmp_lt_i32 s15, s33
	s_mul_i32 s45, s11, 3
	s_cselect_b32 s47, -1, 0
	s_add_i32 s0, s2, 10
	s_mul_i32 s49, s11, 5
	s_cmp_lt_i32 s0, s33
	s_mul_i32 s50, s11, 6
	s_cselect_b32 s20, -1, 0
	s_ashr_i32 s15, s11, 31
	s_lshl_b32 s21, s11, 1
	s_lshl_b32 s48, s11, 2
	s_lshl_b64 s[14:15], s[14:15], 2
	s_mul_i32 s51, s11, 7
	s_lshl_b32 s52, s11, 3
	s_mul_i32 s53, s11, 9
	s_mul_i32 s54, s11, 10
	s_mul_i32 s55, s11, 11
	s_mul_i32 s56, s11, 12
	s_mul_i32 s57, s11, 13
	s_mul_i32 s58, s11, 14
	s_mul_i32 s59, s11, 15
	s_lshl_b32 s60, s11, 4
	s_mul_i32 s61, s11, 17
	s_mul_i32 s62, s11, 18
	;; [unrolled: 1-line block ×15, first 2 shown]
	s_branch .LBB27_6
.LBB27_5:                               ;   in Loop: Header=BB27_6 Depth=1
	s_waitcnt vmcnt(0)
	v_cvt_f16_f32_e32 v83, v83
	v_cvt_f16_f32_e32 v84, v84
	;; [unrolled: 1-line block ×8, first 2 shown]
	v_pack_b32_f16 v83, v83, v84
	v_pack_b32_f16 v84, v87, v88
	v_cvt_f16_f32_e32 v87, v89
	v_cvt_f16_f32_e32 v88, v90
	v_pack_b32_f16 v85, v85, v86
	v_pack_b32_f16 v86, v91, v92
	v_cvt_f16_f32_e32 v89, v95
	v_cvt_f16_f32_e32 v90, v96
	;; [unrolled: 1-line block ×4, first 2 shown]
	ds_store_2addr_b32 v109, v83, v84 offset1:36
	ds_store_2addr_b32 v109, v85, v86 offset0:72 offset1:108
	v_pack_b32_f16 v83, v87, v88
	v_cvt_f16_f32_e32 v86, v99
	v_cvt_f16_f32_e32 v87, v100
	v_pack_b32_f16 v84, v89, v90
	v_pack_b32_f16 v85, v91, v92
	v_cvt_f16_f32_e32 v88, v97
	v_cvt_f16_f32_e32 v89, v98
	;; [unrolled: 1-line block ×6, first 2 shown]
	v_pack_b32_f16 v86, v86, v87
	v_pack_b32_f16 v87, v88, v89
	;; [unrolled: 1-line block ×3, first 2 shown]
	v_add_nc_u32_e32 v89, 0x400, v109
	v_pack_b32_f16 v90, v92, v93
	ds_store_2addr_b32 v109, v83, v84 offset0:144 offset1:180
	v_add_nc_u32_e32 v83, 0x600, v109
	ds_store_2addr_b32 v109, v85, v86 offset0:216 offset1:252
	ds_store_2addr_b32 v89, v87, v88 offset0:32 offset1:68
	;; [unrolled: 1-line block ×5, first 2 shown]
	ds_load_b128 v[83:86], v111
	ds_load_b128 v[87:90], v111 offset:16
	ds_load_b128 v[91:94], v111 offset:32
	;; [unrolled: 1-line block ×5, first 2 shown]
	v_add_nc_u32_e32 v80, 32, v80
	v_add_co_u32 v81, s0, 0x80, v81
	s_delay_alu instid0(VALU_DEP_1) | instskip(NEXT) | instid1(VALU_DEP_3)
	v_add_co_ci_u32_e64 v82, s0, 0, v82, s0
	v_cmp_le_i32_e32 vcc_lo, s8, v80
	s_or_b32 s41, vcc_lo, s41
	s_waitcnt lgkmcnt(4)
	v_wmma_f32_16x16x16_f16 v[8:15], v[48:55], v[83:90], v[8:15]
	ds_load_b128 v[48:51], v111 offset:96
	ds_load_b128 v[52:55], v111 offset:112
	v_wmma_f32_16x16x16_f16 v[0:7], v[72:79], v[83:90], v[0:7]
	s_waitcnt lgkmcnt(4)
	v_wmma_f32_16x16x16_f16 v[8:15], v[32:39], v[91:98], v[8:15]
	s_delay_alu instid0(VALU_DEP_2) | instskip(SKIP_1) | instid1(VALU_DEP_2)
	v_wmma_f32_16x16x16_f16 v[0:7], v[64:71], v[91:98], v[0:7]
	s_waitcnt lgkmcnt(2)
	v_wmma_f32_16x16x16_f16 v[8:15], v[24:31], v[112:119], v[8:15]
	s_delay_alu instid0(VALU_DEP_2) | instskip(SKIP_1) | instid1(VALU_DEP_2)
	v_wmma_f32_16x16x16_f16 v[0:7], v[56:63], v[112:119], v[0:7]
	s_waitcnt lgkmcnt(0)
	v_wmma_f32_16x16x16_f16 v[8:15], v[16:23], v[48:55], v[8:15]
	s_delay_alu instid0(VALU_DEP_2)
	v_wmma_f32_16x16x16_f16 v[0:7], v[40:47], v[48:55], v[0:7]
	s_and_not1_b32 exec_lo, exec_lo, s41
	s_cbranch_execz .LBB27_39
.LBB27_6:                               ; =>This Inner Loop Header: Depth=1
	v_dual_mov_b32 v83, 0 :: v_dual_add_nc_u32 v16, s21, v80
	v_add_nc_u32_e32 v22, s48, v80
	v_add_nc_u32_e32 v18, s45, v80
	v_add_co_u32 v20, vcc_lo, v81, s14
	s_delay_alu instid0(VALU_DEP_4)
	v_ashrrev_i32_e32 v17, 31, v16
	v_add_co_ci_u32_e32 v21, vcc_lo, s15, v82, vcc_lo
	v_ashrrev_i32_e32 v23, 31, v22
	v_ashrrev_i32_e32 v19, 31, v18
	v_add_nc_u32_e32 v24, s49, v80
	v_lshlrev_b64 v[16:17], 2, v[16:17]
	s_clause 0x1
	global_load_b32 v38, v[81:82], off
	global_load_b32 v39, v[20:21], off
	v_lshlrev_b64 v[20:21], 2, v[22:23]
	v_add_nc_u32_e32 v22, s50, v80
	v_lshlrev_b64 v[18:19], 2, v[18:19]
	v_ashrrev_i32_e32 v25, 31, v24
	v_add_nc_u32_e32 v26, s51, v80
	v_add_co_u32 v16, vcc_lo, s1, v16
	v_ashrrev_i32_e32 v23, 31, v22
	v_add_co_ci_u32_e32 v17, vcc_lo, s4, v17, vcc_lo
	v_add_nc_u32_e32 v28, s52, v80
	v_add_co_u32 v18, vcc_lo, s1, v18
	v_lshlrev_b64 v[24:25], 2, v[24:25]
	v_ashrrev_i32_e32 v27, 31, v26
	v_add_co_ci_u32_e32 v19, vcc_lo, s4, v19, vcc_lo
	v_add_nc_u32_e32 v30, s53, v80
	v_add_co_u32 v20, vcc_lo, s1, v20
	v_lshlrev_b64 v[22:23], 2, v[22:23]
	v_ashrrev_i32_e32 v29, 31, v28
	v_add_co_ci_u32_e32 v21, vcc_lo, s4, v21, vcc_lo
	v_add_co_u32 v24, vcc_lo, s1, v24
	v_lshlrev_b64 v[26:27], 2, v[26:27]
	v_ashrrev_i32_e32 v31, 31, v30
	v_add_co_ci_u32_e32 v25, vcc_lo, s4, v25, vcc_lo
	v_add_co_u32 v22, vcc_lo, s1, v22
	v_lshlrev_b64 v[28:29], 2, v[28:29]
	v_add_co_ci_u32_e32 v23, vcc_lo, s4, v23, vcc_lo
	v_add_nc_u32_e32 v32, s54, v80
	v_add_co_u32 v26, vcc_lo, s1, v26
	v_lshlrev_b64 v[30:31], 2, v[30:31]
	v_add_co_ci_u32_e32 v27, vcc_lo, s4, v27, vcc_lo
	v_add_nc_u32_e32 v34, s55, v80
	v_add_co_u32 v28, vcc_lo, s1, v28
	v_ashrrev_i32_e32 v33, 31, v32
	v_add_co_ci_u32_e32 v29, vcc_lo, s4, v29, vcc_lo
	v_add_nc_u32_e32 v36, s56, v80
	v_add_co_u32 v30, vcc_lo, s1, v30
	v_ashrrev_i32_e32 v35, 31, v34
	v_add_co_ci_u32_e32 v31, vcc_lo, s4, v31, vcc_lo
	s_clause 0x7
	global_load_b32 v40, v[16:17], off
	global_load_b32 v41, v[18:19], off
	global_load_b32 v42, v[20:21], off
	global_load_b32 v43, v[24:25], off
	global_load_b32 v44, v[22:23], off
	global_load_b32 v45, v[26:27], off
	global_load_b32 v46, v[28:29], off
	global_load_b32 v47, v[30:31], off
	v_add_nc_u32_e32 v18, s57, v80
	v_lshlrev_b64 v[32:33], 2, v[32:33]
	v_ashrrev_i32_e32 v37, 31, v36
	v_add_nc_u32_e32 v24, s58, v80
	v_lshlrev_b64 v[16:17], 2, v[34:35]
	v_ashrrev_i32_e32 v19, 31, v18
	v_add_nc_u32_e32 v26, s59, v80
	v_add_co_u32 v20, vcc_lo, s1, v32
	v_lshlrev_b64 v[22:23], 2, v[36:37]
	v_ashrrev_i32_e32 v25, 31, v24
	v_add_co_ci_u32_e32 v21, vcc_lo, s4, v33, vcc_lo
	v_add_nc_u32_e32 v28, s60, v80
	v_add_co_u32 v16, vcc_lo, s1, v16
	v_lshlrev_b64 v[18:19], 2, v[18:19]
	v_ashrrev_i32_e32 v27, 31, v26
	v_add_co_ci_u32_e32 v17, vcc_lo, s4, v17, vcc_lo
	v_add_nc_u32_e32 v30, s61, v80
	v_add_co_u32 v22, vcc_lo, s1, v22
	v_lshlrev_b64 v[24:25], 2, v[24:25]
	v_ashrrev_i32_e32 v29, 31, v28
	v_add_co_ci_u32_e32 v23, vcc_lo, s4, v23, vcc_lo
	v_add_co_u32 v18, vcc_lo, s1, v18
	v_lshlrev_b64 v[26:27], 2, v[26:27]
	v_ashrrev_i32_e32 v31, 31, v30
	v_add_co_ci_u32_e32 v19, vcc_lo, s4, v19, vcc_lo
	v_add_co_u32 v24, vcc_lo, s1, v24
	v_lshlrev_b64 v[28:29], 2, v[28:29]
	v_add_co_ci_u32_e32 v25, vcc_lo, s4, v25, vcc_lo
	v_add_nc_u32_e32 v32, s62, v80
	v_add_co_u32 v26, vcc_lo, s1, v26
	v_lshlrev_b64 v[30:31], 2, v[30:31]
	v_add_co_ci_u32_e32 v27, vcc_lo, s4, v27, vcc_lo
	v_add_nc_u32_e32 v34, s63, v80
	v_add_co_u32 v28, vcc_lo, s1, v28
	v_ashrrev_i32_e32 v33, 31, v32
	v_add_co_ci_u32_e32 v29, vcc_lo, s4, v29, vcc_lo
	v_add_nc_u32_e32 v36, s64, v80
	v_add_co_u32 v30, vcc_lo, s1, v30
	v_ashrrev_i32_e32 v35, 31, v34
	v_add_co_ci_u32_e32 v31, vcc_lo, s4, v31, vcc_lo
	s_clause 0x7
	global_load_b32 v48, v[20:21], off
	global_load_b32 v49, v[16:17], off
	global_load_b32 v50, v[22:23], off
	global_load_b32 v51, v[18:19], off
	global_load_b32 v52, v[24:25], off
	global_load_b32 v53, v[26:27], off
	global_load_b32 v56, v[28:29], off
	global_load_b32 v57, v[30:31], off
	v_add_nc_u32_e32 v18, s65, v80
	v_lshlrev_b64 v[32:33], 2, v[32:33]
	v_ashrrev_i32_e32 v37, 31, v36
	v_add_nc_u32_e32 v24, s66, v80
	v_lshlrev_b64 v[16:17], 2, v[34:35]
	v_ashrrev_i32_e32 v19, 31, v18
	v_add_nc_u32_e32 v26, s67, v80
	v_add_co_u32 v20, vcc_lo, s1, v32
	v_lshlrev_b64 v[22:23], 2, v[36:37]
	;; [unrolled: 49-line block ×3, first 2 shown]
	v_ashrrev_i32_e32 v25, 31, v24
	v_add_co_ci_u32_e32 v21, vcc_lo, s4, v33, vcc_lo
	v_add_co_u32 v16, vcc_lo, s1, v16
	v_lshlrev_b64 v[18:19], 2, v[18:19]
	v_ashrrev_i32_e32 v27, 31, v26
	v_add_co_ci_u32_e32 v17, vcc_lo, s4, v17, vcc_lo
	v_add_co_u32 v22, vcc_lo, s1, v22
	v_lshlrev_b64 v[24:25], 2, v[24:25]
	v_add_co_ci_u32_e32 v23, vcc_lo, s4, v23, vcc_lo
	v_add_co_u32 v18, vcc_lo, s1, v18
	v_lshlrev_b64 v[26:27], 2, v[26:27]
	v_add_co_ci_u32_e32 v19, vcc_lo, s4, v19, vcc_lo
	v_add_co_u32 v24, vcc_lo, s1, v24
	v_add_co_ci_u32_e32 v25, vcc_lo, s4, v25, vcc_lo
	s_delay_alu instid0(VALU_DEP_4)
	v_add_co_u32 v26, vcc_lo, s1, v26
	v_add_co_ci_u32_e32 v27, vcc_lo, s4, v27, vcc_lo
	s_clause 0x5
	global_load_b32 v66, v[20:21], off
	global_load_b32 v67, v[16:17], off
	;; [unrolled: 1-line block ×6, first 2 shown]
	v_mov_b32_e32 v84, 0
	s_and_not1_b32 vcc_lo, exec_lo, s37
	s_waitcnt vmcnt(31)
	ds_store_b32 v109, v38
	s_waitcnt vmcnt(30)
	ds_store_b32 v109, v39 offset:144
	s_waitcnt vmcnt(29)
	ds_store_b32 v109, v40 offset:288
	;; [unrolled: 2-line block ×15, first 2 shown]
	ds_load_b128 v[48:51], v111
	ds_load_b128 v[52:55], v111 offset:16
	ds_load_b128 v[32:35], v111 offset:32
	;; [unrolled: 1-line block ×7, first 2 shown]
	s_waitcnt vmcnt(15)
	ds_store_b32 v109, v56
	s_waitcnt vmcnt(14)
	ds_store_b32 v109, v57 offset:144
	s_waitcnt vmcnt(13)
	ds_store_b32 v109, v58 offset:288
	;; [unrolled: 2-line block ×15, first 2 shown]
	ds_load_b128 v[72:75], v111
	ds_load_b128 v[76:79], v111 offset:16
	ds_load_b128 v[64:67], v111 offset:32
	ds_load_b128 v[68:71], v111 offset:48
	ds_load_b128 v[56:59], v111 offset:64
	ds_load_b128 v[60:63], v111 offset:80
	ds_load_b128 v[40:43], v111 offset:96
	ds_load_b128 v[44:47], v111 offset:112
	s_cbranch_vccnz .LBB27_9
; %bb.7:                                ;   in Loop: Header=BB27_6 Depth=1
	s_load_b32 s0, s[12:13], 0x0
	v_dual_mov_b32 v84, 0 :: v_dual_mov_b32 v83, 0
	s_waitcnt lgkmcnt(0)
	s_mul_hi_u32 s75, s0, s16
	s_delay_alu instid0(SALU_CYCLE_1) | instskip(NEXT) | instid1(SALU_CYCLE_1)
	s_add_i32 s75, s0, s75
	s_lshr_b32 s75, s75, s17
	s_delay_alu instid0(SALU_CYCLE_1)
	s_cmp_ge_i32 s75, s9
	s_cbranch_scc1 .LBB27_9
; %bb.8:                                ;   in Loop: Header=BB27_6 Depth=1
	v_mad_u64_u32 v[83:84], null, s75, s24, v[80:81]
	s_mul_i32 s75, s75, s18
	s_delay_alu instid0(SALU_CYCLE_1) | instskip(NEXT) | instid1(SALU_CYCLE_1)
	s_sub_i32 s0, s0, s75
	s_mul_i32 s0, s0, s5
	s_delay_alu instid0(VALU_DEP_1) | instid1(SALU_CYCLE_1)
	v_lshl_add_u32 v83, v83, 1, s0
	s_delay_alu instid0(VALU_DEP_1) | instskip(NEXT) | instid1(VALU_DEP_1)
	v_ashrrev_i32_e32 v84, 31, v83
	v_lshlrev_b64 v[83:84], 2, v[83:84]
	s_delay_alu instid0(VALU_DEP_1) | instskip(NEXT) | instid1(VALU_DEP_2)
	v_add_co_u32 v83, vcc_lo, s22, v83
	v_add_co_ci_u32_e32 v84, vcc_lo, s23, v84, vcc_lo
	global_load_b64 v[83:84], v[83:84], off
.LBB27_9:                               ;   in Loop: Header=BB27_6 Depth=1
	v_dual_mov_b32 v85, 0 :: v_dual_mov_b32 v88, 0
	v_mov_b32_e32 v87, 0
	s_and_not1_b32 vcc_lo, exec_lo, s3
	s_cbranch_vccnz .LBB27_12
; %bb.10:                               ;   in Loop: Header=BB27_6 Depth=1
	s_load_b32 s0, s[12:13], 0x4
	v_dual_mov_b32 v88, 0 :: v_dual_mov_b32 v87, 0
	s_waitcnt lgkmcnt(0)
	s_mul_hi_u32 s75, s0, s16
	s_delay_alu instid0(SALU_CYCLE_1) | instskip(NEXT) | instid1(SALU_CYCLE_1)
	s_add_i32 s75, s0, s75
	s_lshr_b32 s75, s75, s17
	s_delay_alu instid0(SALU_CYCLE_1)
	s_cmp_ge_i32 s75, s9
	s_cbranch_scc1 .LBB27_12
; %bb.11:                               ;   in Loop: Header=BB27_6 Depth=1
	v_mad_u64_u32 v[86:87], null, s75, s24, v[80:81]
	s_mul_i32 s75, s75, s18
	s_delay_alu instid0(SALU_CYCLE_1) | instskip(NEXT) | instid1(SALU_CYCLE_1)
	s_sub_i32 s0, s0, s75
	s_mul_i32 s0, s0, s5
	s_delay_alu instid0(VALU_DEP_1) | instid1(SALU_CYCLE_1)
	v_lshl_add_u32 v86, v86, 1, s0
	s_delay_alu instid0(VALU_DEP_1) | instskip(NEXT) | instid1(VALU_DEP_1)
	v_ashrrev_i32_e32 v87, 31, v86
	v_lshlrev_b64 v[86:87], 2, v[86:87]
	s_delay_alu instid0(VALU_DEP_1) | instskip(NEXT) | instid1(VALU_DEP_2)
	v_add_co_u32 v86, vcc_lo, s22, v86
	v_add_co_ci_u32_e32 v87, vcc_lo, s23, v87, vcc_lo
	global_load_b64 v[87:88], v[86:87], off
.LBB27_12:                              ;   in Loop: Header=BB27_6 Depth=1
	v_mov_b32_e32 v86, 0
	s_and_not1_b32 vcc_lo, exec_lo, s38
	s_cbranch_vccnz .LBB27_15
; %bb.13:                               ;   in Loop: Header=BB27_6 Depth=1
	s_load_b32 s0, s[12:13], 0x8
	v_dual_mov_b32 v86, 0 :: v_dual_mov_b32 v85, 0
	s_waitcnt lgkmcnt(0)
	s_mul_hi_u32 s75, s0, s16
	s_delay_alu instid0(SALU_CYCLE_1) | instskip(NEXT) | instid1(SALU_CYCLE_1)
	s_add_i32 s75, s0, s75
	s_lshr_b32 s75, s75, s17
	s_delay_alu instid0(SALU_CYCLE_1)
	s_cmp_ge_i32 s75, s9
	s_cbranch_scc1 .LBB27_15
; %bb.14:                               ;   in Loop: Header=BB27_6 Depth=1
	v_mad_u64_u32 v[85:86], null, s75, s24, v[80:81]
	s_mul_i32 s75, s75, s18
	s_delay_alu instid0(SALU_CYCLE_1) | instskip(NEXT) | instid1(SALU_CYCLE_1)
	s_sub_i32 s0, s0, s75
	s_mul_i32 s0, s0, s5
	s_delay_alu instid0(VALU_DEP_1) | instid1(SALU_CYCLE_1)
	v_lshl_add_u32 v85, v85, 1, s0
	s_delay_alu instid0(VALU_DEP_1) | instskip(NEXT) | instid1(VALU_DEP_1)
	v_ashrrev_i32_e32 v86, 31, v85
	v_lshlrev_b64 v[85:86], 2, v[85:86]
	s_delay_alu instid0(VALU_DEP_1) | instskip(NEXT) | instid1(VALU_DEP_2)
	v_add_co_u32 v85, vcc_lo, s22, v85
	v_add_co_ci_u32_e32 v86, vcc_lo, s23, v86, vcc_lo
	global_load_b64 v[85:86], v[85:86], off
.LBB27_15:                              ;   in Loop: Header=BB27_6 Depth=1
	v_dual_mov_b32 v89, 0 :: v_dual_mov_b32 v92, 0
	v_mov_b32_e32 v91, 0
	s_and_not1_b32 vcc_lo, exec_lo, s39
	s_cbranch_vccnz .LBB27_18
; %bb.16:                               ;   in Loop: Header=BB27_6 Depth=1
	s_load_b32 s0, s[12:13], 0xc
	v_dual_mov_b32 v92, 0 :: v_dual_mov_b32 v91, 0
	s_waitcnt lgkmcnt(0)
	s_mul_hi_u32 s75, s0, s16
	s_delay_alu instid0(SALU_CYCLE_1) | instskip(NEXT) | instid1(SALU_CYCLE_1)
	s_add_i32 s75, s0, s75
	s_lshr_b32 s75, s75, s17
	s_delay_alu instid0(SALU_CYCLE_1)
	s_cmp_ge_i32 s75, s9
	s_cbranch_scc1 .LBB27_18
; %bb.17:                               ;   in Loop: Header=BB27_6 Depth=1
	v_mad_u64_u32 v[90:91], null, s75, s24, v[80:81]
	s_mul_i32 s75, s75, s18
	s_delay_alu instid0(SALU_CYCLE_1) | instskip(NEXT) | instid1(SALU_CYCLE_1)
	s_sub_i32 s0, s0, s75
	s_mul_i32 s0, s0, s5
	s_delay_alu instid0(VALU_DEP_1) | instid1(SALU_CYCLE_1)
	v_lshl_add_u32 v90, v90, 1, s0
	s_delay_alu instid0(VALU_DEP_1) | instskip(NEXT) | instid1(VALU_DEP_1)
	v_ashrrev_i32_e32 v91, 31, v90
	v_lshlrev_b64 v[90:91], 2, v[90:91]
	s_delay_alu instid0(VALU_DEP_1) | instskip(NEXT) | instid1(VALU_DEP_2)
	v_add_co_u32 v90, vcc_lo, s22, v90
	v_add_co_ci_u32_e32 v91, vcc_lo, s23, v91, vcc_lo
	global_load_b64 v[91:92], v[90:91], off
.LBB27_18:                              ;   in Loop: Header=BB27_6 Depth=1
	v_mov_b32_e32 v90, 0
	s_and_not1_b32 vcc_lo, exec_lo, s40
	s_cbranch_vccnz .LBB27_21
; %bb.19:                               ;   in Loop: Header=BB27_6 Depth=1
	s_load_b32 s0, s[12:13], 0x10
	v_dual_mov_b32 v90, 0 :: v_dual_mov_b32 v89, 0
	s_waitcnt lgkmcnt(0)
	s_mul_hi_u32 s75, s0, s16
	s_delay_alu instid0(SALU_CYCLE_1) | instskip(NEXT) | instid1(SALU_CYCLE_1)
	s_add_i32 s75, s0, s75
	s_lshr_b32 s75, s75, s17
	s_delay_alu instid0(SALU_CYCLE_1)
	s_cmp_ge_i32 s75, s9
	s_cbranch_scc1 .LBB27_21
; %bb.20:                               ;   in Loop: Header=BB27_6 Depth=1
	v_mad_u64_u32 v[89:90], null, s75, s24, v[80:81]
	s_mul_i32 s75, s75, s18
	s_delay_alu instid0(SALU_CYCLE_1) | instskip(NEXT) | instid1(SALU_CYCLE_1)
	s_sub_i32 s0, s0, s75
	s_mul_i32 s0, s0, s5
	s_delay_alu instid0(VALU_DEP_1) | instid1(SALU_CYCLE_1)
	v_lshl_add_u32 v89, v89, 1, s0
	s_delay_alu instid0(VALU_DEP_1) | instskip(NEXT) | instid1(VALU_DEP_1)
	v_ashrrev_i32_e32 v90, 31, v89
	v_lshlrev_b64 v[89:90], 2, v[89:90]
	s_delay_alu instid0(VALU_DEP_1) | instskip(NEXT) | instid1(VALU_DEP_2)
	v_add_co_u32 v89, vcc_lo, s22, v89
	v_add_co_ci_u32_e32 v90, vcc_lo, s23, v90, vcc_lo
	global_load_b64 v[89:90], v[89:90], off
.LBB27_21:                              ;   in Loop: Header=BB27_6 Depth=1
	;; [unrolled: 61-line block ×4, first 2 shown]
	v_dual_mov_b32 v101, 0 :: v_dual_mov_b32 v104, 0
	v_mov_b32_e32 v103, 0
	s_and_not1_b32 vcc_lo, exec_lo, s47
	s_cbranch_vccnz .LBB27_36
; %bb.34:                               ;   in Loop: Header=BB27_6 Depth=1
	s_load_b32 s0, s[12:13], 0x24
	v_dual_mov_b32 v104, 0 :: v_dual_mov_b32 v103, 0
	s_waitcnt lgkmcnt(0)
	s_mul_hi_u32 s75, s0, s16
	s_delay_alu instid0(SALU_CYCLE_1) | instskip(NEXT) | instid1(SALU_CYCLE_1)
	s_add_i32 s75, s0, s75
	s_lshr_b32 s75, s75, s17
	s_delay_alu instid0(SALU_CYCLE_1)
	s_cmp_ge_i32 s75, s9
	s_cbranch_scc1 .LBB27_36
; %bb.35:                               ;   in Loop: Header=BB27_6 Depth=1
	v_mad_u64_u32 v[102:103], null, s75, s24, v[80:81]
	s_mul_i32 s75, s75, s18
	s_delay_alu instid0(SALU_CYCLE_1) | instskip(NEXT) | instid1(SALU_CYCLE_1)
	s_sub_i32 s0, s0, s75
	s_mul_i32 s0, s0, s5
	s_delay_alu instid0(VALU_DEP_1) | instid1(SALU_CYCLE_1)
	v_lshl_add_u32 v102, v102, 1, s0
	s_delay_alu instid0(VALU_DEP_1) | instskip(NEXT) | instid1(VALU_DEP_1)
	v_ashrrev_i32_e32 v103, 31, v102
	v_lshlrev_b64 v[102:103], 2, v[102:103]
	s_delay_alu instid0(VALU_DEP_1) | instskip(NEXT) | instid1(VALU_DEP_2)
	v_add_co_u32 v102, vcc_lo, s22, v102
	v_add_co_ci_u32_e32 v103, vcc_lo, s23, v103, vcc_lo
	global_load_b64 v[103:104], v[102:103], off
.LBB27_36:                              ;   in Loop: Header=BB27_6 Depth=1
	v_mov_b32_e32 v102, 0
	s_and_not1_b32 vcc_lo, exec_lo, s20
	s_cbranch_vccnz .LBB27_5
; %bb.37:                               ;   in Loop: Header=BB27_6 Depth=1
	s_load_b32 s0, s[12:13], 0x28
	v_dual_mov_b32 v102, 0 :: v_dual_mov_b32 v101, 0
	s_waitcnt lgkmcnt(0)
	s_mul_hi_u32 s75, s0, s16
	s_delay_alu instid0(SALU_CYCLE_1) | instskip(NEXT) | instid1(SALU_CYCLE_1)
	s_add_i32 s75, s0, s75
	s_lshr_b32 s75, s75, s17
	s_delay_alu instid0(SALU_CYCLE_1)
	s_cmp_ge_i32 s75, s9
	s_cbranch_scc1 .LBB27_5
; %bb.38:                               ;   in Loop: Header=BB27_6 Depth=1
	v_mad_u64_u32 v[101:102], null, s75, s24, v[80:81]
	s_mul_i32 s75, s75, s18
	s_delay_alu instid0(SALU_CYCLE_1) | instskip(NEXT) | instid1(SALU_CYCLE_1)
	s_sub_i32 s0, s0, s75
	s_mul_i32 s0, s0, s5
	s_delay_alu instid0(VALU_DEP_1) | instid1(SALU_CYCLE_1)
	v_lshl_add_u32 v101, v101, 1, s0
	s_delay_alu instid0(VALU_DEP_1) | instskip(NEXT) | instid1(VALU_DEP_1)
	v_ashrrev_i32_e32 v102, 31, v101
	v_lshlrev_b64 v[101:102], 2, v[101:102]
	s_delay_alu instid0(VALU_DEP_1) | instskip(NEXT) | instid1(VALU_DEP_2)
	v_add_co_u32 v101, vcc_lo, s22, v101
	v_add_co_ci_u32_e32 v102, vcc_lo, s23, v102, vcc_lo
	global_load_b64 v[101:102], v[101:102], off
	s_branch .LBB27_5
.LBB27_39:
	s_or_b32 exec_lo, exec_lo, s41
.LBB27_40:
	s_delay_alu instid0(SALU_CYCLE_1)
	s_or_b32 exec_lo, exec_lo, s36
	v_lshrrev_b32_e32 v16, 2, v106
	v_add_nc_u32_e32 v17, 0, v108
	v_lshlrev_b32_e32 v18, 2, v107
	s_lshl_b64 s[4:5], s[30:31], 2
	v_cmp_gt_u32_e64 s0, 11, v105
	v_and_b32_e32 v16, 0xfc, v16
	s_waitcnt lgkmcnt(0)
	s_add_u32 s1, s34, s4
	s_addc_u32 s4, s35, s5
	s_cmp_gt_i32 s10, 0
	s_cselect_b32 s3, -1, 0
	v_add3_u32 v17, v17, v16, v18
	v_add_nc_u32_e32 v16, s2, v105
	v_lshl_add_u32 v18, v106, 2, 0
	ds_store_2addr_b32 v17, v8, v9 offset1:2
	ds_store_2addr_b32 v17, v10, v11 offset0:4 offset1:6
	ds_store_2addr_b32 v17, v12, v13 offset0:8 offset1:10
	;; [unrolled: 1-line block ×5, first 2 shown]
	v_cmp_gt_i32_e32 vcc_lo, s33, v16
	v_add_nc_u32_e32 v2, s7, v106
	v_mul_u32_u24_e32 v3, 0x90, v105
	ds_store_2addr_b32 v17, v4, v5 offset0:24 offset1:26
	ds_store_2addr_b32 v17, v6, v7 offset0:28 offset1:30
	s_and_b32 s5, s3, vcc_lo
	s_delay_alu instid0(SALU_CYCLE_1) | instskip(NEXT) | instid1(SALU_CYCLE_1)
	s_and_b32 s5, s0, s5
	s_and_saveexec_b32 s0, s5
	s_cbranch_execz .LBB27_43
; %bb.41:
	v_ashrrev_i32_e32 v17, 31, v16
	s_delay_alu instid0(VALU_DEP_1) | instskip(NEXT) | instid1(VALU_DEP_1)
	v_lshlrev_b64 v[0:1], 2, v[16:17]
	v_add_co_u32 v0, vcc_lo, s1, v0
	s_delay_alu instid0(VALU_DEP_2) | instskip(SKIP_3) | instid1(VALU_DEP_1)
	v_add_co_ci_u32_e32 v1, vcc_lo, s4, v1, vcc_lo
	global_load_b32 v0, v[0:1], off
	s_waitcnt vmcnt(0)
	v_mul_hi_u32 v1, v0, s19
	v_add_nc_u32_e32 v1, v0, v1
	s_delay_alu instid0(VALU_DEP_1) | instskip(NEXT) | instid1(VALU_DEP_1)
	v_lshrrev_b32_e32 v1, s26, v1
	v_cmp_gt_i32_e32 vcc_lo, s9, v1
	s_and_b32 exec_lo, exec_lo, vcc_lo
	s_cbranch_execz .LBB27_43
; %bb.42:
	v_mul_lo_u32 v4, v1, s27
	v_add_nc_u32_e32 v5, v18, v3
	s_delay_alu instid0(VALU_DEP_2) | instskip(SKIP_4) | instid1(VALU_DEP_1)
	v_sub_nc_u32_e32 v0, v0, v4
	ds_load_b32 v4, v5
	v_mul_lo_u32 v5, v1, s25
	v_mov_b32_e32 v1, 0
	v_mul_lo_u32 v0, v0, s6
	v_add3_u32 v0, v2, v5, v0
	s_delay_alu instid0(VALU_DEP_1) | instskip(SKIP_2) | instid1(VALU_DEP_2)
	v_lshlrev_b64 v[0:1], 2, v[0:1]
	s_waitcnt lgkmcnt(0)
	v_add_f32_e32 v4, 0, v4
	v_add_co_u32 v0, vcc_lo, s28, v0
	s_delay_alu instid0(VALU_DEP_3)
	v_add_co_ci_u32_e32 v1, vcc_lo, s29, v1, vcc_lo
	global_store_b32 v[0:1], v4, off
.LBB27_43:
	s_or_b32 exec_lo, exec_lo, s0
	v_add_nc_u32_e32 v0, 1, v16
	v_cmp_gt_u32_e64 s0, 10, v105
	s_delay_alu instid0(VALU_DEP_2)
	v_cmp_gt_i32_e32 vcc_lo, s33, v0
	s_and_b32 s5, s3, vcc_lo
	s_delay_alu instid0(VALU_DEP_2) | instid1(SALU_CYCLE_1)
	s_and_b32 s5, s0, s5
	s_delay_alu instid0(SALU_CYCLE_1)
	s_and_saveexec_b32 s0, s5
	s_cbranch_execz .LBB27_46
; %bb.44:
	s_ashr_i32 s5, s2, 31
	v_add_co_u32 v0, s7, v105, s2
	s_delay_alu instid0(VALU_DEP_1) | instskip(NEXT) | instid1(VALU_DEP_1)
	v_add_co_ci_u32_e64 v1, null, 0, s5, s7
	v_lshlrev_b64 v[0:1], 2, v[0:1]
	s_delay_alu instid0(VALU_DEP_1) | instskip(NEXT) | instid1(VALU_DEP_2)
	v_add_co_u32 v0, vcc_lo, s1, v0
	v_add_co_ci_u32_e32 v1, vcc_lo, s4, v1, vcc_lo
	global_load_b32 v0, v[0:1], off offset:4
	s_waitcnt vmcnt(0)
	v_mul_hi_u32 v1, v0, s19
	s_delay_alu instid0(VALU_DEP_1) | instskip(NEXT) | instid1(VALU_DEP_1)
	v_add_nc_u32_e32 v1, v0, v1
	v_lshrrev_b32_e32 v4, s26, v1
	v_mov_b32_e32 v1, 0
	s_delay_alu instid0(VALU_DEP_2)
	v_cmp_gt_i32_e32 vcc_lo, s9, v4
	s_and_b32 exec_lo, exec_lo, vcc_lo
	s_cbranch_execz .LBB27_46
; %bb.45:
	v_mul_lo_u32 v5, v4, s27
	v_add_nc_u32_e32 v6, v3, v18
	v_mul_lo_u32 v4, v4, s25
	s_delay_alu instid0(VALU_DEP_3) | instskip(SKIP_2) | instid1(VALU_DEP_1)
	v_sub_nc_u32_e32 v0, v0, v5
	ds_load_b32 v5, v6 offset:144
	v_mul_lo_u32 v0, v0, s6
	v_add3_u32 v0, v2, v4, v0
	s_delay_alu instid0(VALU_DEP_1) | instskip(SKIP_2) | instid1(VALU_DEP_2)
	v_lshlrev_b64 v[0:1], 2, v[0:1]
	s_waitcnt lgkmcnt(0)
	v_add_f32_e32 v4, 0, v5
	v_add_co_u32 v0, vcc_lo, s28, v0
	s_delay_alu instid0(VALU_DEP_3)
	v_add_co_ci_u32_e32 v1, vcc_lo, s29, v1, vcc_lo
	global_store_b32 v[0:1], v4, off
.LBB27_46:
	s_or_b32 exec_lo, exec_lo, s0
	v_add_nc_u32_e32 v0, 2, v16
	v_cmp_gt_u32_e64 s0, 9, v105
	s_delay_alu instid0(VALU_DEP_2)
	v_cmp_gt_i32_e32 vcc_lo, s33, v0
	s_and_b32 s5, s3, vcc_lo
	s_delay_alu instid0(VALU_DEP_2) | instid1(SALU_CYCLE_1)
	s_and_b32 s5, s0, s5
	s_delay_alu instid0(SALU_CYCLE_1)
	s_and_saveexec_b32 s0, s5
	s_cbranch_execz .LBB27_49
; %bb.47:
	s_ashr_i32 s5, s2, 31
	v_add_co_u32 v0, s7, v105, s2
	s_delay_alu instid0(VALU_DEP_1) | instskip(NEXT) | instid1(VALU_DEP_1)
	v_add_co_ci_u32_e64 v1, null, 0, s5, s7
	v_lshlrev_b64 v[0:1], 2, v[0:1]
	s_delay_alu instid0(VALU_DEP_1) | instskip(NEXT) | instid1(VALU_DEP_2)
	v_add_co_u32 v0, vcc_lo, s1, v0
	v_add_co_ci_u32_e32 v1, vcc_lo, s4, v1, vcc_lo
	global_load_b32 v0, v[0:1], off offset:8
	s_waitcnt vmcnt(0)
	v_mul_hi_u32 v1, v0, s19
	s_delay_alu instid0(VALU_DEP_1) | instskip(NEXT) | instid1(VALU_DEP_1)
	v_add_nc_u32_e32 v1, v0, v1
	v_lshrrev_b32_e32 v4, s26, v1
	v_mov_b32_e32 v1, 0
	s_delay_alu instid0(VALU_DEP_2)
	v_cmp_gt_i32_e32 vcc_lo, s9, v4
	s_and_b32 exec_lo, exec_lo, vcc_lo
	s_cbranch_execz .LBB27_49
; %bb.48:
	v_mul_lo_u32 v5, v4, s27
	v_add_nc_u32_e32 v6, v18, v3
	v_mul_lo_u32 v4, v4, s25
	s_delay_alu instid0(VALU_DEP_3) | instskip(SKIP_2) | instid1(VALU_DEP_1)
	v_sub_nc_u32_e32 v0, v0, v5
	ds_load_b32 v5, v6 offset:288
	v_mul_lo_u32 v0, v0, s6
	v_add3_u32 v0, v2, v4, v0
	s_delay_alu instid0(VALU_DEP_1) | instskip(SKIP_2) | instid1(VALU_DEP_2)
	v_lshlrev_b64 v[0:1], 2, v[0:1]
	s_waitcnt lgkmcnt(0)
	v_add_f32_e32 v4, 0, v5
	v_add_co_u32 v0, vcc_lo, s28, v0
	s_delay_alu instid0(VALU_DEP_3)
	v_add_co_ci_u32_e32 v1, vcc_lo, s29, v1, vcc_lo
	global_store_b32 v[0:1], v4, off
.LBB27_49:
	;; [unrolled: 49-line block ×9, first 2 shown]
	s_or_b32 exec_lo, exec_lo, s0
	v_add_nc_u32_e32 v0, 10, v16
	v_cmp_eq_u32_e64 s0, 0, v105
	s_delay_alu instid0(VALU_DEP_2)
	v_cmp_gt_i32_e32 vcc_lo, s33, v0
	s_and_b32 s3, s3, vcc_lo
	s_delay_alu instid0(VALU_DEP_2) | instid1(SALU_CYCLE_1)
	s_and_b32 s0, s0, s3
	s_delay_alu instid0(SALU_CYCLE_1)
	s_and_saveexec_b32 s3, s0
	s_cbranch_execz .LBB27_73
; %bb.71:
	s_ashr_i32 s3, s2, 31
	s_delay_alu instid0(SALU_CYCLE_1) | instskip(NEXT) | instid1(SALU_CYCLE_1)
	s_lshl_b64 s[2:3], s[2:3], 2
	s_add_u32 s0, s1, s2
	s_addc_u32 s1, s4, s3
	s_load_b32 s0, s[0:1], 0x28
	s_waitcnt lgkmcnt(0)
	s_mul_hi_u32 s1, s0, s19
	s_delay_alu instid0(SALU_CYCLE_1) | instskip(NEXT) | instid1(SALU_CYCLE_1)
	s_add_i32 s1, s0, s1
	s_lshr_b32 s1, s1, s26
	s_delay_alu instid0(SALU_CYCLE_1)
	s_cmp_ge_i32 s1, s9
	s_cbranch_scc1 .LBB27_73
; %bb.72:
	v_dual_mov_b32 v1, 0 :: v_dual_add_nc_u32 v0, v18, v3
	s_mul_i32 s2, s1, s27
	s_mul_i32 s1, s1, s25
	s_sub_i32 s0, s0, s2
	ds_load_b32 v3, v0 offset:1440
	s_mul_i32 s0, s0, s6
	s_delay_alu instid0(SALU_CYCLE_1) | instskip(NEXT) | instid1(VALU_DEP_1)
	v_add3_u32 v0, s0, s1, v2
	v_lshlrev_b64 v[0:1], 2, v[0:1]
	s_delay_alu instid0(VALU_DEP_1) | instskip(NEXT) | instid1(VALU_DEP_2)
	v_add_co_u32 v0, vcc_lo, s28, v0
	v_add_co_ci_u32_e32 v1, vcc_lo, s29, v1, vcc_lo
	s_waitcnt lgkmcnt(0)
	v_add_f32_e32 v2, 0, v3
	global_store_b32 v[0:1], v2, off
.LBB27_73:
	s_nop 0
	s_sendmsg sendmsg(MSG_DEALLOC_VGPRS)
	s_endpgm
	.section	.rodata,"a",@progbits
	.p2align	6, 0x0
	.amdhsa_kernel _ZL13mul_mat_f_idsI7__half2Li32ELi11ELi1EEvPKT_PKfPKiS7_S7_Pfiiiiiiiiiiiiii15HIP_vector_typeIjLj3EESA_
		.amdhsa_group_segment_fixed_size 0
		.amdhsa_private_segment_fixed_size 0
		.amdhsa_kernarg_size 128
		.amdhsa_user_sgpr_count 13
		.amdhsa_user_sgpr_dispatch_ptr 0
		.amdhsa_user_sgpr_queue_ptr 0
		.amdhsa_user_sgpr_kernarg_segment_ptr 1
		.amdhsa_user_sgpr_dispatch_id 0
		.amdhsa_user_sgpr_private_segment_size 0
		.amdhsa_wavefront_size32 1
		.amdhsa_uses_dynamic_stack 0
		.amdhsa_enable_private_segment 0
		.amdhsa_system_sgpr_workgroup_id_x 1
		.amdhsa_system_sgpr_workgroup_id_y 1
		.amdhsa_system_sgpr_workgroup_id_z 1
		.amdhsa_system_sgpr_workgroup_info 0
		.amdhsa_system_vgpr_workitem_id 1
		.amdhsa_next_free_vgpr 120
		.amdhsa_next_free_sgpr 76
		.amdhsa_reserve_vcc 1
		.amdhsa_float_round_mode_32 0
		.amdhsa_float_round_mode_16_64 0
		.amdhsa_float_denorm_mode_32 3
		.amdhsa_float_denorm_mode_16_64 3
		.amdhsa_dx10_clamp 1
		.amdhsa_ieee_mode 1
		.amdhsa_fp16_overflow 0
		.amdhsa_workgroup_processor_mode 1
		.amdhsa_memory_ordered 1
		.amdhsa_forward_progress 0
		.amdhsa_shared_vgpr_count 0
		.amdhsa_exception_fp_ieee_invalid_op 0
		.amdhsa_exception_fp_denorm_src 0
		.amdhsa_exception_fp_ieee_div_zero 0
		.amdhsa_exception_fp_ieee_overflow 0
		.amdhsa_exception_fp_ieee_underflow 0
		.amdhsa_exception_fp_ieee_inexact 0
		.amdhsa_exception_int_div_zero 0
	.end_amdhsa_kernel
	.section	.text._ZL13mul_mat_f_idsI7__half2Li32ELi11ELi1EEvPKT_PKfPKiS7_S7_Pfiiiiiiiiiiiiii15HIP_vector_typeIjLj3EESA_,"axG",@progbits,_ZL13mul_mat_f_idsI7__half2Li32ELi11ELi1EEvPKT_PKfPKiS7_S7_Pfiiiiiiiiiiiiii15HIP_vector_typeIjLj3EESA_,comdat
.Lfunc_end27:
	.size	_ZL13mul_mat_f_idsI7__half2Li32ELi11ELi1EEvPKT_PKfPKiS7_S7_Pfiiiiiiiiiiiiii15HIP_vector_typeIjLj3EESA_, .Lfunc_end27-_ZL13mul_mat_f_idsI7__half2Li32ELi11ELi1EEvPKT_PKfPKiS7_S7_Pfiiiiiiiiiiiiii15HIP_vector_typeIjLj3EESA_
                                        ; -- End function
	.section	.AMDGPU.csdata,"",@progbits
; Kernel info:
; codeLenInByte = 7236
; NumSgprs: 78
; NumVgprs: 120
; ScratchSize: 0
; MemoryBound: 0
; FloatMode: 240
; IeeeMode: 1
; LDSByteSize: 0 bytes/workgroup (compile time only)
; SGPRBlocks: 9
; VGPRBlocks: 14
; NumSGPRsForWavesPerEU: 78
; NumVGPRsForWavesPerEU: 120
; Occupancy: 12
; WaveLimiterHint : 1
; COMPUTE_PGM_RSRC2:SCRATCH_EN: 0
; COMPUTE_PGM_RSRC2:USER_SGPR: 13
; COMPUTE_PGM_RSRC2:TRAP_HANDLER: 0
; COMPUTE_PGM_RSRC2:TGID_X_EN: 1
; COMPUTE_PGM_RSRC2:TGID_Y_EN: 1
; COMPUTE_PGM_RSRC2:TGID_Z_EN: 1
; COMPUTE_PGM_RSRC2:TIDIG_COMP_CNT: 1
	.section	.text._ZL9mul_mat_fI7__half2Li32ELi11ELi1ELb1EEvPKT_PKfPKiPfiiiiiiiiiiiiiiii,"axG",@progbits,_ZL9mul_mat_fI7__half2Li32ELi11ELi1ELb1EEvPKT_PKfPKiPfiiiiiiiiiiiiiiii,comdat
	.globl	_ZL9mul_mat_fI7__half2Li32ELi11ELi1ELb1EEvPKT_PKfPKiPfiiiiiiiiiiiiiiii ; -- Begin function _ZL9mul_mat_fI7__half2Li32ELi11ELi1ELb1EEvPKT_PKfPKiPfiiiiiiiiiiiiiiii
	.p2align	8
	.type	_ZL9mul_mat_fI7__half2Li32ELi11ELi1ELb1EEvPKT_PKfPKiPfiiiiiiiiiiiiiiii,@function
_ZL9mul_mat_fI7__half2Li32ELi11ELi1ELb1EEvPKT_PKfPKiPfiiiiiiiiiiiiiiii: ; @_ZL9mul_mat_fI7__half2Li32ELi11ELi1ELb1EEvPKT_PKfPKiPfiiiiiiiiiiiiiiii
; %bb.0:
	s_clause 0x1
	s_load_b256 s[20:27], s[0:1], 0x20
	s_load_b128 s[28:31], s[0:1], 0x44
	v_and_b32_e32 v80, 0x3ff, v0
	v_bfe_u32 v88, v0, 10, 10
	s_delay_alu instid0(VALU_DEP_2) | instskip(NEXT) | instid1(VALU_DEP_2)
	v_cmp_eq_u32_e32 vcc_lo, 0, v80
	v_lshl_add_u32 v89, v88, 2, 0x100
	s_waitcnt lgkmcnt(0)
	s_add_i32 s2, s21, 10
	s_delay_alu instid0(SALU_CYCLE_1) | instskip(NEXT) | instid1(SALU_CYCLE_1)
	s_mul_hi_i32 s2, s2, 0x2e8ba2e9
	s_lshr_b32 s3, s2, 31
	s_ashr_i32 s2, s2, 1
	s_delay_alu instid0(SALU_CYCLE_1)
	s_add_i32 s2, s2, s3
	s_load_b32 s3, s[0:1], 0x64
	v_cvt_f32_u32_e32 v1, s2
	s_add_u32 s18, s0, 0x60
	s_addc_u32 s19, s1, 0
	s_sub_i32 s5, 0, s2
	s_delay_alu instid0(VALU_DEP_1) | instskip(SKIP_2) | instid1(VALU_DEP_1)
	v_rcp_iflag_f32_e32 v1, v1
	s_waitcnt_depctr 0xfff
	v_mul_f32_e32 v1, 0x4f7ffffe, v1
	v_cvt_u32_f32_e32 v1, v1
	s_delay_alu instid0(VALU_DEP_1) | instskip(NEXT) | instid1(VALU_DEP_1)
	v_readfirstlane_b32 s4, v1
	s_mul_i32 s5, s5, s4
	s_delay_alu instid0(SALU_CYCLE_1) | instskip(NEXT) | instid1(SALU_CYCLE_1)
	s_mul_hi_u32 s5, s4, s5
	s_add_i32 s4, s4, s5
	s_waitcnt lgkmcnt(0)
	s_mul_hi_u32 s4, s3, s4
	s_delay_alu instid0(SALU_CYCLE_1) | instskip(NEXT) | instid1(SALU_CYCLE_1)
	s_mul_i32 s5, s4, s2
	s_sub_i32 s3, s3, s5
	s_add_i32 s5, s4, 1
	s_sub_i32 s6, s3, s2
	s_cmp_ge_u32 s3, s2
	s_cselect_b32 s4, s5, s4
	s_cselect_b32 s3, s6, s3
	s_add_i32 s5, s4, 1
	s_cmp_ge_u32 s3, s2
	s_cselect_b32 s2, s5, s4
	s_load_b64 s[4:5], s[0:1], 0x10
	v_cvt_f32_u32_e32 v1, s2
	s_abs_i32 s34, s31
	s_sub_i32 s6, 0, s2
	v_cvt_f32_u32_e32 v2, s34
	s_delay_alu instid0(VALU_DEP_2) | instskip(NEXT) | instid1(VALU_DEP_1)
	v_rcp_iflag_f32_e32 v1, v1
	v_rcp_iflag_f32_e32 v2, v2
	s_waitcnt_depctr 0xfff
	v_dual_mul_f32 v1, 0x4f7ffffe, v1 :: v_dual_mul_f32 v2, 0x4f7ffffe, v2
	s_delay_alu instid0(VALU_DEP_1) | instskip(NEXT) | instid1(VALU_DEP_1)
	v_cvt_u32_f32_e32 v1, v1
	v_readfirstlane_b32 s3, v1
	s_delay_alu instid0(VALU_DEP_3) | instskip(NEXT) | instid1(VALU_DEP_2)
	v_cvt_u32_f32_e32 v1, v2
	s_mul_i32 s6, s6, s3
	s_delay_alu instid0(VALU_DEP_1) | instskip(SKIP_1) | instid1(SALU_CYCLE_1)
	v_readfirstlane_b32 s17, v1
	s_mul_hi_u32 s6, s3, s6
	s_add_i32 s3, s3, s6
	s_delay_alu instid0(SALU_CYCLE_1)
	s_mul_hi_u32 s3, s14, s3
	s_and_saveexec_b32 s6, vcc_lo
	s_cbranch_execz .LBB28_2
; %bb.1:
	v_mov_b32_e32 v1, -1
	ds_store_b32 v89, v1
.LBB28_2:
	s_or_b32 exec_lo, exec_lo, s6
	s_mul_i32 s6, s3, s2
	s_add_i32 s7, s3, 1
	s_sub_i32 s6, s14, s6
	v_cmp_gt_i32_e64 s16, s22, v80
	s_sub_i32 s8, s6, s2
	s_cmp_ge_u32 s6, s2
	v_mov_b32_e32 v3, 0
	s_cselect_b32 s3, s7, s3
	s_cselect_b32 s6, s8, s6
	s_add_i32 s7, s3, 1
	s_cmp_ge_u32 s6, s2
	s_cselect_b32 s3, s7, s3
	s_delay_alu instid0(SALU_CYCLE_1)
	s_mul_i32 s33, s3, 11
	s_mul_i32 s3, s3, s2
	v_add_nc_u32_e32 v1, s33, v88
	s_mul_hi_i32 s7, s33, s27
	s_mul_i32 s6, s33, s27
	s_sub_i32 s35, s14, s3
	s_lshl_b64 s[6:7], s[6:7], 2
	v_cmp_gt_i32_e64 s2, s21, v1
	s_waitcnt lgkmcnt(0)
	s_add_u32 s40, s4, s6
	s_addc_u32 s41, s5, s7
	s_delay_alu instid0(VALU_DEP_1)
	s_and_saveexec_b32 s5, s2
	s_cbranch_execz .LBB28_10
; %bb.3:
	v_mov_b32_e32 v3, 0
	s_and_saveexec_b32 s6, s16
	s_cbranch_execz .LBB28_9
; %bb.4:
	v_mul_lo_u32 v1, v88, s27
	v_dual_mov_b32 v3, 0 :: v_dual_mov_b32 v6, v80
	s_lshl_b32 s8, s26, 5
	s_mov_b32 s7, 0
	s_delay_alu instid0(VALU_DEP_2) | instskip(NEXT) | instid1(VALU_DEP_1)
	v_ashrrev_i32_e32 v2, 31, v1
	v_lshlrev_b64 v[4:5], 2, v[1:2]
	v_mul_lo_u32 v1, v80, s26
	s_delay_alu instid0(VALU_DEP_2) | instskip(NEXT) | instid1(VALU_DEP_1)
	v_add_co_u32 v4, s3, s40, v4
	v_add_co_ci_u32_e64 v5, s3, s41, v5, s3
	s_set_inst_prefetch_distance 0x1
	s_branch .LBB28_6
	.p2align	6
.LBB28_5:                               ;   in Loop: Header=BB28_6 Depth=1
	s_or_b32 exec_lo, exec_lo, s9
	v_add_nc_u32_e32 v6, 32, v6
	s_xor_b32 s3, s3, -1
	v_add_nc_u32_e32 v1, s8, v1
	s_delay_alu instid0(VALU_DEP_2) | instskip(NEXT) | instid1(VALU_DEP_1)
	v_cmp_le_i32_e64 s4, s22, v6
	s_or_b32 s3, s3, s4
	s_delay_alu instid0(SALU_CYCLE_1) | instskip(NEXT) | instid1(SALU_CYCLE_1)
	s_and_b32 s3, exec_lo, s3
	s_or_b32 s7, s3, s7
	s_delay_alu instid0(SALU_CYCLE_1)
	s_and_not1_b32 exec_lo, exec_lo, s7
	s_cbranch_execz .LBB28_8
.LBB28_6:                               ; =>This Inner Loop Header: Depth=1
	s_delay_alu instid0(VALU_DEP_3) | instskip(SKIP_1) | instid1(VALU_DEP_1)
	v_ashrrev_i32_e32 v2, 31, v1
	s_mov_b32 s9, exec_lo
	v_lshlrev_b64 v[7:8], 2, v[1:2]
	s_delay_alu instid0(VALU_DEP_1) | instskip(NEXT) | instid1(VALU_DEP_1)
	v_add_co_u32 v7, s3, v4, v7
	v_add_co_ci_u32_e64 v8, s3, v5, v8, s3
	global_load_b32 v2, v[7:8], off
	s_waitcnt vmcnt(0)
	v_cmp_ne_u32_e64 s3, s35, v2
	v_cmpx_eq_u32_e64 s35, v2
	s_cbranch_execz .LBB28_5
; %bb.7:                                ;   in Loop: Header=BB28_6 Depth=1
	v_mov_b32_e32 v3, 1
	ds_store_b32 v89, v6
	s_branch .LBB28_5
.LBB28_8:
	s_set_inst_prefetch_distance 0x2
	s_or_b32 exec_lo, exec_lo, s7
.LBB28_9:
	s_delay_alu instid0(SALU_CYCLE_1)
	s_or_b32 exec_lo, exec_lo, s6
.LBB28_10:
	s_delay_alu instid0(SALU_CYCLE_1)
	s_or_b32 exec_lo, exec_lo, s5
	s_and_saveexec_b32 s3, vcc_lo
	s_cbranch_execz .LBB28_12
; %bb.11:
	v_mov_b32_e32 v1, -1
	ds_store_b32 v89, v1 offset:4
.LBB28_12:
	s_or_b32 exec_lo, exec_lo, s3
	v_add_nc_u32_e32 v90, 1, v88
	s_delay_alu instid0(VALU_DEP_1) | instskip(NEXT) | instid1(VALU_DEP_1)
	v_add_nc_u32_e32 v1, s33, v90
	v_cmp_gt_i32_e64 s3, s21, v1
	s_delay_alu instid0(VALU_DEP_1)
	s_and_saveexec_b32 s6, s3
	s_cbranch_execz .LBB28_20
; %bb.13:
	s_and_saveexec_b32 s7, s16
	s_cbranch_execz .LBB28_19
; %bb.14:
	v_mul_lo_u32 v1, v90, s27
	v_mov_b32_e32 v6, v80
	s_lshl_b32 s9, s26, 5
	s_mov_b32 s8, 0
	s_delay_alu instid0(VALU_DEP_2) | instskip(NEXT) | instid1(VALU_DEP_1)
	v_ashrrev_i32_e32 v2, 31, v1
	v_lshlrev_b64 v[4:5], 2, v[1:2]
	v_mul_lo_u32 v1, v80, s26
	s_delay_alu instid0(VALU_DEP_2) | instskip(NEXT) | instid1(VALU_DEP_1)
	v_add_co_u32 v4, s4, s40, v4
	v_add_co_ci_u32_e64 v5, s4, s41, v5, s4
	s_set_inst_prefetch_distance 0x1
	s_branch .LBB28_16
	.p2align	6
.LBB28_15:                              ;   in Loop: Header=BB28_16 Depth=1
	s_or_b32 exec_lo, exec_lo, s10
	v_add_nc_u32_e32 v6, 32, v6
	s_xor_b32 s4, s4, -1
	v_add_nc_u32_e32 v1, s9, v1
	s_delay_alu instid0(VALU_DEP_2) | instskip(NEXT) | instid1(VALU_DEP_1)
	v_cmp_le_i32_e64 s5, s22, v6
	s_or_b32 s4, s4, s5
	s_delay_alu instid0(SALU_CYCLE_1) | instskip(NEXT) | instid1(SALU_CYCLE_1)
	s_and_b32 s4, exec_lo, s4
	s_or_b32 s8, s4, s8
	s_delay_alu instid0(SALU_CYCLE_1)
	s_and_not1_b32 exec_lo, exec_lo, s8
	s_cbranch_execz .LBB28_18
.LBB28_16:                              ; =>This Inner Loop Header: Depth=1
	s_delay_alu instid0(VALU_DEP_3) | instskip(SKIP_1) | instid1(VALU_DEP_1)
	v_ashrrev_i32_e32 v2, 31, v1
	s_mov_b32 s10, exec_lo
	v_lshlrev_b64 v[7:8], 2, v[1:2]
	s_delay_alu instid0(VALU_DEP_1) | instskip(NEXT) | instid1(VALU_DEP_1)
	v_add_co_u32 v7, s4, v4, v7
	v_add_co_ci_u32_e64 v8, s4, v5, v8, s4
	global_load_b32 v2, v[7:8], off
	s_waitcnt vmcnt(0)
	v_cmp_ne_u32_e64 s4, s35, v2
	v_cmpx_eq_u32_e64 s35, v2
	s_cbranch_execz .LBB28_15
; %bb.17:                               ;   in Loop: Header=BB28_16 Depth=1
	v_mov_b32_e32 v3, 1
	ds_store_b32 v89, v6 offset:4
	s_branch .LBB28_15
.LBB28_18:
	s_set_inst_prefetch_distance 0x2
	s_or_b32 exec_lo, exec_lo, s8
.LBB28_19:
	s_delay_alu instid0(SALU_CYCLE_1)
	s_or_b32 exec_lo, exec_lo, s7
.LBB28_20:
	s_delay_alu instid0(SALU_CYCLE_1)
	s_or_b32 exec_lo, exec_lo, s6
	s_and_saveexec_b32 s4, vcc_lo
	s_cbranch_execz .LBB28_22
; %bb.21:
	v_mov_b32_e32 v1, -1
	ds_store_b32 v89, v1 offset:8
.LBB28_22:
	s_or_b32 exec_lo, exec_lo, s4
	v_add_nc_u32_e32 v91, 2, v88
	s_delay_alu instid0(VALU_DEP_1) | instskip(NEXT) | instid1(VALU_DEP_1)
	v_add_nc_u32_e32 v1, s33, v91
	v_cmp_gt_i32_e64 s4, s21, v1
	s_delay_alu instid0(VALU_DEP_1)
	s_and_saveexec_b32 s7, s4
	s_cbranch_execz .LBB28_30
; %bb.23:
	s_and_saveexec_b32 s8, s16
	s_cbranch_execz .LBB28_29
; %bb.24:
	v_mul_lo_u32 v1, v91, s27
	v_mov_b32_e32 v6, v80
	s_lshl_b32 s10, s26, 5
	s_mov_b32 s9, 0
	s_delay_alu instid0(VALU_DEP_2) | instskip(NEXT) | instid1(VALU_DEP_1)
	v_ashrrev_i32_e32 v2, 31, v1
	v_lshlrev_b64 v[4:5], 2, v[1:2]
	v_mul_lo_u32 v1, v80, s26
	s_delay_alu instid0(VALU_DEP_2) | instskip(NEXT) | instid1(VALU_DEP_1)
	v_add_co_u32 v4, s5, s40, v4
	v_add_co_ci_u32_e64 v5, s5, s41, v5, s5
	s_set_inst_prefetch_distance 0x1
	s_branch .LBB28_26
	.p2align	6
.LBB28_25:                              ;   in Loop: Header=BB28_26 Depth=1
	s_or_b32 exec_lo, exec_lo, s11
	v_add_nc_u32_e32 v6, 32, v6
	s_xor_b32 s5, s5, -1
	v_add_nc_u32_e32 v1, s10, v1
	s_delay_alu instid0(VALU_DEP_2) | instskip(NEXT) | instid1(VALU_DEP_1)
	v_cmp_le_i32_e64 s6, s22, v6
	s_or_b32 s5, s5, s6
	s_delay_alu instid0(SALU_CYCLE_1) | instskip(NEXT) | instid1(SALU_CYCLE_1)
	s_and_b32 s5, exec_lo, s5
	s_or_b32 s9, s5, s9
	s_delay_alu instid0(SALU_CYCLE_1)
	s_and_not1_b32 exec_lo, exec_lo, s9
	s_cbranch_execz .LBB28_28
.LBB28_26:                              ; =>This Inner Loop Header: Depth=1
	s_delay_alu instid0(VALU_DEP_3) | instskip(SKIP_1) | instid1(VALU_DEP_1)
	v_ashrrev_i32_e32 v2, 31, v1
	s_mov_b32 s11, exec_lo
	v_lshlrev_b64 v[7:8], 2, v[1:2]
	s_delay_alu instid0(VALU_DEP_1) | instskip(NEXT) | instid1(VALU_DEP_1)
	v_add_co_u32 v7, s5, v4, v7
	v_add_co_ci_u32_e64 v8, s5, v5, v8, s5
	global_load_b32 v2, v[7:8], off
	s_waitcnt vmcnt(0)
	v_cmp_ne_u32_e64 s5, s35, v2
	v_cmpx_eq_u32_e64 s35, v2
	s_cbranch_execz .LBB28_25
; %bb.27:                               ;   in Loop: Header=BB28_26 Depth=1
	v_mov_b32_e32 v3, 1
	ds_store_b32 v89, v6 offset:8
	s_branch .LBB28_25
.LBB28_28:
	s_set_inst_prefetch_distance 0x2
	s_or_b32 exec_lo, exec_lo, s9
.LBB28_29:
	s_delay_alu instid0(SALU_CYCLE_1)
	s_or_b32 exec_lo, exec_lo, s8
.LBB28_30:
	s_delay_alu instid0(SALU_CYCLE_1)
	s_or_b32 exec_lo, exec_lo, s7
	s_and_saveexec_b32 s5, vcc_lo
	s_cbranch_execz .LBB28_32
; %bb.31:
	v_mov_b32_e32 v1, -1
	ds_store_b32 v89, v1 offset:12
.LBB28_32:
	s_or_b32 exec_lo, exec_lo, s5
	v_add_nc_u32_e32 v92, 3, v88
	s_delay_alu instid0(VALU_DEP_1) | instskip(NEXT) | instid1(VALU_DEP_1)
	v_add_nc_u32_e32 v1, s33, v92
	v_cmp_gt_i32_e64 s5, s21, v1
	s_delay_alu instid0(VALU_DEP_1)
	s_and_saveexec_b32 s8, s5
	s_cbranch_execz .LBB28_40
; %bb.33:
	s_and_saveexec_b32 s9, s16
	s_cbranch_execz .LBB28_39
; %bb.34:
	v_mul_lo_u32 v1, v92, s27
	v_mov_b32_e32 v6, v80
	s_lshl_b32 s11, s26, 5
	s_mov_b32 s10, 0
	s_delay_alu instid0(VALU_DEP_2) | instskip(NEXT) | instid1(VALU_DEP_1)
	v_ashrrev_i32_e32 v2, 31, v1
	v_lshlrev_b64 v[4:5], 2, v[1:2]
	v_mul_lo_u32 v1, v80, s26
	s_delay_alu instid0(VALU_DEP_2) | instskip(NEXT) | instid1(VALU_DEP_1)
	v_add_co_u32 v4, s6, s40, v4
	v_add_co_ci_u32_e64 v5, s6, s41, v5, s6
	s_set_inst_prefetch_distance 0x1
	s_branch .LBB28_36
	.p2align	6
.LBB28_35:                              ;   in Loop: Header=BB28_36 Depth=1
	s_or_b32 exec_lo, exec_lo, s12
	v_add_nc_u32_e32 v6, 32, v6
	s_xor_b32 s6, s6, -1
	v_add_nc_u32_e32 v1, s11, v1
	s_delay_alu instid0(VALU_DEP_2) | instskip(NEXT) | instid1(VALU_DEP_1)
	v_cmp_le_i32_e64 s7, s22, v6
	s_or_b32 s6, s6, s7
	s_delay_alu instid0(SALU_CYCLE_1) | instskip(NEXT) | instid1(SALU_CYCLE_1)
	s_and_b32 s6, exec_lo, s6
	s_or_b32 s10, s6, s10
	s_delay_alu instid0(SALU_CYCLE_1)
	s_and_not1_b32 exec_lo, exec_lo, s10
	s_cbranch_execz .LBB28_38
.LBB28_36:                              ; =>This Inner Loop Header: Depth=1
	s_delay_alu instid0(VALU_DEP_3) | instskip(SKIP_1) | instid1(VALU_DEP_1)
	v_ashrrev_i32_e32 v2, 31, v1
	s_mov_b32 s12, exec_lo
	v_lshlrev_b64 v[7:8], 2, v[1:2]
	s_delay_alu instid0(VALU_DEP_1) | instskip(NEXT) | instid1(VALU_DEP_1)
	v_add_co_u32 v7, s6, v4, v7
	v_add_co_ci_u32_e64 v8, s6, v5, v8, s6
	global_load_b32 v2, v[7:8], off
	s_waitcnt vmcnt(0)
	v_cmp_ne_u32_e64 s6, s35, v2
	v_cmpx_eq_u32_e64 s35, v2
	s_cbranch_execz .LBB28_35
; %bb.37:                               ;   in Loop: Header=BB28_36 Depth=1
	v_mov_b32_e32 v3, 1
	ds_store_b32 v89, v6 offset:12
	s_branch .LBB28_35
.LBB28_38:
	s_set_inst_prefetch_distance 0x2
	s_or_b32 exec_lo, exec_lo, s10
.LBB28_39:
	s_delay_alu instid0(SALU_CYCLE_1)
	s_or_b32 exec_lo, exec_lo, s9
.LBB28_40:
	s_delay_alu instid0(SALU_CYCLE_1)
	s_or_b32 exec_lo, exec_lo, s8
	s_and_saveexec_b32 s6, vcc_lo
	s_cbranch_execz .LBB28_42
; %bb.41:
	v_mov_b32_e32 v1, -1
	ds_store_b32 v89, v1 offset:16
.LBB28_42:
	s_or_b32 exec_lo, exec_lo, s6
	v_add_nc_u32_e32 v93, 4, v88
	s_delay_alu instid0(VALU_DEP_1) | instskip(NEXT) | instid1(VALU_DEP_1)
	v_add_nc_u32_e32 v1, s33, v93
	v_cmp_gt_i32_e64 s6, s21, v1
	s_delay_alu instid0(VALU_DEP_1)
	s_and_saveexec_b32 s9, s6
	s_cbranch_execz .LBB28_50
; %bb.43:
	s_and_saveexec_b32 s10, s16
	s_cbranch_execz .LBB28_49
; %bb.44:
	v_mul_lo_u32 v1, v93, s27
	v_mov_b32_e32 v6, v80
	s_lshl_b32 s12, s26, 5
	s_mov_b32 s11, 0
	s_delay_alu instid0(VALU_DEP_2) | instskip(NEXT) | instid1(VALU_DEP_1)
	v_ashrrev_i32_e32 v2, 31, v1
	v_lshlrev_b64 v[4:5], 2, v[1:2]
	v_mul_lo_u32 v1, v80, s26
	s_delay_alu instid0(VALU_DEP_2) | instskip(NEXT) | instid1(VALU_DEP_1)
	v_add_co_u32 v4, s7, s40, v4
	v_add_co_ci_u32_e64 v5, s7, s41, v5, s7
	s_set_inst_prefetch_distance 0x1
	s_branch .LBB28_46
	.p2align	6
.LBB28_45:                              ;   in Loop: Header=BB28_46 Depth=1
	s_or_b32 exec_lo, exec_lo, s14
	v_add_nc_u32_e32 v6, 32, v6
	s_xor_b32 s7, s7, -1
	v_add_nc_u32_e32 v1, s12, v1
	s_delay_alu instid0(VALU_DEP_2) | instskip(NEXT) | instid1(VALU_DEP_1)
	v_cmp_le_i32_e64 s8, s22, v6
	s_or_b32 s7, s7, s8
	s_delay_alu instid0(SALU_CYCLE_1) | instskip(NEXT) | instid1(SALU_CYCLE_1)
	s_and_b32 s7, exec_lo, s7
	s_or_b32 s11, s7, s11
	s_delay_alu instid0(SALU_CYCLE_1)
	s_and_not1_b32 exec_lo, exec_lo, s11
	s_cbranch_execz .LBB28_48
.LBB28_46:                              ; =>This Inner Loop Header: Depth=1
	s_delay_alu instid0(VALU_DEP_3) | instskip(SKIP_1) | instid1(VALU_DEP_1)
	v_ashrrev_i32_e32 v2, 31, v1
	s_mov_b32 s14, exec_lo
	v_lshlrev_b64 v[7:8], 2, v[1:2]
	s_delay_alu instid0(VALU_DEP_1) | instskip(NEXT) | instid1(VALU_DEP_1)
	v_add_co_u32 v7, s7, v4, v7
	v_add_co_ci_u32_e64 v8, s7, v5, v8, s7
	global_load_b32 v2, v[7:8], off
	s_waitcnt vmcnt(0)
	v_cmp_ne_u32_e64 s7, s35, v2
	v_cmpx_eq_u32_e64 s35, v2
	s_cbranch_execz .LBB28_45
; %bb.47:                               ;   in Loop: Header=BB28_46 Depth=1
	v_mov_b32_e32 v3, 1
	ds_store_b32 v89, v6 offset:16
	s_branch .LBB28_45
.LBB28_48:
	s_set_inst_prefetch_distance 0x2
	s_or_b32 exec_lo, exec_lo, s11
.LBB28_49:
	s_delay_alu instid0(SALU_CYCLE_1)
	s_or_b32 exec_lo, exec_lo, s10
.LBB28_50:
	s_delay_alu instid0(SALU_CYCLE_1)
	s_or_b32 exec_lo, exec_lo, s9
	s_and_saveexec_b32 s7, vcc_lo
	s_cbranch_execz .LBB28_52
; %bb.51:
	v_mov_b32_e32 v1, -1
	ds_store_b32 v89, v1 offset:20
.LBB28_52:
	s_or_b32 exec_lo, exec_lo, s7
	v_add_nc_u32_e32 v94, 5, v88
	s_delay_alu instid0(VALU_DEP_1) | instskip(NEXT) | instid1(VALU_DEP_1)
	v_add_nc_u32_e32 v1, s33, v94
	v_cmp_gt_i32_e64 s7, s21, v1
	s_delay_alu instid0(VALU_DEP_1)
	s_and_saveexec_b32 s10, s7
	s_cbranch_execz .LBB28_60
; %bb.53:
	s_and_saveexec_b32 s11, s16
	s_cbranch_execz .LBB28_59
; %bb.54:
	v_mul_lo_u32 v1, v94, s27
	v_mov_b32_e32 v6, v80
	s_lshl_b32 s14, s26, 5
	s_mov_b32 s12, 0
	s_delay_alu instid0(VALU_DEP_2) | instskip(NEXT) | instid1(VALU_DEP_1)
	v_ashrrev_i32_e32 v2, 31, v1
	v_lshlrev_b64 v[4:5], 2, v[1:2]
	v_mul_lo_u32 v1, v80, s26
	s_delay_alu instid0(VALU_DEP_2) | instskip(NEXT) | instid1(VALU_DEP_1)
	v_add_co_u32 v4, s8, s40, v4
	v_add_co_ci_u32_e64 v5, s8, s41, v5, s8
	s_set_inst_prefetch_distance 0x1
	s_branch .LBB28_56
	.p2align	6
.LBB28_55:                              ;   in Loop: Header=BB28_56 Depth=1
	s_or_b32 exec_lo, exec_lo, s36
	v_add_nc_u32_e32 v6, 32, v6
	s_xor_b32 s8, s8, -1
	v_add_nc_u32_e32 v1, s14, v1
	s_delay_alu instid0(VALU_DEP_2) | instskip(NEXT) | instid1(VALU_DEP_1)
	v_cmp_le_i32_e64 s9, s22, v6
	s_or_b32 s8, s8, s9
	s_delay_alu instid0(SALU_CYCLE_1) | instskip(NEXT) | instid1(SALU_CYCLE_1)
	s_and_b32 s8, exec_lo, s8
	s_or_b32 s12, s8, s12
	s_delay_alu instid0(SALU_CYCLE_1)
	s_and_not1_b32 exec_lo, exec_lo, s12
	s_cbranch_execz .LBB28_58
.LBB28_56:                              ; =>This Inner Loop Header: Depth=1
	s_delay_alu instid0(VALU_DEP_3) | instskip(SKIP_1) | instid1(VALU_DEP_1)
	v_ashrrev_i32_e32 v2, 31, v1
	s_mov_b32 s36, exec_lo
	v_lshlrev_b64 v[7:8], 2, v[1:2]
	s_delay_alu instid0(VALU_DEP_1) | instskip(NEXT) | instid1(VALU_DEP_1)
	v_add_co_u32 v7, s8, v4, v7
	v_add_co_ci_u32_e64 v8, s8, v5, v8, s8
	global_load_b32 v2, v[7:8], off
	s_waitcnt vmcnt(0)
	v_cmp_ne_u32_e64 s8, s35, v2
	v_cmpx_eq_u32_e64 s35, v2
	s_cbranch_execz .LBB28_55
; %bb.57:                               ;   in Loop: Header=BB28_56 Depth=1
	v_mov_b32_e32 v3, 1
	ds_store_b32 v89, v6 offset:20
	s_branch .LBB28_55
.LBB28_58:
	s_set_inst_prefetch_distance 0x2
	s_or_b32 exec_lo, exec_lo, s12
.LBB28_59:
	s_delay_alu instid0(SALU_CYCLE_1)
	s_or_b32 exec_lo, exec_lo, s11
.LBB28_60:
	s_delay_alu instid0(SALU_CYCLE_1)
	s_or_b32 exec_lo, exec_lo, s10
	s_and_saveexec_b32 s8, vcc_lo
	s_cbranch_execz .LBB28_62
; %bb.61:
	v_mov_b32_e32 v1, -1
	ds_store_b32 v89, v1 offset:24
.LBB28_62:
	s_or_b32 exec_lo, exec_lo, s8
	v_add_nc_u32_e32 v95, 6, v88
	s_delay_alu instid0(VALU_DEP_1) | instskip(NEXT) | instid1(VALU_DEP_1)
	v_add_nc_u32_e32 v1, s33, v95
	v_cmp_gt_i32_e64 s8, s21, v1
	s_delay_alu instid0(VALU_DEP_1)
	s_and_saveexec_b32 s11, s8
	s_cbranch_execz .LBB28_70
; %bb.63:
	s_and_saveexec_b32 s12, s16
	s_cbranch_execz .LBB28_69
; %bb.64:
	v_mul_lo_u32 v1, v95, s27
	v_mov_b32_e32 v6, v80
	s_lshl_b32 s36, s26, 5
	s_mov_b32 s14, 0
	s_delay_alu instid0(VALU_DEP_2) | instskip(NEXT) | instid1(VALU_DEP_1)
	v_ashrrev_i32_e32 v2, 31, v1
	v_lshlrev_b64 v[4:5], 2, v[1:2]
	v_mul_lo_u32 v1, v80, s26
	s_delay_alu instid0(VALU_DEP_2) | instskip(NEXT) | instid1(VALU_DEP_1)
	v_add_co_u32 v4, s9, s40, v4
	v_add_co_ci_u32_e64 v5, s9, s41, v5, s9
	s_set_inst_prefetch_distance 0x1
	s_branch .LBB28_66
	.p2align	6
.LBB28_65:                              ;   in Loop: Header=BB28_66 Depth=1
	s_or_b32 exec_lo, exec_lo, s37
	v_add_nc_u32_e32 v6, 32, v6
	s_xor_b32 s9, s9, -1
	v_add_nc_u32_e32 v1, s36, v1
	s_delay_alu instid0(VALU_DEP_2) | instskip(NEXT) | instid1(VALU_DEP_1)
	v_cmp_le_i32_e64 s10, s22, v6
	s_or_b32 s9, s9, s10
	s_delay_alu instid0(SALU_CYCLE_1) | instskip(NEXT) | instid1(SALU_CYCLE_1)
	s_and_b32 s9, exec_lo, s9
	s_or_b32 s14, s9, s14
	s_delay_alu instid0(SALU_CYCLE_1)
	s_and_not1_b32 exec_lo, exec_lo, s14
	s_cbranch_execz .LBB28_68
.LBB28_66:                              ; =>This Inner Loop Header: Depth=1
	s_delay_alu instid0(VALU_DEP_3) | instskip(SKIP_1) | instid1(VALU_DEP_1)
	v_ashrrev_i32_e32 v2, 31, v1
	s_mov_b32 s37, exec_lo
	v_lshlrev_b64 v[7:8], 2, v[1:2]
	s_delay_alu instid0(VALU_DEP_1) | instskip(NEXT) | instid1(VALU_DEP_1)
	v_add_co_u32 v7, s9, v4, v7
	v_add_co_ci_u32_e64 v8, s9, v5, v8, s9
	global_load_b32 v2, v[7:8], off
	s_waitcnt vmcnt(0)
	v_cmp_ne_u32_e64 s9, s35, v2
	v_cmpx_eq_u32_e64 s35, v2
	s_cbranch_execz .LBB28_65
; %bb.67:                               ;   in Loop: Header=BB28_66 Depth=1
	v_mov_b32_e32 v3, 1
	ds_store_b32 v89, v6 offset:24
	s_branch .LBB28_65
.LBB28_68:
	s_set_inst_prefetch_distance 0x2
	s_or_b32 exec_lo, exec_lo, s14
.LBB28_69:
	s_delay_alu instid0(SALU_CYCLE_1)
	s_or_b32 exec_lo, exec_lo, s12
.LBB28_70:
	s_delay_alu instid0(SALU_CYCLE_1)
	s_or_b32 exec_lo, exec_lo, s11
	s_and_saveexec_b32 s9, vcc_lo
	s_cbranch_execz .LBB28_72
; %bb.71:
	v_mov_b32_e32 v1, -1
	ds_store_b32 v89, v1 offset:28
.LBB28_72:
	s_or_b32 exec_lo, exec_lo, s9
	v_add_nc_u32_e32 v96, 7, v88
	s_delay_alu instid0(VALU_DEP_1) | instskip(NEXT) | instid1(VALU_DEP_1)
	v_add_nc_u32_e32 v1, s33, v96
	v_cmp_gt_i32_e64 s9, s21, v1
	s_delay_alu instid0(VALU_DEP_1)
	s_and_saveexec_b32 s12, s9
	s_cbranch_execz .LBB28_80
; %bb.73:
	s_and_saveexec_b32 s14, s16
	s_cbranch_execz .LBB28_79
; %bb.74:
	v_mul_lo_u32 v1, v96, s27
	v_mov_b32_e32 v6, v80
	s_lshl_b32 s37, s26, 5
	s_mov_b32 s36, 0
	s_delay_alu instid0(VALU_DEP_2) | instskip(NEXT) | instid1(VALU_DEP_1)
	v_ashrrev_i32_e32 v2, 31, v1
	v_lshlrev_b64 v[4:5], 2, v[1:2]
	v_mul_lo_u32 v1, v80, s26
	s_delay_alu instid0(VALU_DEP_2) | instskip(NEXT) | instid1(VALU_DEP_1)
	v_add_co_u32 v4, s10, s40, v4
	v_add_co_ci_u32_e64 v5, s10, s41, v5, s10
	s_set_inst_prefetch_distance 0x1
	s_branch .LBB28_76
	.p2align	6
.LBB28_75:                              ;   in Loop: Header=BB28_76 Depth=1
	s_or_b32 exec_lo, exec_lo, s38
	v_add_nc_u32_e32 v6, 32, v6
	s_xor_b32 s10, s10, -1
	v_add_nc_u32_e32 v1, s37, v1
	s_delay_alu instid0(VALU_DEP_2) | instskip(NEXT) | instid1(VALU_DEP_1)
	v_cmp_le_i32_e64 s11, s22, v6
	s_or_b32 s10, s10, s11
	s_delay_alu instid0(SALU_CYCLE_1) | instskip(NEXT) | instid1(SALU_CYCLE_1)
	s_and_b32 s10, exec_lo, s10
	s_or_b32 s36, s10, s36
	s_delay_alu instid0(SALU_CYCLE_1)
	s_and_not1_b32 exec_lo, exec_lo, s36
	s_cbranch_execz .LBB28_78
.LBB28_76:                              ; =>This Inner Loop Header: Depth=1
	s_delay_alu instid0(VALU_DEP_3) | instskip(SKIP_1) | instid1(VALU_DEP_1)
	v_ashrrev_i32_e32 v2, 31, v1
	s_mov_b32 s38, exec_lo
	v_lshlrev_b64 v[7:8], 2, v[1:2]
	s_delay_alu instid0(VALU_DEP_1) | instskip(NEXT) | instid1(VALU_DEP_1)
	v_add_co_u32 v7, s10, v4, v7
	v_add_co_ci_u32_e64 v8, s10, v5, v8, s10
	global_load_b32 v2, v[7:8], off
	s_waitcnt vmcnt(0)
	v_cmp_ne_u32_e64 s10, s35, v2
	v_cmpx_eq_u32_e64 s35, v2
	s_cbranch_execz .LBB28_75
; %bb.77:                               ;   in Loop: Header=BB28_76 Depth=1
	v_mov_b32_e32 v3, 1
	ds_store_b32 v89, v6 offset:28
	s_branch .LBB28_75
.LBB28_78:
	s_set_inst_prefetch_distance 0x2
	s_or_b32 exec_lo, exec_lo, s36
.LBB28_79:
	s_delay_alu instid0(SALU_CYCLE_1)
	s_or_b32 exec_lo, exec_lo, s14
.LBB28_80:
	s_delay_alu instid0(SALU_CYCLE_1)
	s_or_b32 exec_lo, exec_lo, s12
	s_and_saveexec_b32 s10, vcc_lo
	s_cbranch_execz .LBB28_82
; %bb.81:
	v_mov_b32_e32 v1, -1
	ds_store_b32 v89, v1 offset:32
.LBB28_82:
	s_or_b32 exec_lo, exec_lo, s10
	v_add_nc_u32_e32 v97, 8, v88
	s_delay_alu instid0(VALU_DEP_1) | instskip(NEXT) | instid1(VALU_DEP_1)
	v_add_nc_u32_e32 v1, s33, v97
	v_cmp_gt_i32_e64 s10, s21, v1
	s_delay_alu instid0(VALU_DEP_1)
	s_and_saveexec_b32 s14, s10
	s_cbranch_execz .LBB28_90
; %bb.83:
	s_and_saveexec_b32 s36, s16
	s_cbranch_execz .LBB28_89
; %bb.84:
	v_mul_lo_u32 v1, v97, s27
	v_mov_b32_e32 v6, v80
	s_lshl_b32 s38, s26, 5
	s_mov_b32 s37, 0
	s_delay_alu instid0(VALU_DEP_2) | instskip(NEXT) | instid1(VALU_DEP_1)
	v_ashrrev_i32_e32 v2, 31, v1
	v_lshlrev_b64 v[4:5], 2, v[1:2]
	v_mul_lo_u32 v1, v80, s26
	s_delay_alu instid0(VALU_DEP_2) | instskip(NEXT) | instid1(VALU_DEP_1)
	v_add_co_u32 v4, s11, s40, v4
	v_add_co_ci_u32_e64 v5, s11, s41, v5, s11
	s_set_inst_prefetch_distance 0x1
	s_branch .LBB28_86
	.p2align	6
.LBB28_85:                              ;   in Loop: Header=BB28_86 Depth=1
	s_or_b32 exec_lo, exec_lo, s39
	v_add_nc_u32_e32 v6, 32, v6
	s_xor_b32 s11, s11, -1
	v_add_nc_u32_e32 v1, s38, v1
	s_delay_alu instid0(VALU_DEP_2) | instskip(NEXT) | instid1(VALU_DEP_1)
	v_cmp_le_i32_e64 s12, s22, v6
	s_or_b32 s11, s11, s12
	s_delay_alu instid0(SALU_CYCLE_1) | instskip(NEXT) | instid1(SALU_CYCLE_1)
	s_and_b32 s11, exec_lo, s11
	s_or_b32 s37, s11, s37
	s_delay_alu instid0(SALU_CYCLE_1)
	s_and_not1_b32 exec_lo, exec_lo, s37
	s_cbranch_execz .LBB28_88
.LBB28_86:                              ; =>This Inner Loop Header: Depth=1
	s_delay_alu instid0(VALU_DEP_3) | instskip(SKIP_1) | instid1(VALU_DEP_1)
	v_ashrrev_i32_e32 v2, 31, v1
	s_mov_b32 s39, exec_lo
	v_lshlrev_b64 v[7:8], 2, v[1:2]
	s_delay_alu instid0(VALU_DEP_1) | instskip(NEXT) | instid1(VALU_DEP_1)
	v_add_co_u32 v7, s11, v4, v7
	v_add_co_ci_u32_e64 v8, s11, v5, v8, s11
	global_load_b32 v2, v[7:8], off
	s_waitcnt vmcnt(0)
	v_cmp_ne_u32_e64 s11, s35, v2
	v_cmpx_eq_u32_e64 s35, v2
	s_cbranch_execz .LBB28_85
; %bb.87:                               ;   in Loop: Header=BB28_86 Depth=1
	v_mov_b32_e32 v3, 1
	ds_store_b32 v89, v6 offset:32
	s_branch .LBB28_85
.LBB28_88:
	s_set_inst_prefetch_distance 0x2
	s_or_b32 exec_lo, exec_lo, s37
.LBB28_89:
	s_delay_alu instid0(SALU_CYCLE_1)
	s_or_b32 exec_lo, exec_lo, s36
.LBB28_90:
	s_delay_alu instid0(SALU_CYCLE_1)
	s_or_b32 exec_lo, exec_lo, s14
	s_sub_i32 s36, 0, s34
	s_and_saveexec_b32 s11, vcc_lo
	s_cbranch_execz .LBB28_92
; %bb.91:
	v_mov_b32_e32 v1, -1
	ds_store_b32 v89, v1 offset:36
.LBB28_92:
	s_or_b32 exec_lo, exec_lo, s11
	v_add_nc_u32_e32 v98, 9, v88
	s_mul_i32 s36, s36, s17
	s_delay_alu instid0(VALU_DEP_1) | instskip(NEXT) | instid1(VALU_DEP_1)
	v_add_nc_u32_e32 v1, s33, v98
	v_cmp_gt_i32_e64 s11, s21, v1
	s_delay_alu instid0(VALU_DEP_1)
	s_and_saveexec_b32 s37, s11
	s_cbranch_execz .LBB28_100
; %bb.93:
	s_and_saveexec_b32 s38, s16
	s_cbranch_execz .LBB28_99
; %bb.94:
	v_mul_lo_u32 v1, v98, s27
	v_mov_b32_e32 v6, v80
	s_lshl_b32 s42, s26, 5
	s_mov_b32 s39, 0
	s_delay_alu instid0(VALU_DEP_2) | instskip(NEXT) | instid1(VALU_DEP_1)
	v_ashrrev_i32_e32 v2, 31, v1
	v_lshlrev_b64 v[4:5], 2, v[1:2]
	v_mul_lo_u32 v1, v80, s26
	s_delay_alu instid0(VALU_DEP_2) | instskip(NEXT) | instid1(VALU_DEP_1)
	v_add_co_u32 v4, s12, s40, v4
	v_add_co_ci_u32_e64 v5, s12, s41, v5, s12
	s_set_inst_prefetch_distance 0x1
	s_branch .LBB28_96
	.p2align	6
.LBB28_95:                              ;   in Loop: Header=BB28_96 Depth=1
	s_or_b32 exec_lo, exec_lo, s43
	v_add_nc_u32_e32 v6, 32, v6
	s_xor_b32 s12, s12, -1
	v_add_nc_u32_e32 v1, s42, v1
	s_delay_alu instid0(VALU_DEP_2) | instskip(NEXT) | instid1(VALU_DEP_1)
	v_cmp_le_i32_e64 s14, s22, v6
	s_or_b32 s12, s12, s14
	s_delay_alu instid0(SALU_CYCLE_1) | instskip(NEXT) | instid1(SALU_CYCLE_1)
	s_and_b32 s12, exec_lo, s12
	s_or_b32 s39, s12, s39
	s_delay_alu instid0(SALU_CYCLE_1)
	s_and_not1_b32 exec_lo, exec_lo, s39
	s_cbranch_execz .LBB28_98
.LBB28_96:                              ; =>This Inner Loop Header: Depth=1
	s_delay_alu instid0(VALU_DEP_3) | instskip(SKIP_1) | instid1(VALU_DEP_1)
	v_ashrrev_i32_e32 v2, 31, v1
	s_mov_b32 s43, exec_lo
	v_lshlrev_b64 v[7:8], 2, v[1:2]
	s_delay_alu instid0(VALU_DEP_1) | instskip(NEXT) | instid1(VALU_DEP_1)
	v_add_co_u32 v7, s12, v4, v7
	v_add_co_ci_u32_e64 v8, s12, v5, v8, s12
	global_load_b32 v2, v[7:8], off
	s_waitcnt vmcnt(0)
	v_cmp_ne_u32_e64 s12, s35, v2
	v_cmpx_eq_u32_e64 s35, v2
	s_cbranch_execz .LBB28_95
; %bb.97:                               ;   in Loop: Header=BB28_96 Depth=1
	v_mov_b32_e32 v3, 1
	ds_store_b32 v89, v6 offset:36
	s_branch .LBB28_95
.LBB28_98:
	s_set_inst_prefetch_distance 0x2
	s_or_b32 exec_lo, exec_lo, s39
.LBB28_99:
	s_delay_alu instid0(SALU_CYCLE_1)
	s_or_b32 exec_lo, exec_lo, s38
.LBB28_100:
	s_delay_alu instid0(SALU_CYCLE_1)
	s_or_b32 exec_lo, exec_lo, s37
	s_mul_hi_u32 s14, s17, s36
	s_and_saveexec_b32 s12, vcc_lo
	s_cbranch_execz .LBB28_102
; %bb.101:
	v_mov_b32_e32 v1, -1
	ds_store_b32 v89, v1 offset:40
.LBB28_102:
	s_or_b32 exec_lo, exec_lo, s12
	s_load_b128 s[36:39], s[0:1], 0x54
	v_add_nc_u32_e32 v99, 10, v88
	s_waitcnt lgkmcnt(0)
	s_abs_i32 s39, s15
	s_add_i32 s42, s17, s14
	s_delay_alu instid0(VALU_DEP_1) | instskip(NEXT) | instid1(VALU_DEP_1)
	v_add_nc_u32_e32 v1, s33, v99
	v_cmp_gt_i32_e64 s12, s21, v1
	s_delay_alu instid0(VALU_DEP_1)
	s_and_saveexec_b32 s17, s12
	s_cbranch_execz .LBB28_110
; %bb.103:
	s_and_saveexec_b32 s43, s16
	s_cbranch_execz .LBB28_109
; %bb.104:
	v_mul_lo_u32 v1, v99, s27
	v_mov_b32_e32 v6, v80
	s_mov_b32 s16, 0
	s_delay_alu instid0(VALU_DEP_2) | instskip(NEXT) | instid1(VALU_DEP_1)
	v_ashrrev_i32_e32 v2, 31, v1
	v_lshlrev_b64 v[4:5], 2, v[1:2]
	v_mul_lo_u32 v1, v80, s26
	s_lshl_b32 s26, s26, 5
	s_delay_alu instid0(VALU_DEP_2) | instskip(NEXT) | instid1(VALU_DEP_3)
	v_add_co_u32 v4, vcc_lo, s40, v4
	v_add_co_ci_u32_e32 v5, vcc_lo, s41, v5, vcc_lo
	s_set_inst_prefetch_distance 0x1
	s_branch .LBB28_106
	.p2align	6
.LBB28_105:                             ;   in Loop: Header=BB28_106 Depth=1
	s_or_b32 exec_lo, exec_lo, s27
	v_add_nc_u32_e32 v6, 32, v6
	s_xor_b32 s27, vcc_lo, -1
	v_add_nc_u32_e32 v1, s26, v1
	s_delay_alu instid0(VALU_DEP_2) | instskip(NEXT) | instid1(VALU_DEP_1)
	v_cmp_le_i32_e64 s14, s22, v6
	s_or_b32 s14, s27, s14
	s_delay_alu instid0(SALU_CYCLE_1) | instskip(NEXT) | instid1(SALU_CYCLE_1)
	s_and_b32 s14, exec_lo, s14
	s_or_b32 s16, s14, s16
	s_delay_alu instid0(SALU_CYCLE_1)
	s_and_not1_b32 exec_lo, exec_lo, s16
	s_cbranch_execz .LBB28_108
.LBB28_106:                             ; =>This Inner Loop Header: Depth=1
	s_delay_alu instid0(VALU_DEP_3) | instskip(SKIP_1) | instid1(VALU_DEP_1)
	v_ashrrev_i32_e32 v2, 31, v1
	s_mov_b32 s27, exec_lo
	v_lshlrev_b64 v[7:8], 2, v[1:2]
	s_delay_alu instid0(VALU_DEP_1) | instskip(NEXT) | instid1(VALU_DEP_2)
	v_add_co_u32 v7, vcc_lo, v4, v7
	v_add_co_ci_u32_e32 v8, vcc_lo, v5, v8, vcc_lo
	global_load_b32 v2, v[7:8], off
	s_waitcnt vmcnt(0)
	v_cmp_ne_u32_e32 vcc_lo, s35, v2
	v_cmpx_eq_u32_e64 s35, v2
	s_cbranch_execz .LBB28_105
; %bb.107:                              ;   in Loop: Header=BB28_106 Depth=1
	v_mov_b32_e32 v3, 1
	ds_store_b32 v89, v6 offset:40
	s_branch .LBB28_105
.LBB28_108:
	s_set_inst_prefetch_distance 0x2
	s_or_b32 exec_lo, exec_lo, s16
.LBB28_109:
	s_delay_alu instid0(SALU_CYCLE_1)
	s_or_b32 exec_lo, exec_lo, s43
.LBB28_110:
	s_delay_alu instid0(SALU_CYCLE_1)
	s_or_b32 exec_lo, exec_lo, s17
	v_cmp_ne_u32_e32 vcc_lo, 0, v3
	s_load_b64 s[40:41], s[18:19], 0xc
	s_clause 0x1
	s_load_b128 s[16:19], s[0:1], 0x0
	s_load_b64 s[26:27], s[0:1], 0x18
	v_cndmask_b32_e64 v1, 0, 1, vcc_lo
	s_delay_alu instid0(VALU_DEP_1) | instskip(NEXT) | instid1(VALU_DEP_1)
	v_or_b32_dpp v1, v1, v1 row_shl:1 row_mask:0xf bank_mask:0xf bound_ctrl:1
	v_or_b32_dpp v1, v1, v1 row_shl:2 row_mask:0xf bank_mask:0xf bound_ctrl:1
	s_delay_alu instid0(VALU_DEP_1)
	v_or_b32_dpp v1, v1, v1 row_shl:4 row_mask:0xf bank_mask:0xf bound_ctrl:1
	s_waitcnt lgkmcnt(0)
	s_lshr_b32 s14, s40, 16
	s_and_b32 s0, s40, 0xffff
	s_and_b32 s22, s41, 0xffff
	s_mul_i32 s1, s14, s0
	v_or_b32_dpp v1, v1, v1 row_shl:8 row_mask:0xf bank_mask:0xf bound_ctrl:1
	s_bfe_i32 s1, s1, 0x180000
	s_delay_alu instid0(SALU_CYCLE_1) | instskip(NEXT) | instid1(SALU_CYCLE_1)
	s_mul_i32 s1, s1, s22
	s_add_i32 s1, s1, 31
	s_delay_alu instid0(VALU_DEP_1) | instskip(SKIP_1) | instid1(SALU_CYCLE_1)
	v_mov_b32_dpp v1, v1 row_share:0 row_mask:0xf bank_mask:0xf bound_ctrl:1
	s_and_not1_b32 s1, s1, 31
	s_cmp_lg_u32 s1, 32
	s_mul_hi_u32 s1, s39, s42
	s_delay_alu instid0(VALU_DEP_1) | instskip(NEXT) | instid1(VALU_DEP_1)
	v_permlanex16_b32 v2, v1, 0, 0 op_sel:[0,1]
	v_or_b32_e32 v2, v2, v1
	s_cbranch_scc0 .LBB28_119
; %bb.111:
	v_bfe_u32 v0, v0, 20, 10
	s_delay_alu instid0(VALU_DEP_1) | instskip(NEXT) | instid1(VALU_DEP_1)
	v_mad_u32_u24 v3, v0, s14, v88
	v_mad_u64_u32 v[0:1], null, v3, s0, v[80:81]
	v_mbcnt_lo_u32_b32 v1, -1, 0
	s_mov_b32 s0, exec_lo
	s_delay_alu instid0(VALU_DEP_2) | instskip(NEXT) | instid1(VALU_DEP_1)
	v_lshrrev_b32_e32 v3, 5, v0
	v_or_b32_e32 v3, v1, v3
	s_delay_alu instid0(VALU_DEP_1)
	v_cmpx_eq_u32_e32 0, v3
	s_cbranch_execz .LBB28_113
; %bb.112:
	v_mov_b32_e32 v3, 0
	ds_store_b32 v3, v2
.LBB28_113:
	s_or_b32 exec_lo, exec_lo, s0
	v_cmp_eq_u32_e32 vcc_lo, 0, v1
	v_cmp_lt_u32_e64 s0, 31, v0
	s_mov_b32 s14, 0
	s_waitcnt vmcnt(0) lgkmcnt(0)
	s_waitcnt_vscnt null, 0x0
	; wave barrier
	s_waitcnt lgkmcnt(0)
	buffer_gl0_inv
	s_and_b32 s22, s0, vcc_lo
	s_delay_alu instid0(SALU_CYCLE_1)
	s_and_saveexec_b32 s0, s22
	s_cbranch_execz .LBB28_118
; %bb.114:
	s_mov_b32 s22, exec_lo
.LBB28_115:                             ; =>This Inner Loop Header: Depth=1
	s_delay_alu instid0(SALU_CYCLE_1) | instskip(NEXT) | instid1(SALU_CYCLE_1)
	s_ctz_i32_b32 s40, s22
	v_readlane_b32 s41, v2, s40
	s_lshl_b32 s40, 1, s40
	s_delay_alu instid0(SALU_CYCLE_1) | instskip(NEXT) | instid1(VALU_DEP_1)
	s_and_not1_b32 s22, s22, s40
	s_or_b32 s14, s14, s41
	s_cmp_lg_u32 s22, 0
	s_cbranch_scc1 .LBB28_115
; %bb.116:
	v_mbcnt_lo_u32_b32 v0, exec_lo, 0
	s_mov_b32 s22, exec_lo
	s_delay_alu instid0(VALU_DEP_1)
	v_cmpx_eq_u32_e32 0, v0
	s_xor_b32 s22, exec_lo, s22
	s_cbranch_execz .LBB28_118
; %bb.117:
	v_dual_mov_b32 v0, 0 :: v_dual_mov_b32 v1, s14
	ds_or_b32 v0, v1
.LBB28_118:
	s_or_b32 exec_lo, exec_lo, s0
	v_mov_b32_e32 v0, 0
	s_waitcnt vmcnt(0) lgkmcnt(0)
	s_waitcnt_vscnt null, 0x0
	; wave barrier
	s_waitcnt lgkmcnt(0)
	buffer_gl0_inv
	ds_load_b32 v2, v0
	s_waitcnt vmcnt(0) lgkmcnt(0)
	s_waitcnt_vscnt null, 0x0
	; wave barrier
	s_waitcnt lgkmcnt(0)
	buffer_gl0_inv
.LBB28_119:
	s_ashr_i32 s0, s15, 31
	s_ashr_i32 s22, s31, 31
	s_mov_b32 s14, exec_lo
	v_cmpx_ne_u32_e32 0, v2
	s_cbranch_execz .LBB28_203
; %bb.120:
	v_lshlrev_b32_e32 v100, 5, v88
	v_and_b32_e32 v16, 15, v80
	s_mov_b32 s14, exec_lo
                                        ; implicit-def: $sgpr31
                                        ; implicit-def: $vgpr102
	s_delay_alu instid0(VALU_DEP_2) | instskip(NEXT) | instid1(VALU_DEP_1)
	v_add_nc_u32_e32 v101, v100, v80
	v_cmpx_le_i32_e64 s20, v101
	s_xor_b32 s14, exec_lo, s14
; %bb.121:
	v_mul_u32_u24_e32 v102, 0x90, v16
	s_mov_b32 s31, 0
                                        ; implicit-def: $vgpr101
                                        ; implicit-def: $vgpr16
; %bb.122:
	s_or_saveexec_b32 s14, s14
	v_dual_mov_b32 v15, s31 :: v_dual_mov_b32 v14, s31
	v_dual_mov_b32 v13, s31 :: v_dual_mov_b32 v12, s31
	;; [unrolled: 1-line block ×8, first 2 shown]
	s_lshl_b32 s13, s13, 5
	s_xor_b32 exec_lo, exec_lo, s14
	s_cbranch_execz .LBB28_159
; %bb.123:
	s_mul_i32 s31, s1, s34
	s_xor_b32 s22, s0, s22
	s_sub_i32 s0, s39, s31
	s_add_i32 s31, s1, 1
	s_sub_i32 s39, s0, s34
	s_cmp_ge_u32 s0, s34
	s_mul_hi_i32 s43, s37, s15
	s_cselect_b32 s1, s31, s1
	s_cselect_b32 s0, s39, s0
	s_add_i32 s31, s1, 1
	s_cmp_ge_u32 s0, s34
	s_mul_i32 s34, s13, s23
	s_cselect_b32 s0, s31, s1
	s_mul_i32 s42, s37, s15
	s_xor_b32 s1, s0, s22
	s_mul_i32 s0, s35, s28
	s_sub_i32 s1, s1, s22
	v_dual_mov_b32 v104, 0 :: v_dual_lshlrev_b32 v1, 1, v80
	s_mul_hi_i32 s41, s1, s36
	s_mul_i32 s40, s1, s36
	s_ashr_i32 s1, s0, 31
	s_lshl_b64 s[50:51], s[40:41], 2
	v_lshl_add_u32 v81, v88, 6, v1
	s_add_u32 s22, s16, s50
	s_addc_u32 s28, s17, s51
	s_lshl_b64 s[52:53], s[0:1], 2
	s_mul_hi_i32 s1, s24, s33
	s_add_u32 s22, s22, s52
	s_addc_u32 s28, s28, s53
	s_ashr_i32 s35, s34, 31
	s_mul_i32 s0, s24, s33
	s_lshl_b64 s[54:55], s[34:35], 2
	v_dual_mov_b32 v106, 0x100 :: v_dual_lshlrev_b32 v1, 2, v101
	s_add_u32 s22, s22, s54
	s_addc_u32 s28, s28, s55
	s_lshl_b64 s[34:35], s[42:43], 2
	s_lshl_b64 s[0:1], s[0:1], 3
	s_add_u32 s18, s18, s34
	s_addc_u32 s19, s19, s35
	s_add_u32 s18, s18, s0
	s_addc_u32 s19, s19, s1
	s_cmp_lt_i32 s33, s21
	s_movk_i32 s1, 0x900
	s_cselect_b32 s31, -1, 0
	s_add_i32 s0, s33, 1
	v_mad_u32_u24 v0, v88, s1, 0x100
	s_cmp_lt_i32 s0, s21
	v_mul_u32_u24_e32 v102, 0x90, v16
	s_cselect_b32 s34, -1, 0
	s_add_i32 s0, s33, 2
	v_lshl_add_u32 v103, v80, 2, v0
	s_cmp_lt_i32 s0, s21
	v_dual_mov_b32 v0, 0 :: v_dual_add_nc_u32 v105, v0, v102
	s_cselect_b32 s35, -1, 0
	s_add_i32 s0, s33, 3
	s_lshl_b32 s36, s24, 2
	s_cmp_lt_i32 s0, s21
	v_mov_b32_e32 v2, v104
	s_cselect_b32 s37, -1, 0
	s_add_i32 s0, s33, 4
	v_mov_b32_e32 v3, v104
	s_cmp_lt_i32 s0, s21
	v_mov_b32_e32 v4, v104
	s_cselect_b32 s39, -1, 0
	s_add_i32 s0, s33, 5
	s_lshl_b32 s40, s24, 3
	s_cmp_lt_i32 s0, s21
	v_mov_b32_e32 v5, v104
	s_cselect_b32 s41, -1, 0
	s_add_i32 s0, s33, 6
	v_mov_b32_e32 v6, v104
	s_cmp_lt_i32 s0, s21
	v_mov_b32_e32 v7, v104
	s_cselect_b32 s42, -1, 0
	s_add_i32 s0, s33, 7
	v_mov_b32_e32 v9, v104
	s_cmp_lt_i32 s0, s21
	v_mov_b32_e32 v10, v104
	s_cselect_b32 s43, -1, 0
	s_add_i32 s0, s33, 8
	v_mov_b32_e32 v11, v104
	s_cmp_lt_i32 s0, s21
	v_mov_b32_e32 v12, v104
	s_cselect_b32 s46, -1, 0
	s_add_i32 s0, s33, 9
	s_lshl_b32 s47, s24, 4
	s_cmp_lt_i32 s0, s21
	v_mov_b32_e32 v8, 0
	s_cselect_b32 s48, -1, 0
	s_add_i32 s0, s33, 10
	v_mov_b32_e32 v13, v104
	s_cmp_lt_i32 s0, s21
	s_mov_b32 s0, s23
	s_cselect_b32 s21, -1, 0
	s_ashr_i32 s1, s23, 31
	v_mov_b32_e32 v14, v104
	s_lshl_b64 s[0:1], s[0:1], 2
	s_add_u32 s49, s50, s54
	s_addc_u32 s50, s51, s55
	s_add_u32 s49, s49, s52
	s_addc_u32 s50, s50, s53
	;; [unrolled: 2-line block ×3, first 2 shown]
	v_add_co_u32 v82, s16, s16, v1
	s_delay_alu instid0(VALU_DEP_1)
	v_add_co_ci_u32_e64 v83, null, s17, 0, s16
	v_mov_b32_e32 v1, v104
	v_mov_b32_e32 v15, v104
	s_mul_i32 s44, s24, 6
	s_mul_i32 s45, s24, 10
	;; [unrolled: 1-line block ×6, first 2 shown]
	s_lshl_b32 s24, s24, 1
	s_lshl_b32 s51, s23, 1
	s_mul_i32 s52, s23, 3
	s_lshl_b32 s53, s23, 2
	s_mul_i32 s54, s23, 5
	s_mul_i32 s55, s23, 6
	;; [unrolled: 1-line block ×3, first 2 shown]
	s_lshl_b32 s57, s23, 3
	s_mul_i32 s58, s23, 9
	s_mul_i32 s59, s23, 10
	;; [unrolled: 1-line block ×7, first 2 shown]
	s_lshl_b32 s65, s23, 4
	s_mul_i32 s66, s23, 17
	s_mul_i32 s67, s23, 18
	;; [unrolled: 1-line block ×15, first 2 shown]
	s_mov_b32 s23, 0
	s_branch .LBB28_125
.LBB28_124:                             ;   in Loop: Header=BB28_125 Depth=1
	s_waitcnt vmcnt(0)
	v_cvt_f16_f32_e32 v84, v84
	v_cvt_f16_f32_e32 v85, v85
	v_add_nc_u32_e32 v101, 32, v101
	v_add_co_u32 v82, vcc_lo, 0x80, v82
	v_add_co_ci_u32_e32 v83, vcc_lo, 0, v83, vcc_lo
	s_delay_alu instid0(VALU_DEP_4)
	v_pack_b32_f16 v84, v84, v85
	v_add_nc_u32_e32 v85, 0x400, v103
	v_cmp_le_i32_e32 vcc_lo, s20, v101
	ds_store_2addr_b32 v85, v84, v104 offset0:120 offset1:156
	ds_store_2addr_b32 v85, v104, v104 offset0:192 offset1:228
	v_add_nc_u32_e32 v84, 0x800, v103
	v_add_nc_u32_e32 v81, 64, v81
	s_or_b32 s23, vcc_lo, s23
	ds_store_2addr_b32 v84, v104, v104 offset0:8 offset1:44
	ds_load_b128 v[107:110], v105 offset:64
	ds_load_b128 v[111:114], v105 offset:80
	;; [unrolled: 1-line block ×4, first 2 shown]
	s_waitcnt lgkmcnt(2)
	v_wmma_f32_16x16x16_f16 v[8:15], v[56:63], v[107:114], v[8:15]
	v_wmma_f32_16x16x16_f16 v[0:7], v[72:79], v[107:114], v[0:7]
	s_waitcnt lgkmcnt(0)
	s_delay_alu instid0(VALU_DEP_2)
	v_wmma_f32_16x16x16_f16 v[8:15], v[48:55], v[115:122], v[8:15]
	ds_load_b128 v[48:51], v105 offset:128
	ds_load_b128 v[52:55], v105 offset:144
	v_wmma_f32_16x16x16_f16 v[0:7], v[64:71], v[115:122], v[0:7]
	s_waitcnt lgkmcnt(0)
	v_wmma_f32_16x16x16_f16 v[8:15], v[32:39], v[48:55], v[8:15]
	ds_load_b128 v[32:35], v105 offset:160
	ds_load_b128 v[36:39], v105 offset:176
	v_wmma_f32_16x16x16_f16 v[0:7], v[40:47], v[48:55], v[0:7]
	s_waitcnt lgkmcnt(0)
	v_wmma_f32_16x16x16_f16 v[8:15], v[16:23], v[32:39], v[8:15]
	s_delay_alu instid0(VALU_DEP_2)
	v_wmma_f32_16x16x16_f16 v[0:7], v[24:31], v[32:39], v[0:7]
	s_and_not1_b32 exec_lo, exec_lo, s23
	s_cbranch_execz .LBB28_158
.LBB28_125:                             ; =>This Inner Loop Header: Depth=1
	v_dual_mov_b32 v85, 0 :: v_dual_add_nc_u32 v16, s51, v101
	v_add_nc_u32_e32 v22, s53, v101
	v_add_nc_u32_e32 v18, s52, v101
	v_add_co_u32 v20, vcc_lo, v82, s0
	s_delay_alu instid0(VALU_DEP_4)
	v_ashrrev_i32_e32 v17, 31, v16
	v_add_co_ci_u32_e32 v21, vcc_lo, s1, v83, vcc_lo
	v_ashrrev_i32_e32 v23, 31, v22
	v_ashrrev_i32_e32 v19, 31, v18
	v_add_nc_u32_e32 v24, s54, v101
	v_lshlrev_b64 v[16:17], 2, v[16:17]
	s_clause 0x1
	global_load_b32 v38, v[82:83], off
	global_load_b32 v39, v[20:21], off
	v_lshlrev_b64 v[20:21], 2, v[22:23]
	v_add_nc_u32_e32 v22, s55, v101
	v_lshlrev_b64 v[18:19], 2, v[18:19]
	v_ashrrev_i32_e32 v25, 31, v24
	v_add_nc_u32_e32 v26, s56, v101
	v_add_co_u32 v16, vcc_lo, s22, v16
	v_ashrrev_i32_e32 v23, 31, v22
	v_add_co_ci_u32_e32 v17, vcc_lo, s28, v17, vcc_lo
	v_add_nc_u32_e32 v28, s57, v101
	v_add_co_u32 v18, vcc_lo, s22, v18
	v_lshlrev_b64 v[24:25], 2, v[24:25]
	v_ashrrev_i32_e32 v27, 31, v26
	v_add_co_ci_u32_e32 v19, vcc_lo, s28, v19, vcc_lo
	v_add_nc_u32_e32 v30, s58, v101
	v_add_co_u32 v20, vcc_lo, s22, v20
	v_lshlrev_b64 v[22:23], 2, v[22:23]
	v_ashrrev_i32_e32 v29, 31, v28
	v_add_co_ci_u32_e32 v21, vcc_lo, s28, v21, vcc_lo
	v_add_co_u32 v24, vcc_lo, s22, v24
	v_lshlrev_b64 v[26:27], 2, v[26:27]
	v_ashrrev_i32_e32 v31, 31, v30
	v_add_co_ci_u32_e32 v25, vcc_lo, s28, v25, vcc_lo
	v_add_co_u32 v22, vcc_lo, s22, v22
	v_lshlrev_b64 v[28:29], 2, v[28:29]
	v_add_co_ci_u32_e32 v23, vcc_lo, s28, v23, vcc_lo
	v_add_nc_u32_e32 v32, s59, v101
	v_add_co_u32 v26, vcc_lo, s22, v26
	v_lshlrev_b64 v[30:31], 2, v[30:31]
	v_add_co_ci_u32_e32 v27, vcc_lo, s28, v27, vcc_lo
	v_add_nc_u32_e32 v34, s60, v101
	v_add_co_u32 v28, vcc_lo, s22, v28
	v_ashrrev_i32_e32 v33, 31, v32
	v_add_co_ci_u32_e32 v29, vcc_lo, s28, v29, vcc_lo
	v_add_nc_u32_e32 v36, s61, v101
	v_add_co_u32 v30, vcc_lo, s22, v30
	v_ashrrev_i32_e32 v35, 31, v34
	v_add_co_ci_u32_e32 v31, vcc_lo, s28, v31, vcc_lo
	s_clause 0x7
	global_load_b32 v40, v[16:17], off
	global_load_b32 v41, v[18:19], off
	global_load_b32 v42, v[20:21], off
	global_load_b32 v43, v[24:25], off
	global_load_b32 v44, v[22:23], off
	global_load_b32 v45, v[26:27], off
	global_load_b32 v46, v[28:29], off
	global_load_b32 v47, v[30:31], off
	v_add_nc_u32_e32 v18, s62, v101
	v_lshlrev_b64 v[32:33], 2, v[32:33]
	v_ashrrev_i32_e32 v37, 31, v36
	v_add_nc_u32_e32 v24, s63, v101
	v_lshlrev_b64 v[16:17], 2, v[34:35]
	v_ashrrev_i32_e32 v19, 31, v18
	v_add_nc_u32_e32 v26, s64, v101
	v_add_co_u32 v20, vcc_lo, s22, v32
	v_lshlrev_b64 v[22:23], 2, v[36:37]
	v_ashrrev_i32_e32 v25, 31, v24
	v_add_co_ci_u32_e32 v21, vcc_lo, s28, v33, vcc_lo
	v_add_nc_u32_e32 v28, s65, v101
	v_add_co_u32 v16, vcc_lo, s22, v16
	v_lshlrev_b64 v[18:19], 2, v[18:19]
	v_ashrrev_i32_e32 v27, 31, v26
	v_add_co_ci_u32_e32 v17, vcc_lo, s28, v17, vcc_lo
	v_add_nc_u32_e32 v30, s66, v101
	v_add_co_u32 v22, vcc_lo, s22, v22
	v_lshlrev_b64 v[24:25], 2, v[24:25]
	v_ashrrev_i32_e32 v29, 31, v28
	v_add_co_ci_u32_e32 v23, vcc_lo, s28, v23, vcc_lo
	v_add_co_u32 v18, vcc_lo, s22, v18
	v_lshlrev_b64 v[26:27], 2, v[26:27]
	v_ashrrev_i32_e32 v31, 31, v30
	v_add_co_ci_u32_e32 v19, vcc_lo, s28, v19, vcc_lo
	v_add_co_u32 v24, vcc_lo, s22, v24
	v_lshlrev_b64 v[28:29], 2, v[28:29]
	v_add_co_ci_u32_e32 v25, vcc_lo, s28, v25, vcc_lo
	v_add_nc_u32_e32 v32, s67, v101
	v_add_co_u32 v26, vcc_lo, s22, v26
	v_lshlrev_b64 v[30:31], 2, v[30:31]
	v_add_co_ci_u32_e32 v27, vcc_lo, s28, v27, vcc_lo
	v_add_nc_u32_e32 v34, s68, v101
	v_add_co_u32 v28, vcc_lo, s22, v28
	v_ashrrev_i32_e32 v33, 31, v32
	v_add_co_ci_u32_e32 v29, vcc_lo, s28, v29, vcc_lo
	v_add_nc_u32_e32 v36, s69, v101
	v_add_co_u32 v30, vcc_lo, s22, v30
	v_ashrrev_i32_e32 v35, 31, v34
	v_add_co_ci_u32_e32 v31, vcc_lo, s28, v31, vcc_lo
	s_clause 0x7
	global_load_b32 v48, v[20:21], off
	global_load_b32 v49, v[16:17], off
	global_load_b32 v50, v[22:23], off
	global_load_b32 v51, v[18:19], off
	global_load_b32 v52, v[24:25], off
	global_load_b32 v53, v[26:27], off
	global_load_b32 v64, v[28:29], off
	global_load_b32 v65, v[30:31], off
	v_add_nc_u32_e32 v18, s70, v101
	v_lshlrev_b64 v[32:33], 2, v[32:33]
	v_ashrrev_i32_e32 v37, 31, v36
	v_add_nc_u32_e32 v24, s71, v101
	v_lshlrev_b64 v[16:17], 2, v[34:35]
	v_ashrrev_i32_e32 v19, 31, v18
	v_add_nc_u32_e32 v26, s72, v101
	v_add_co_u32 v20, vcc_lo, s22, v32
	v_lshlrev_b64 v[22:23], 2, v[36:37]
	;; [unrolled: 49-line block ×3, first 2 shown]
	v_ashrrev_i32_e32 v25, 31, v24
	v_add_co_ci_u32_e32 v21, vcc_lo, s28, v33, vcc_lo
	v_add_co_u32 v16, vcc_lo, s22, v16
	v_lshlrev_b64 v[18:19], 2, v[18:19]
	v_ashrrev_i32_e32 v27, 31, v26
	v_add_co_ci_u32_e32 v17, vcc_lo, s28, v17, vcc_lo
	v_add_co_u32 v22, vcc_lo, s22, v22
	v_lshlrev_b64 v[24:25], 2, v[24:25]
	v_add_co_ci_u32_e32 v23, vcc_lo, s28, v23, vcc_lo
	v_add_co_u32 v18, vcc_lo, s22, v18
	v_lshlrev_b64 v[26:27], 2, v[26:27]
	v_add_co_ci_u32_e32 v19, vcc_lo, s28, v19, vcc_lo
	v_add_co_u32 v24, vcc_lo, s22, v24
	v_add_co_ci_u32_e32 v25, vcc_lo, s28, v25, vcc_lo
	s_delay_alu instid0(VALU_DEP_4)
	v_add_co_u32 v26, vcc_lo, s22, v26
	v_add_co_ci_u32_e32 v27, vcc_lo, s28, v27, vcc_lo
	s_clause 0x5
	global_load_b32 v30, v[20:21], off
	global_load_b32 v31, v[16:17], off
	;; [unrolled: 1-line block ×6, first 2 shown]
	v_mov_b32_e32 v84, 0
	s_and_not1_b32 vcc_lo, exec_lo, s31
	s_waitcnt vmcnt(31)
	ds_store_b32 v103, v38 offset:64
	s_waitcnt vmcnt(30)
	ds_store_b32 v103, v39 offset:208
	;; [unrolled: 2-line block ×16, first 2 shown]
	ds_load_b128 v[56:59], v105 offset:64
	ds_load_b128 v[60:63], v105 offset:80
	;; [unrolled: 1-line block ×8, first 2 shown]
	s_waitcnt vmcnt(15)
	ds_store_b32 v103, v64 offset:64
	s_waitcnt vmcnt(14)
	ds_store_b32 v103, v65 offset:208
	;; [unrolled: 2-line block ×16, first 2 shown]
	ds_load_b128 v[72:75], v105 offset:64
	ds_load_b128 v[76:79], v105 offset:80
	;; [unrolled: 1-line block ×8, first 2 shown]
	s_cbranch_vccnz .LBB28_128
; %bb.126:                              ;   in Loop: Header=BB28_125 Depth=1
	ds_load_b32 v86, v106
	v_dual_mov_b32 v84, 0 :: v_dual_mov_b32 v85, 0
	s_waitcnt lgkmcnt(0)
	v_cmp_gt_i32_e32 vcc_lo, 0, v86
	s_cbranch_vccnz .LBB28_128
; %bb.127:                              ;   in Loop: Header=BB28_125 Depth=1
	v_mad_u64_u32 v[84:85], null, v86, s29, v[81:82]
	s_delay_alu instid0(VALU_DEP_1) | instskip(NEXT) | instid1(VALU_DEP_1)
	v_ashrrev_i32_e32 v85, 31, v84
	v_lshlrev_b64 v[84:85], 2, v[84:85]
	s_delay_alu instid0(VALU_DEP_1) | instskip(NEXT) | instid1(VALU_DEP_2)
	v_add_co_u32 v84, vcc_lo, s18, v84
	v_add_co_ci_u32_e32 v85, vcc_lo, s19, v85, vcc_lo
	global_load_b64 v[84:85], v[84:85], off
.LBB28_128:                             ;   in Loop: Header=BB28_125 Depth=1
	s_waitcnt vmcnt(0)
	v_cvt_f16_f32_e32 v84, v84
	v_cvt_f16_f32_e32 v85, v85
	v_mov_b32_e32 v87, 0
	s_and_not1_b32 vcc_lo, exec_lo, s34
	v_mov_b32_e32 v86, 0
	s_delay_alu instid0(VALU_DEP_3)
	v_pack_b32_f16 v84, v84, v85
	v_mov_b32_e32 v85, 0
	ds_store_b32 v103, v84 offset:64
	s_cbranch_vccnz .LBB28_131
; %bb.129:                              ;   in Loop: Header=BB28_125 Depth=1
	ds_load_b32 v84, v106 offset:4
	v_dual_mov_b32 v86, 0 :: v_dual_mov_b32 v87, 0
	s_waitcnt lgkmcnt(0)
	v_cmp_gt_i32_e32 vcc_lo, 0, v84
	s_cbranch_vccnz .LBB28_131
; %bb.130:                              ;   in Loop: Header=BB28_125 Depth=1
	v_mul_lo_u32 v84, v84, s29
	s_delay_alu instid0(VALU_DEP_1) | instskip(NEXT) | instid1(VALU_DEP_1)
	v_add3_u32 v86, v84, s24, v81
	v_ashrrev_i32_e32 v87, 31, v86
	s_delay_alu instid0(VALU_DEP_1) | instskip(NEXT) | instid1(VALU_DEP_1)
	v_lshlrev_b64 v[86:87], 2, v[86:87]
	v_add_co_u32 v86, vcc_lo, s18, v86
	s_delay_alu instid0(VALU_DEP_2)
	v_add_co_ci_u32_e32 v87, vcc_lo, s19, v87, vcc_lo
	global_load_b64 v[86:87], v[86:87], off
.LBB28_131:                             ;   in Loop: Header=BB28_125 Depth=1
	s_waitcnt vmcnt(0)
	v_cvt_f16_f32_e32 v84, v86
	v_cvt_f16_f32_e32 v86, v87
	s_and_not1_b32 vcc_lo, exec_lo, s35
	s_delay_alu instid0(VALU_DEP_1)
	v_pack_b32_f16 v86, v84, v86
	v_mov_b32_e32 v84, 0
	ds_store_b32 v103, v86 offset:208
	s_cbranch_vccnz .LBB28_134
; %bb.132:                              ;   in Loop: Header=BB28_125 Depth=1
	ds_load_b32 v86, v106 offset:8
	v_dual_mov_b32 v84, 0 :: v_dual_mov_b32 v85, 0
	s_waitcnt lgkmcnt(0)
	v_cmp_gt_i32_e32 vcc_lo, 0, v86
	s_cbranch_vccnz .LBB28_134
; %bb.133:                              ;   in Loop: Header=BB28_125 Depth=1
	v_mul_lo_u32 v84, v86, s29
	s_delay_alu instid0(VALU_DEP_1) | instskip(NEXT) | instid1(VALU_DEP_1)
	v_add3_u32 v84, v84, s36, v81
	v_ashrrev_i32_e32 v85, 31, v84
	s_delay_alu instid0(VALU_DEP_1) | instskip(NEXT) | instid1(VALU_DEP_1)
	v_lshlrev_b64 v[84:85], 2, v[84:85]
	v_add_co_u32 v84, vcc_lo, s18, v84
	s_delay_alu instid0(VALU_DEP_2)
	v_add_co_ci_u32_e32 v85, vcc_lo, s19, v85, vcc_lo
	global_load_b64 v[84:85], v[84:85], off
.LBB28_134:                             ;   in Loop: Header=BB28_125 Depth=1
	s_waitcnt vmcnt(0)
	v_cvt_f16_f32_e32 v84, v84
	v_cvt_f16_f32_e32 v85, v85
	v_mov_b32_e32 v87, 0
	s_and_not1_b32 vcc_lo, exec_lo, s37
	v_mov_b32_e32 v86, 0
	s_delay_alu instid0(VALU_DEP_3)
	v_pack_b32_f16 v84, v84, v85
	v_mov_b32_e32 v85, 0
	ds_store_b32 v103, v84 offset:352
	s_cbranch_vccnz .LBB28_137
; %bb.135:                              ;   in Loop: Header=BB28_125 Depth=1
	ds_load_b32 v84, v106 offset:12
	v_dual_mov_b32 v86, 0 :: v_dual_mov_b32 v87, 0
	s_waitcnt lgkmcnt(0)
	v_cmp_gt_i32_e32 vcc_lo, 0, v84
	s_cbranch_vccnz .LBB28_137
; %bb.136:                              ;   in Loop: Header=BB28_125 Depth=1
	v_mul_lo_u32 v84, v84, s29
	s_delay_alu instid0(VALU_DEP_1) | instskip(NEXT) | instid1(VALU_DEP_1)
	v_add3_u32 v86, v84, s44, v81
	v_ashrrev_i32_e32 v87, 31, v86
	s_delay_alu instid0(VALU_DEP_1) | instskip(NEXT) | instid1(VALU_DEP_1)
	v_lshlrev_b64 v[86:87], 2, v[86:87]
	v_add_co_u32 v86, vcc_lo, s18, v86
	s_delay_alu instid0(VALU_DEP_2)
	v_add_co_ci_u32_e32 v87, vcc_lo, s19, v87, vcc_lo
	global_load_b64 v[86:87], v[86:87], off
.LBB28_137:                             ;   in Loop: Header=BB28_125 Depth=1
	s_waitcnt vmcnt(0)
	v_cvt_f16_f32_e32 v84, v86
	v_cvt_f16_f32_e32 v86, v87
	s_and_not1_b32 vcc_lo, exec_lo, s39
	s_delay_alu instid0(VALU_DEP_1)
	v_pack_b32_f16 v86, v84, v86
	v_mov_b32_e32 v84, 0
	ds_store_b32 v103, v86 offset:496
	s_cbranch_vccnz .LBB28_140
; %bb.138:                              ;   in Loop: Header=BB28_125 Depth=1
	ds_load_b32 v86, v106 offset:16
	v_dual_mov_b32 v84, 0 :: v_dual_mov_b32 v85, 0
	s_waitcnt lgkmcnt(0)
	v_cmp_gt_i32_e32 vcc_lo, 0, v86
	s_cbranch_vccnz .LBB28_140
; %bb.139:                              ;   in Loop: Header=BB28_125 Depth=1
	v_mul_lo_u32 v84, v86, s29
	s_delay_alu instid0(VALU_DEP_1) | instskip(NEXT) | instid1(VALU_DEP_1)
	v_add3_u32 v84, v84, s40, v81
	v_ashrrev_i32_e32 v85, 31, v84
	s_delay_alu instid0(VALU_DEP_1) | instskip(NEXT) | instid1(VALU_DEP_1)
	v_lshlrev_b64 v[84:85], 2, v[84:85]
	v_add_co_u32 v84, vcc_lo, s18, v84
	s_delay_alu instid0(VALU_DEP_2)
	v_add_co_ci_u32_e32 v85, vcc_lo, s19, v85, vcc_lo
	global_load_b64 v[84:85], v[84:85], off
.LBB28_140:                             ;   in Loop: Header=BB28_125 Depth=1
	;; [unrolled: 56-line block ×4, first 2 shown]
	s_waitcnt vmcnt(0)
	v_cvt_f16_f32_e32 v84, v84
	v_cvt_f16_f32_e32 v85, v85
	v_mov_b32_e32 v87, 0
	s_and_not1_b32 vcc_lo, exec_lo, s48
	v_mov_b32_e32 v86, 0
	s_delay_alu instid0(VALU_DEP_3)
	v_pack_b32_f16 v84, v84, v85
	v_mov_b32_e32 v85, 0
	ds_store_b32 v103, v84 offset:1216
	s_cbranch_vccnz .LBB28_155
; %bb.153:                              ;   in Loop: Header=BB28_125 Depth=1
	ds_load_b32 v84, v106 offset:36
	v_dual_mov_b32 v86, 0 :: v_dual_mov_b32 v87, 0
	s_waitcnt lgkmcnt(0)
	v_cmp_gt_i32_e32 vcc_lo, 0, v84
	s_cbranch_vccnz .LBB28_155
; %bb.154:                              ;   in Loop: Header=BB28_125 Depth=1
	v_mul_lo_u32 v84, v84, s29
	s_delay_alu instid0(VALU_DEP_1) | instskip(NEXT) | instid1(VALU_DEP_1)
	v_add3_u32 v86, v84, s17, v81
	v_ashrrev_i32_e32 v87, 31, v86
	s_delay_alu instid0(VALU_DEP_1) | instskip(NEXT) | instid1(VALU_DEP_1)
	v_lshlrev_b64 v[86:87], 2, v[86:87]
	v_add_co_u32 v86, vcc_lo, s18, v86
	s_delay_alu instid0(VALU_DEP_2)
	v_add_co_ci_u32_e32 v87, vcc_lo, s19, v87, vcc_lo
	global_load_b64 v[86:87], v[86:87], off
.LBB28_155:                             ;   in Loop: Header=BB28_125 Depth=1
	s_waitcnt vmcnt(0)
	v_cvt_f16_f32_e32 v84, v86
	v_cvt_f16_f32_e32 v86, v87
	s_and_not1_b32 vcc_lo, exec_lo, s21
	s_delay_alu instid0(VALU_DEP_1)
	v_pack_b32_f16 v86, v84, v86
	v_mov_b32_e32 v84, 0
	ds_store_b32 v103, v86 offset:1360
	s_cbranch_vccnz .LBB28_124
; %bb.156:                              ;   in Loop: Header=BB28_125 Depth=1
	ds_load_b32 v86, v106 offset:40
	v_dual_mov_b32 v84, 0 :: v_dual_mov_b32 v85, 0
	s_waitcnt lgkmcnt(0)
	v_cmp_gt_i32_e32 vcc_lo, 0, v86
	s_cbranch_vccnz .LBB28_124
; %bb.157:                              ;   in Loop: Header=BB28_125 Depth=1
	v_mul_lo_u32 v84, v86, s29
	s_delay_alu instid0(VALU_DEP_1) | instskip(NEXT) | instid1(VALU_DEP_1)
	v_add3_u32 v84, v84, s16, v81
	v_ashrrev_i32_e32 v85, 31, v84
	s_delay_alu instid0(VALU_DEP_1) | instskip(NEXT) | instid1(VALU_DEP_1)
	v_lshlrev_b64 v[84:85], 2, v[84:85]
	v_add_co_u32 v84, vcc_lo, s18, v84
	s_delay_alu instid0(VALU_DEP_2)
	v_add_co_ci_u32_e32 v85, vcc_lo, s19, v85, vcc_lo
	global_load_b64 v[84:85], v[84:85], off
	s_branch .LBB28_124
.LBB28_158:
	s_or_b32 exec_lo, exec_lo, s23
.LBB28_159:
	s_delay_alu instid0(SALU_CYCLE_1) | instskip(SKIP_4) | instid1(VALU_DEP_3)
	s_or_b32 exec_lo, exec_lo, s14
	v_lshrrev_b32_e32 v16, 2, v80
	v_add_nc_u32_e32 v17, 0x100, v102
	v_lshlrev_b32_e32 v18, 2, v100
	s_mov_b32 s0, exec_lo
	v_and_b32_e32 v19, 0xfc, v16
	v_lshl_add_u32 v16, v80, 2, 0x100
	s_delay_alu instid0(VALU_DEP_2) | instskip(NEXT) | instid1(VALU_DEP_2)
	v_add3_u32 v17, v17, v19, v18
	v_mad_u32_u24 v18, 0x90, v88, v16
	ds_store_2addr_b32 v17, v8, v9 offset0:16 offset1:18
	ds_store_2addr_b32 v17, v10, v11 offset0:20 offset1:22
	;; [unrolled: 1-line block ×8, first 2 shown]
	v_mov_b32_e32 v3, -1
	ds_load_b32 v1, v18 offset:64
	v_cmpx_gt_u32_e32 11, v88
	s_cbranch_execz .LBB28_161
; %bb.160:
	ds_load_b32 v3, v89
.LBB28_161:
	s_or_b32 exec_lo, exec_lo, s0
	s_mul_hi_i32 s1, s38, s15
	s_mul_i32 s0, s38, s15
	s_mul_hi_i32 s15, s33, s25
	s_lshl_b64 s[0:1], s[0:1], 2
	s_mul_i32 s14, s33, s25
	s_waitcnt lgkmcnt(0)
	v_cmp_lt_i32_e32 vcc_lo, -1, v3
	s_add_u32 s16, s26, s0
	v_mul_u32_u24_e32 v2, 0x90, v88
	s_addc_u32 s17, s27, s1
	s_lshl_b64 s[0:1], s[14:15], 2
	v_add_nc_u32_e32 v0, s13, v80
	s_add_u32 s0, s16, s0
	s_addc_u32 s1, s17, s1
	s_and_b32 s13, vcc_lo, s2
	s_delay_alu instid0(SALU_CYCLE_1)
	s_and_saveexec_b32 s2, s13
	s_cbranch_execz .LBB28_163
; %bb.162:
	v_mul_lo_u32 v3, v3, s30
	v_mul_lo_u32 v5, v88, s25
	v_dual_mov_b32 v4, 0 :: v_dual_add_f32 v1, 0, v1
	s_delay_alu instid0(VALU_DEP_2) | instskip(NEXT) | instid1(VALU_DEP_1)
	v_add3_u32 v3, v0, v5, v3
	v_lshlrev_b64 v[3:4], 2, v[3:4]
	s_delay_alu instid0(VALU_DEP_1) | instskip(NEXT) | instid1(VALU_DEP_2)
	v_add_co_u32 v3, vcc_lo, s0, v3
	v_add_co_ci_u32_e32 v4, vcc_lo, s1, v4, vcc_lo
	global_store_b32 v[3:4], v1, off
.LBB28_163:
	s_or_b32 exec_lo, exec_lo, s2
	v_add_nc_u32_e32 v1, v2, v16
	v_mov_b32_e32 v3, -1
	s_mov_b32 s2, exec_lo
	ds_load_b32 v2, v1 offset:208
	v_cmpx_gt_u32_e32 10, v88
	s_cbranch_execz .LBB28_165
; %bb.164:
	ds_load_b32 v3, v89 offset:4
.LBB28_165:
	s_or_b32 exec_lo, exec_lo, s2
	s_waitcnt lgkmcnt(0)
	v_cmp_lt_i32_e32 vcc_lo, -1, v3
	s_and_b32 s3, vcc_lo, s3
	s_delay_alu instid0(SALU_CYCLE_1)
	s_and_saveexec_b32 s2, s3
	s_cbranch_execz .LBB28_167
; %bb.166:
	v_mul_lo_u32 v3, v3, s30
	v_mul_lo_u32 v5, v90, s25
	v_mov_b32_e32 v4, 0
	s_delay_alu instid0(VALU_DEP_2) | instskip(SKIP_1) | instid1(VALU_DEP_2)
	v_add3_u32 v3, v0, v5, v3
	v_add_f32_e32 v5, 0, v2
	v_lshlrev_b64 v[3:4], 2, v[3:4]
	s_delay_alu instid0(VALU_DEP_1) | instskip(NEXT) | instid1(VALU_DEP_2)
	v_add_co_u32 v2, vcc_lo, s0, v3
	v_add_co_ci_u32_e32 v3, vcc_lo, s1, v4, vcc_lo
	global_store_b32 v[2:3], v5, off
.LBB28_167:
	s_or_b32 exec_lo, exec_lo, s2
	ds_load_b32 v2, v1 offset:352
	v_mov_b32_e32 v3, -1
	s_mov_b32 s2, exec_lo
	v_cmpx_gt_u32_e32 9, v88
	s_cbranch_execz .LBB28_169
; %bb.168:
	ds_load_b32 v3, v89 offset:8
.LBB28_169:
	s_or_b32 exec_lo, exec_lo, s2
	s_waitcnt lgkmcnt(0)
	v_cmp_lt_i32_e32 vcc_lo, -1, v3
	s_and_b32 s3, vcc_lo, s4
	s_delay_alu instid0(SALU_CYCLE_1)
	s_and_saveexec_b32 s2, s3
	s_cbranch_execz .LBB28_171
; %bb.170:
	v_mul_lo_u32 v3, v3, s30
	v_mul_lo_u32 v5, v91, s25
	v_mov_b32_e32 v4, 0
	s_delay_alu instid0(VALU_DEP_2) | instskip(SKIP_1) | instid1(VALU_DEP_2)
	v_add3_u32 v3, v0, v5, v3
	v_add_f32_e32 v5, 0, v2
	v_lshlrev_b64 v[3:4], 2, v[3:4]
	s_delay_alu instid0(VALU_DEP_1) | instskip(NEXT) | instid1(VALU_DEP_2)
	v_add_co_u32 v2, vcc_lo, s0, v3
	v_add_co_ci_u32_e32 v3, vcc_lo, s1, v4, vcc_lo
	global_store_b32 v[2:3], v5, off
.LBB28_171:
	s_or_b32 exec_lo, exec_lo, s2
	ds_load_b32 v2, v1 offset:496
	v_mov_b32_e32 v3, -1
	s_mov_b32 s2, exec_lo
	v_cmpx_gt_u32_e32 8, v88
	s_cbranch_execz .LBB28_173
; %bb.172:
	ds_load_b32 v3, v89 offset:12
.LBB28_173:
	s_or_b32 exec_lo, exec_lo, s2
	s_waitcnt lgkmcnt(0)
	v_cmp_lt_i32_e32 vcc_lo, -1, v3
	s_and_b32 s3, vcc_lo, s5
	s_delay_alu instid0(SALU_CYCLE_1)
	s_and_saveexec_b32 s2, s3
	s_cbranch_execz .LBB28_175
; %bb.174:
	v_mul_lo_u32 v3, v3, s30
	v_mul_lo_u32 v5, v92, s25
	v_mov_b32_e32 v4, 0
	s_delay_alu instid0(VALU_DEP_2) | instskip(SKIP_1) | instid1(VALU_DEP_2)
	v_add3_u32 v3, v0, v5, v3
	v_add_f32_e32 v5, 0, v2
	v_lshlrev_b64 v[3:4], 2, v[3:4]
	s_delay_alu instid0(VALU_DEP_1) | instskip(NEXT) | instid1(VALU_DEP_2)
	v_add_co_u32 v2, vcc_lo, s0, v3
	v_add_co_ci_u32_e32 v3, vcc_lo, s1, v4, vcc_lo
	global_store_b32 v[2:3], v5, off
.LBB28_175:
	s_or_b32 exec_lo, exec_lo, s2
	ds_load_b32 v2, v1 offset:640
	v_mov_b32_e32 v3, -1
	s_mov_b32 s2, exec_lo
	v_cmpx_gt_u32_e32 7, v88
	s_cbranch_execz .LBB28_177
; %bb.176:
	ds_load_b32 v3, v89 offset:16
.LBB28_177:
	s_or_b32 exec_lo, exec_lo, s2
	s_waitcnt lgkmcnt(0)
	v_cmp_lt_i32_e32 vcc_lo, -1, v3
	s_and_b32 s3, vcc_lo, s6
	s_delay_alu instid0(SALU_CYCLE_1)
	s_and_saveexec_b32 s2, s3
	s_cbranch_execz .LBB28_179
; %bb.178:
	v_mul_lo_u32 v3, v3, s30
	v_mul_lo_u32 v5, v93, s25
	v_mov_b32_e32 v4, 0
	s_delay_alu instid0(VALU_DEP_2) | instskip(SKIP_1) | instid1(VALU_DEP_2)
	v_add3_u32 v3, v0, v5, v3
	v_add_f32_e32 v5, 0, v2
	v_lshlrev_b64 v[3:4], 2, v[3:4]
	s_delay_alu instid0(VALU_DEP_1) | instskip(NEXT) | instid1(VALU_DEP_2)
	v_add_co_u32 v2, vcc_lo, s0, v3
	v_add_co_ci_u32_e32 v3, vcc_lo, s1, v4, vcc_lo
	global_store_b32 v[2:3], v5, off
.LBB28_179:
	s_or_b32 exec_lo, exec_lo, s2
	ds_load_b32 v2, v1 offset:784
	v_mov_b32_e32 v3, -1
	s_mov_b32 s2, exec_lo
	v_cmpx_gt_u32_e32 6, v88
	s_cbranch_execz .LBB28_181
; %bb.180:
	ds_load_b32 v3, v89 offset:20
.LBB28_181:
	s_or_b32 exec_lo, exec_lo, s2
	s_waitcnt lgkmcnt(0)
	v_cmp_lt_i32_e32 vcc_lo, -1, v3
	s_and_b32 s3, vcc_lo, s7
	s_delay_alu instid0(SALU_CYCLE_1)
	s_and_saveexec_b32 s2, s3
	s_cbranch_execz .LBB28_183
; %bb.182:
	v_mul_lo_u32 v3, v3, s30
	v_mul_lo_u32 v5, v94, s25
	v_mov_b32_e32 v4, 0
	s_delay_alu instid0(VALU_DEP_2) | instskip(SKIP_1) | instid1(VALU_DEP_2)
	v_add3_u32 v3, v0, v5, v3
	v_add_f32_e32 v5, 0, v2
	v_lshlrev_b64 v[3:4], 2, v[3:4]
	s_delay_alu instid0(VALU_DEP_1) | instskip(NEXT) | instid1(VALU_DEP_2)
	v_add_co_u32 v2, vcc_lo, s0, v3
	v_add_co_ci_u32_e32 v3, vcc_lo, s1, v4, vcc_lo
	global_store_b32 v[2:3], v5, off
.LBB28_183:
	s_or_b32 exec_lo, exec_lo, s2
	ds_load_b32 v2, v1 offset:928
	v_mov_b32_e32 v3, -1
	s_mov_b32 s2, exec_lo
	v_cmpx_gt_u32_e32 5, v88
	s_cbranch_execz .LBB28_185
; %bb.184:
	ds_load_b32 v3, v89 offset:24
.LBB28_185:
	s_or_b32 exec_lo, exec_lo, s2
	s_waitcnt lgkmcnt(0)
	v_cmp_lt_i32_e32 vcc_lo, -1, v3
	s_and_b32 s3, vcc_lo, s8
	s_delay_alu instid0(SALU_CYCLE_1)
	s_and_saveexec_b32 s2, s3
	s_cbranch_execz .LBB28_187
; %bb.186:
	v_mul_lo_u32 v3, v3, s30
	v_mul_lo_u32 v5, v95, s25
	v_mov_b32_e32 v4, 0
	s_delay_alu instid0(VALU_DEP_2) | instskip(SKIP_1) | instid1(VALU_DEP_2)
	v_add3_u32 v3, v0, v5, v3
	v_add_f32_e32 v5, 0, v2
	v_lshlrev_b64 v[3:4], 2, v[3:4]
	s_delay_alu instid0(VALU_DEP_1) | instskip(NEXT) | instid1(VALU_DEP_2)
	v_add_co_u32 v2, vcc_lo, s0, v3
	v_add_co_ci_u32_e32 v3, vcc_lo, s1, v4, vcc_lo
	global_store_b32 v[2:3], v5, off
.LBB28_187:
	s_or_b32 exec_lo, exec_lo, s2
	ds_load_b32 v2, v1 offset:1072
	v_mov_b32_e32 v3, -1
	s_mov_b32 s2, exec_lo
	v_cmpx_gt_u32_e32 4, v88
	s_cbranch_execz .LBB28_189
; %bb.188:
	ds_load_b32 v3, v89 offset:28
.LBB28_189:
	s_or_b32 exec_lo, exec_lo, s2
	s_waitcnt lgkmcnt(0)
	v_cmp_lt_i32_e32 vcc_lo, -1, v3
	s_and_b32 s3, vcc_lo, s9
	s_delay_alu instid0(SALU_CYCLE_1)
	s_and_saveexec_b32 s2, s3
	s_cbranch_execz .LBB28_191
; %bb.190:
	v_mul_lo_u32 v3, v3, s30
	v_mul_lo_u32 v5, v96, s25
	v_mov_b32_e32 v4, 0
	s_delay_alu instid0(VALU_DEP_2) | instskip(SKIP_1) | instid1(VALU_DEP_2)
	v_add3_u32 v3, v0, v5, v3
	v_add_f32_e32 v5, 0, v2
	v_lshlrev_b64 v[3:4], 2, v[3:4]
	s_delay_alu instid0(VALU_DEP_1) | instskip(NEXT) | instid1(VALU_DEP_2)
	v_add_co_u32 v2, vcc_lo, s0, v3
	v_add_co_ci_u32_e32 v3, vcc_lo, s1, v4, vcc_lo
	global_store_b32 v[2:3], v5, off
.LBB28_191:
	s_or_b32 exec_lo, exec_lo, s2
	ds_load_b32 v2, v1 offset:1216
	v_mov_b32_e32 v3, -1
	s_mov_b32 s2, exec_lo
	v_cmpx_gt_u32_e32 3, v88
	s_cbranch_execz .LBB28_193
; %bb.192:
	ds_load_b32 v3, v89 offset:32
.LBB28_193:
	s_or_b32 exec_lo, exec_lo, s2
	s_waitcnt lgkmcnt(0)
	v_cmp_lt_i32_e32 vcc_lo, -1, v3
	s_and_b32 s3, vcc_lo, s10
	s_delay_alu instid0(SALU_CYCLE_1)
	s_and_saveexec_b32 s2, s3
	s_cbranch_execz .LBB28_195
; %bb.194:
	v_mul_lo_u32 v3, v3, s30
	v_mul_lo_u32 v5, v97, s25
	v_mov_b32_e32 v4, 0
	s_delay_alu instid0(VALU_DEP_2) | instskip(SKIP_1) | instid1(VALU_DEP_2)
	v_add3_u32 v3, v0, v5, v3
	v_add_f32_e32 v5, 0, v2
	v_lshlrev_b64 v[3:4], 2, v[3:4]
	s_delay_alu instid0(VALU_DEP_1) | instskip(NEXT) | instid1(VALU_DEP_2)
	v_add_co_u32 v2, vcc_lo, s0, v3
	v_add_co_ci_u32_e32 v3, vcc_lo, s1, v4, vcc_lo
	global_store_b32 v[2:3], v5, off
.LBB28_195:
	s_or_b32 exec_lo, exec_lo, s2
	ds_load_b32 v2, v1 offset:1360
	v_mov_b32_e32 v3, -1
	s_mov_b32 s2, exec_lo
	v_cmpx_gt_u32_e32 2, v88
	s_cbranch_execz .LBB28_197
; %bb.196:
	ds_load_b32 v3, v89 offset:36
.LBB28_197:
	s_or_b32 exec_lo, exec_lo, s2
	s_waitcnt lgkmcnt(0)
	v_cmp_lt_i32_e32 vcc_lo, -1, v3
	s_and_b32 s3, vcc_lo, s11
	s_delay_alu instid0(SALU_CYCLE_1)
	s_and_saveexec_b32 s2, s3
	s_cbranch_execz .LBB28_199
; %bb.198:
	v_mul_lo_u32 v3, v3, s30
	v_mul_lo_u32 v5, v98, s25
	v_mov_b32_e32 v4, 0
	s_delay_alu instid0(VALU_DEP_2) | instskip(SKIP_1) | instid1(VALU_DEP_2)
	v_add3_u32 v3, v0, v5, v3
	v_add_f32_e32 v5, 0, v2
	v_lshlrev_b64 v[3:4], 2, v[3:4]
	s_delay_alu instid0(VALU_DEP_1) | instskip(NEXT) | instid1(VALU_DEP_2)
	v_add_co_u32 v2, vcc_lo, s0, v3
	v_add_co_ci_u32_e32 v3, vcc_lo, s1, v4, vcc_lo
	global_store_b32 v[2:3], v5, off
.LBB28_199:
	s_or_b32 exec_lo, exec_lo, s2
	ds_load_b32 v1, v1 offset:1504
	v_mov_b32_e32 v2, -1
	s_mov_b32 s2, exec_lo
	v_cmpx_eq_u32_e32 0, v88
	s_cbranch_execz .LBB28_201
; %bb.200:
	v_mov_b32_e32 v2, 0x100
	ds_load_b32 v2, v2 offset:40
.LBB28_201:
	s_or_b32 exec_lo, exec_lo, s2
	s_waitcnt lgkmcnt(0)
	v_cmp_lt_i32_e32 vcc_lo, -1, v2
	s_and_b32 s2, vcc_lo, s12
	s_delay_alu instid0(SALU_CYCLE_1)
	s_and_b32 exec_lo, exec_lo, s2
	s_cbranch_execz .LBB28_203
; %bb.202:
	v_mul_lo_u32 v2, v2, s30
	v_mul_lo_u32 v4, v99, s25
	v_mov_b32_e32 v3, 0
	s_delay_alu instid0(VALU_DEP_2) | instskip(SKIP_1) | instid1(VALU_DEP_2)
	v_add3_u32 v2, v0, v4, v2
	v_add_f32_e32 v4, 0, v1
	v_lshlrev_b64 v[2:3], 2, v[2:3]
	s_delay_alu instid0(VALU_DEP_1) | instskip(NEXT) | instid1(VALU_DEP_2)
	v_add_co_u32 v0, vcc_lo, s0, v2
	v_add_co_ci_u32_e32 v1, vcc_lo, s1, v3, vcc_lo
	global_store_b32 v[0:1], v4, off
.LBB28_203:
	s_nop 0
	s_sendmsg sendmsg(MSG_DEALLOC_VGPRS)
	s_endpgm
	.section	.rodata,"a",@progbits
	.p2align	6, 0x0
	.amdhsa_kernel _ZL9mul_mat_fI7__half2Li32ELi11ELi1ELb1EEvPKT_PKfPKiPfiiiiiiiiiiiiiiii
		.amdhsa_group_segment_fixed_size 256
		.amdhsa_private_segment_fixed_size 0
		.amdhsa_kernarg_size 352
		.amdhsa_user_sgpr_count 13
		.amdhsa_user_sgpr_dispatch_ptr 0
		.amdhsa_user_sgpr_queue_ptr 0
		.amdhsa_user_sgpr_kernarg_segment_ptr 1
		.amdhsa_user_sgpr_dispatch_id 0
		.amdhsa_user_sgpr_private_segment_size 0
		.amdhsa_wavefront_size32 1
		.amdhsa_uses_dynamic_stack 0
		.amdhsa_enable_private_segment 0
		.amdhsa_system_sgpr_workgroup_id_x 1
		.amdhsa_system_sgpr_workgroup_id_y 1
		.amdhsa_system_sgpr_workgroup_id_z 1
		.amdhsa_system_sgpr_workgroup_info 0
		.amdhsa_system_vgpr_workitem_id 2
		.amdhsa_next_free_vgpr 123
		.amdhsa_next_free_sgpr 81
		.amdhsa_reserve_vcc 1
		.amdhsa_float_round_mode_32 0
		.amdhsa_float_round_mode_16_64 0
		.amdhsa_float_denorm_mode_32 3
		.amdhsa_float_denorm_mode_16_64 3
		.amdhsa_dx10_clamp 1
		.amdhsa_ieee_mode 1
		.amdhsa_fp16_overflow 0
		.amdhsa_workgroup_processor_mode 1
		.amdhsa_memory_ordered 1
		.amdhsa_forward_progress 0
		.amdhsa_shared_vgpr_count 0
		.amdhsa_exception_fp_ieee_invalid_op 0
		.amdhsa_exception_fp_denorm_src 0
		.amdhsa_exception_fp_ieee_div_zero 0
		.amdhsa_exception_fp_ieee_overflow 0
		.amdhsa_exception_fp_ieee_underflow 0
		.amdhsa_exception_fp_ieee_inexact 0
		.amdhsa_exception_int_div_zero 0
	.end_amdhsa_kernel
	.section	.text._ZL9mul_mat_fI7__half2Li32ELi11ELi1ELb1EEvPKT_PKfPKiPfiiiiiiiiiiiiiiii,"axG",@progbits,_ZL9mul_mat_fI7__half2Li32ELi11ELi1ELb1EEvPKT_PKfPKiPfiiiiiiiiiiiiiiii,comdat
.Lfunc_end28:
	.size	_ZL9mul_mat_fI7__half2Li32ELi11ELi1ELb1EEvPKT_PKfPKiPfiiiiiiiiiiiiiiii, .Lfunc_end28-_ZL9mul_mat_fI7__half2Li32ELi11ELi1ELb1EEvPKT_PKfPKiPfiiiiiiiiiiiiiiii
                                        ; -- End function
	.section	.AMDGPU.csdata,"",@progbits
; Kernel info:
; codeLenInByte = 10020
; NumSgprs: 83
; NumVgprs: 123
; ScratchSize: 0
; MemoryBound: 0
; FloatMode: 240
; IeeeMode: 1
; LDSByteSize: 256 bytes/workgroup (compile time only)
; SGPRBlocks: 10
; VGPRBlocks: 15
; NumSGPRsForWavesPerEU: 83
; NumVGPRsForWavesPerEU: 123
; Occupancy: 10
; WaveLimiterHint : 0
; COMPUTE_PGM_RSRC2:SCRATCH_EN: 0
; COMPUTE_PGM_RSRC2:USER_SGPR: 13
; COMPUTE_PGM_RSRC2:TRAP_HANDLER: 0
; COMPUTE_PGM_RSRC2:TGID_X_EN: 1
; COMPUTE_PGM_RSRC2:TGID_Y_EN: 1
; COMPUTE_PGM_RSRC2:TGID_Z_EN: 1
; COMPUTE_PGM_RSRC2:TIDIG_COMP_CNT: 2
	.section	.text._ZL9mul_mat_fI7__half2Li32ELi11ELi1ELb0EEvPKT_PKfPKiPfiiiiiiiiiiiiiiii,"axG",@progbits,_ZL9mul_mat_fI7__half2Li32ELi11ELi1ELb0EEvPKT_PKfPKiPfiiiiiiiiiiiiiiii,comdat
	.globl	_ZL9mul_mat_fI7__half2Li32ELi11ELi1ELb0EEvPKT_PKfPKiPfiiiiiiiiiiiiiiii ; -- Begin function _ZL9mul_mat_fI7__half2Li32ELi11ELi1ELb0EEvPKT_PKfPKiPfiiiiiiiiiiiiiiii
	.p2align	8
	.type	_ZL9mul_mat_fI7__half2Li32ELi11ELi1ELb0EEvPKT_PKfPKiPfiiiiiiiiiiiiiiii,@function
_ZL9mul_mat_fI7__half2Li32ELi11ELi1ELb0EEvPKT_PKfPKiPfiiiiiiiiiiiiiiii: ; @_ZL9mul_mat_fI7__half2Li32ELi11ELi1ELb0EEvPKT_PKfPKiPfiiiiiiiiiiiiiiii
; %bb.0:
	s_clause 0x2
	s_load_b256 s[4:11], s[0:1], 0x40
	s_load_b32 s22, s[0:1], 0x20
	s_load_b128 s[16:19], s[0:1], 0x2c
	v_bfe_u32 v73, v0, 10, 10
	v_and_b32_e32 v72, 0x3ff, v0
	s_mov_b32 s12, 0
	s_ashr_i32 s24, s15, 31
	s_waitcnt lgkmcnt(0)
	s_mov_b32 s19, exec_lo
                                        ; implicit-def: $vgpr77
	v_and_b32_e32 v16, 15, v72
	s_abs_i32 s2, s4
	s_abs_i32 s23, s8
	v_cvt_f32_u32_e32 v1, s2
	v_cvt_f32_u32_e32 v2, s23
	s_delay_alu instid0(VALU_DEP_2) | instskip(NEXT) | instid1(VALU_DEP_1)
	v_rcp_iflag_f32_e32 v1, v1
	v_rcp_iflag_f32_e32 v2, v2
	v_lshlrev_b32_e32 v74, 5, v73
	s_waitcnt_depctr 0xfff
	v_dual_mul_f32 v0, 0x4f7ffffe, v1 :: v_dual_mul_f32 v1, 0x4f7ffffe, v2
	v_or_b32_e32 v76, v74, v72
	s_delay_alu instid0(VALU_DEP_2) | instskip(NEXT) | instid1(VALU_DEP_3)
	v_cvt_u32_f32_e32 v0, v0
	v_cvt_u32_f32_e32 v1, v1
	s_delay_alu instid0(VALU_DEP_2) | instskip(NEXT) | instid1(VALU_DEP_2)
	v_readfirstlane_b32 s25, v0
	v_readfirstlane_b32 s3, v1
	v_cmpx_le_i32_e64 s22, v76
	s_xor_b32 s19, exec_lo, s19
; %bb.1:
	v_mul_u32_u24_e32 v77, 0x90, v16
                                        ; implicit-def: $vgpr76
                                        ; implicit-def: $vgpr16
; %bb.2:
	s_or_saveexec_b32 s19, s19
	s_load_b64 s[20:21], s[0:1], 0x18
	v_dual_mov_b32 v15, s12 :: v_dual_mov_b32 v14, s12
	v_dual_mov_b32 v12, s12 :: v_dual_lshlrev_b32 v75, 2, v72
	v_dual_mov_b32 v13, s12 :: v_dual_mov_b32 v10, s12
	v_dual_mov_b32 v11, s12 :: v_dual_mov_b32 v8, s12
	;; [unrolled: 1-line block ×6, first 2 shown]
	v_mov_b32_e32 v1, s12
	s_lshl_b32 s12, s13, 5
	s_xor_b32 exec_lo, exec_lo, s19
	s_cbranch_execz .LBB29_6
; %bb.3:
	s_sub_i32 s13, 0, s2
	s_sub_i32 s26, 0, s23
	s_mul_i32 s13, s13, s25
	s_mul_i32 s26, s26, s3
	s_mul_hi_u32 s13, s25, s13
	s_mul_hi_u32 s26, s3, s26
	s_abs_i32 s27, s14
	s_add_i32 s25, s25, s13
	s_add_i32 s26, s3, s26
	s_mul_hi_u32 s3, s27, s25
	s_ashr_i32 s25, s14, 31
	s_ashr_i32 s4, s4, 31
	s_mul_i32 s28, s3, s2
	s_xor_b32 s4, s25, s4
	s_sub_i32 s25, s27, s28
	s_abs_i32 s13, s15
	s_ashr_i32 s8, s8, 31
	s_add_i32 s27, s3, 1
	s_sub_i32 s28, s25, s2
	s_cmp_ge_u32 s25, s2
	s_mul_hi_u32 s26, s13, s26
	s_cselect_b32 s3, s27, s3
	s_cselect_b32 s25, s28, s25
	s_add_i32 s27, s3, 1
	s_cmp_ge_u32 s25, s2
	s_mul_i32 s28, s14, s6
	s_cselect_b32 s25, s27, s3
	s_load_b128 s[0:3], s[0:1], 0x0
	s_xor_b32 s25, s25, s4
	s_xor_b32 s8, s24, s8
	s_sub_i32 s4, s25, s4
	s_mul_i32 s25, s26, s23
	s_add_i32 s24, s26, 1
	s_sub_i32 s13, s13, s25
	s_mul_i32 s4, s4, s5
	s_sub_i32 s25, s13, s23
	s_cmp_ge_u32 s13, s23
	s_mul_hi_i32 s27, s10, s15
	s_cselect_b32 s24, s24, s26
	s_cselect_b32 s13, s25, s13
	s_add_i32 s25, s24, 1
	s_cmp_ge_u32 s13, s23
	s_mul_i32 s26, s10, s15
	s_cselect_b32 s13, s25, s24
	s_ashr_i32 s5, s4, 31
	s_xor_b32 s13, s13, s8
	v_lshlrev_b32_e32 v0, 7, v73
	s_sub_i32 s8, s13, s8
	v_lshlrev_b32_e32 v3, 8, v73
	s_mul_hi_i32 s25, s8, s9
	s_mul_i32 s24, s8, s9
	s_mul_i32 s8, s12, s16
	s_lshl_b64 s[24:25], s[24:25], 2
	v_dual_mov_b32 v80, 0 :: v_dual_lshlrev_b32 v5, 3, v72
	s_waitcnt lgkmcnt(0)
	s_add_u32 s13, s0, s24
	s_addc_u32 s23, s1, s25
	s_ashr_i32 s9, s8, 31
	s_lshl_b64 s[4:5], s[4:5], 2
	s_lshl_b64 s[8:9], s[8:9], 2
	v_mul_u32_u24_e32 v77, 0x90, v16
	s_add_u32 s30, s4, s8
	s_addc_u32 s31, s5, s9
	s_add_u32 s6, s30, s13
	s_addc_u32 s8, s31, s23
	s_ashr_i32 s29, s28, 31
	s_lshl_b64 s[4:5], s[26:27], 2
	s_lshl_b64 s[26:27], s[28:29], 2
	v_mad_u32_u24 v1, 0x900, v73, 0
	s_add_u32 s13, s2, s26
	s_addc_u32 s23, s3, s27
	s_add_u32 s9, s13, s4
	s_addc_u32 s10, s23, s5
	s_ashr_i32 s3, s16, 31
	s_mov_b32 s2, s16
	s_ashr_i32 s27, s17, 31
	s_lshl_b64 s[2:3], s[2:3], 2
	s_add_u32 s24, s30, s24
	s_addc_u32 s25, s31, s25
	v_add_co_u32 v0, s24, s24, v0
	s_delay_alu instid0(VALU_DEP_1) | instskip(SKIP_1) | instid1(VALU_DEP_3)
	v_add_co_ci_u32_e64 v2, null, s25, 0, s24
	v_add_co_u32 v3, s4, s4, v3
	v_add_co_u32 v0, vcc_lo, v0, v75
	s_delay_alu instid0(VALU_DEP_3) | instskip(SKIP_1) | instid1(VALU_DEP_3)
	v_add_co_ci_u32_e32 v2, vcc_lo, 0, v2, vcc_lo
	v_add_co_ci_u32_e64 v4, null, s5, 0, s4
	v_add_co_u32 v16, vcc_lo, s0, v0
	s_delay_alu instid0(VALU_DEP_3) | instskip(SKIP_1) | instid1(VALU_DEP_4)
	v_add_co_ci_u32_e32 v17, vcc_lo, s1, v2, vcc_lo
	v_add_co_u32 v0, vcc_lo, v3, v5
	v_add_co_ci_u32_e32 v2, vcc_lo, 0, v4, vcc_lo
	s_mov_b32 s26, s17
	s_delay_alu instid0(VALU_DEP_2) | instskip(SKIP_3) | instid1(VALU_DEP_3)
	v_add_co_u32 v18, vcc_lo, s13, v0
	v_mov_b32_e32 v0, 0
	v_add_nc_u32_e32 v78, v1, v75
	v_add_co_ci_u32_e32 v19, vcc_lo, s23, v2, vcc_lo
	v_dual_mov_b32 v2, v0 :: v_dual_add_nc_u32 v79, v1, v77
	v_mov_b32_e32 v1, v0
	v_mov_b32_e32 v3, v0
	;; [unrolled: 1-line block ×14, first 2 shown]
	s_lshl_b64 s[4:5], s[26:27], 3
	s_mul_i32 s1, s16, 31
	s_lshl_b32 s13, s17, 1
	s_mul_i32 s23, s17, 3
	s_lshl_b32 s24, s17, 2
	s_mul_i32 s25, s17, 5
	s_mul_i32 s26, s17, 6
	;; [unrolled: 1-line block ×3, first 2 shown]
	s_lshl_b32 s28, s17, 3
	s_mul_i32 s29, s17, 9
	s_mul_i32 s17, s17, 10
	s_lshl_b32 s30, s16, 1
	s_mul_i32 s31, s16, 3
	s_lshl_b32 s33, s16, 2
	s_mul_i32 s34, s16, 5
	s_mul_i32 s35, s16, 6
	;; [unrolled: 1-line block ×3, first 2 shown]
	s_lshl_b32 s37, s16, 3
	s_mul_i32 s38, s16, 9
	s_mul_i32 s39, s16, 10
	s_mul_i32 s40, s16, 11
	s_mul_i32 s41, s16, 12
	s_mul_i32 s42, s16, 13
	s_mul_i32 s43, s16, 14
	s_mul_i32 s44, s16, 15
	s_lshl_b32 s45, s16, 4
	s_mul_i32 s46, s16, 17
	s_mul_i32 s47, s16, 18
	;; [unrolled: 1-line block ×14, first 2 shown]
	s_mov_b32 s16, 0
.LBB29_4:                               ; =>This Inner Loop Header: Depth=1
	v_add_nc_u32_e32 v20, s30, v76
	v_add_nc_u32_e32 v22, s31, v76
	;; [unrolled: 1-line block ×4, first 2 shown]
	v_add_co_u32 v107, vcc_lo, v16, s2
	v_ashrrev_i32_e32 v21, 31, v20
	v_ashrrev_i32_e32 v23, 31, v22
	;; [unrolled: 1-line block ×3, first 2 shown]
	v_add_nc_u32_e32 v28, s35, v76
	v_add_co_ci_u32_e32 v108, vcc_lo, s3, v17, vcc_lo
	v_lshlrev_b64 v[20:21], 2, v[20:21]
	v_add_co_u32 v111, vcc_lo, v18, s4
	v_lshlrev_b64 v[22:23], 2, v[22:23]
	v_ashrrev_i32_e32 v27, 31, v26
	v_add_nc_u32_e32 v30, s36, v76
	v_add_co_ci_u32_e32 v112, vcc_lo, s5, v19, vcc_lo
	v_lshlrev_b64 v[24:25], 2, v[24:25]
	v_add_co_u32 v20, vcc_lo, s6, v20
	v_ashrrev_i32_e32 v29, 31, v28
	v_add_nc_u32_e32 v32, s37, v76
	v_add_co_ci_u32_e32 v21, vcc_lo, s8, v21, vcc_lo
	v_lshlrev_b64 v[26:27], 2, v[26:27]
	v_add_co_u32 v22, vcc_lo, s6, v22
	;; [unrolled: 5-line block ×34, first 2 shown]
	v_ashrrev_i32_e32 v104, 31, v103
	v_add_co_ci_u32_e32 v96, vcc_lo, s10, v96, vcc_lo
	v_lshlrev_b64 v[101:102], 3, v[101:102]
	v_add_co_u32 v97, vcc_lo, s9, v97
	v_ashrrev_i32_e32 v106, 31, v105
	v_add_co_ci_u32_e32 v98, vcc_lo, s10, v98, vcc_lo
	v_lshlrev_b64 v[103:104], 3, v[103:104]
	v_add_co_u32 v99, vcc_lo, s9, v99
	v_add_co_ci_u32_e32 v100, vcc_lo, s10, v100, vcc_lo
	global_load_b64 v[109:110], v[18:19], off
	global_load_b32 v113, v[16:17], off
	v_lshlrev_b64 v[105:106], 3, v[105:106]
	v_add_co_u32 v101, vcc_lo, s9, v101
	v_add_co_ci_u32_e32 v102, vcc_lo, s10, v102, vcc_lo
	global_load_b32 v114, v[107:108], off
	global_load_b64 v[107:108], v[111:112], off
	v_add_co_u32 v103, vcc_lo, s9, v103
	v_add_co_ci_u32_e32 v104, vcc_lo, s10, v104, vcc_lo
	v_add_co_u32 v105, vcc_lo, s9, v105
	v_add_co_ci_u32_e32 v106, vcc_lo, s10, v106, vcc_lo
	s_clause 0xd
	global_load_b32 v111, v[20:21], off
	global_load_b32 v112, v[22:23], off
	;; [unrolled: 1-line block ×14, first 2 shown]
	s_clause 0x8
	global_load_b64 v[20:21], v[89:90], off
	global_load_b64 v[22:23], v[91:92], off
	;; [unrolled: 1-line block ×9, first 2 shown]
	s_clause 0xf
	global_load_b32 v89, v[48:49], off
	global_load_b32 v90, v[50:51], off
	;; [unrolled: 1-line block ×16, first 2 shown]
	v_add_nc_u32_e32 v76, 32, v76
	v_add_co_u32 v16, vcc_lo, 0x80, v16
	v_add_co_ci_u32_e32 v17, vcc_lo, 0, v17, vcc_lo
	v_add_co_u32 v18, vcc_lo, 0x100, v18
	s_delay_alu instid0(VALU_DEP_4) | instskip(SKIP_1) | instid1(VALU_DEP_2)
	v_cmp_le_i32_e64 s0, s22, v76
	v_add_co_ci_u32_e32 v19, vcc_lo, 0, v19, vcc_lo
	s_or_b32 s16, s0, s16
	s_waitcnt vmcnt(24)
	v_cvt_f16_f32_e32 v70, v20
	v_cvt_f16_f32_e32 v71, v21
	s_waitcnt vmcnt(23)
	v_cvt_f16_f32_e32 v97, v22
	v_cvt_f16_f32_e32 v98, v23
	;; [unrolled: 3-line block ×4, first 2 shown]
	v_cvt_f16_f32_e32 v43, v109
	v_cvt_f16_f32_e32 v44, v110
	ds_store_b32 v78, v113
	s_waitcnt vmcnt(20)
	v_cvt_f16_f32_e32 v103, v28
	v_cvt_f16_f32_e32 v104, v29
	s_waitcnt vmcnt(19)
	v_cvt_f16_f32_e32 v105, v30
	ds_store_b32 v78, v114 offset:144
	v_cvt_f16_f32_e32 v45, v107
	v_cvt_f16_f32_e32 v46, v108
	v_pack_b32_f16 v68, v43, v44
	ds_store_b32 v78, v111 offset:288
	ds_store_b32 v78, v112 offset:432
	;; [unrolled: 1-line block ×14, first 2 shown]
	v_cvt_f16_f32_e32 v106, v31
	s_waitcnt vmcnt(18)
	v_cvt_f16_f32_e32 v107, v32
	v_pack_b32_f16 v69, v45, v46
	v_cvt_f16_f32_e32 v108, v33
	s_waitcnt vmcnt(17)
	v_cvt_f16_f32_e32 v109, v34
	v_cvt_f16_f32_e32 v110, v35
	s_waitcnt vmcnt(16)
	v_cvt_f16_f32_e32 v111, v36
	v_cvt_f16_f32_e32 v112, v37
	ds_load_b128 v[20:23], v79
	ds_load_b128 v[24:27], v79 offset:16
	ds_load_b128 v[28:31], v79 offset:32
	;; [unrolled: 1-line block ×7, first 2 shown]
	s_waitcnt vmcnt(15)
	ds_store_b32 v78, v89
	s_waitcnt vmcnt(14)
	ds_store_b32 v78, v90 offset:144
	s_waitcnt vmcnt(13)
	ds_store_b32 v78, v52 offset:288
	;; [unrolled: 2-line block ×15, first 2 shown]
	ds_load_b128 v[52:55], v79
	ds_load_b128 v[56:59], v79 offset:16
	ds_load_b128 v[60:63], v79 offset:32
	ds_load_b128 v[64:67], v79 offset:48
	ds_load_b128 v[81:84], v79 offset:64
	ds_load_b128 v[85:88], v79 offset:80
	ds_load_b128 v[89:92], v79 offset:96
	ds_load_b128 v[93:96], v79 offset:112
	ds_store_b32 v78, v68
	v_pack_b32_f16 v68, v70, v71
	v_pack_b32_f16 v70, v97, v98
	;; [unrolled: 1-line block ×9, first 2 shown]
	ds_store_b32 v78, v69 offset:144
	ds_store_b32 v78, v68 offset:288
	;; [unrolled: 1-line block ×15, first 2 shown]
	ds_load_b128 v[97:100], v79
	ds_load_b128 v[101:104], v79 offset:16
	ds_load_b128 v[105:108], v79 offset:32
	;; [unrolled: 1-line block ×5, first 2 shown]
	s_waitcnt lgkmcnt(4)
	v_wmma_f32_16x16x16_f16 v[8:15], v[20:27], v[97:104], v[8:15]
	ds_load_b128 v[20:23], v79 offset:96
	ds_load_b128 v[24:27], v79 offset:112
	v_wmma_f32_16x16x16_f16 v[0:7], v[52:59], v[97:104], v[0:7]
	s_waitcnt lgkmcnt(4)
	v_wmma_f32_16x16x16_f16 v[8:15], v[28:35], v[105:112], v[8:15]
	s_delay_alu instid0(VALU_DEP_2) | instskip(SKIP_1) | instid1(VALU_DEP_2)
	v_wmma_f32_16x16x16_f16 v[0:7], v[60:67], v[105:112], v[0:7]
	s_waitcnt lgkmcnt(2)
	v_wmma_f32_16x16x16_f16 v[8:15], v[36:43], v[113:120], v[8:15]
	s_delay_alu instid0(VALU_DEP_2) | instskip(SKIP_1) | instid1(VALU_DEP_2)
	v_wmma_f32_16x16x16_f16 v[0:7], v[81:88], v[113:120], v[0:7]
	s_waitcnt lgkmcnt(0)
	v_wmma_f32_16x16x16_f16 v[8:15], v[44:51], v[20:27], v[8:15]
	s_delay_alu instid0(VALU_DEP_2)
	v_wmma_f32_16x16x16_f16 v[0:7], v[89:96], v[20:27], v[0:7]
	s_and_not1_b32 exec_lo, exec_lo, s16
	s_cbranch_execnz .LBB29_4
; %bb.5:
	s_or_b32 exec_lo, exec_lo, s16
.LBB29_6:
	s_delay_alu instid0(SALU_CYCLE_1)
	s_or_b32 exec_lo, exec_lo, s19
	v_lshrrev_b32_e32 v16, 2, v72
	v_add_nc_u32_e32 v17, 0, v77
	v_lshlrev_b32_e32 v18, 2, v74
	v_mul_u32_u24_e32 v19, 0x90, v73
	s_mul_hi_i32 s1, s11, s15
	v_and_b32_e32 v16, 0xfc, v16
	s_mul_i32 s0, s11, s15
	s_mul_i32 s2, s14, s7
	s_lshl_b64 s[0:1], s[0:1], 2
	s_waitcnt lgkmcnt(0)
	s_add_u32 s4, s20, s0
	v_add3_u32 v16, v17, v16, v18
	v_add3_u32 v18, 0, v75, v19
	v_mul_lo_u32 v17, v73, s18
	s_addc_u32 s5, s21, s1
	ds_store_2addr_b32 v16, v8, v9 offset1:2
	ds_store_2addr_b32 v16, v10, v11 offset0:4 offset1:6
	ds_store_2addr_b32 v16, v12, v13 offset0:8 offset1:10
	;; [unrolled: 1-line block ×7, first 2 shown]
	ds_load_2addr_b32 v[0:1], v18 offset1:36
	v_mov_b32_e32 v3, 0
	ds_load_2addr_b32 v[6:7], v18 offset0:72 offset1:108
	s_ashr_i32 s3, s2, 31
	v_add3_u32 v2, s12, v72, v17
	s_lshl_b64 s[0:1], s[2:3], 2
	ds_load_2addr_b32 v[10:11], v18 offset0:144 offset1:180
	s_add_u32 s0, s4, s0
	s_addc_u32 s1, s5, s1
	v_lshlrev_b64 v[4:5], 2, v[2:3]
	v_add_nc_u32_e32 v2, s18, v2
	s_delay_alu instid0(VALU_DEP_1) | instskip(SKIP_1) | instid1(VALU_DEP_4)
	v_lshlrev_b64 v[8:9], 2, v[2:3]
	v_add_nc_u32_e32 v2, s18, v2
	v_add_co_u32 v4, vcc_lo, s0, v4
	v_add_co_ci_u32_e32 v5, vcc_lo, s1, v5, vcc_lo
	s_waitcnt lgkmcnt(2)
	v_dual_add_f32 v14, 0, v0 :: v_dual_add_f32 v15, 0, v1
	v_lshlrev_b64 v[0:1], 2, v[2:3]
	v_add_nc_u32_e32 v2, s18, v2
	v_add_co_u32 v8, vcc_lo, s0, v8
	v_add_co_ci_u32_e32 v9, vcc_lo, s1, v9, vcc_lo
	s_delay_alu instid0(VALU_DEP_4) | instskip(NEXT) | instid1(VALU_DEP_4)
	v_add_co_u32 v0, vcc_lo, s0, v0
	v_lshlrev_b64 v[12:13], 2, v[2:3]
	v_add_nc_u32_e32 v2, s18, v2
	s_waitcnt lgkmcnt(1)
	v_add_f32_e32 v6, 0, v6
	v_add_co_ci_u32_e32 v1, vcc_lo, s1, v1, vcc_lo
	s_clause 0x2
	global_store_b32 v[4:5], v14, off
	global_store_b32 v[8:9], v15, off
	;; [unrolled: 1-line block ×3, first 2 shown]
	v_lshlrev_b64 v[0:1], 2, v[2:3]
	v_add_nc_u32_e32 v2, s18, v2
	s_waitcnt lgkmcnt(0)
	v_dual_add_f32 v14, 0, v7 :: v_dual_add_f32 v15, 0, v10
	ds_load_2addr_b32 v[6:7], v18 offset0:216 offset1:252
	v_add_co_u32 v4, vcc_lo, s0, v12
	v_lshlrev_b64 v[8:9], 2, v[2:3]
	v_add_nc_u32_e32 v2, s18, v2
	v_add_co_ci_u32_e32 v5, vcc_lo, s1, v13, vcc_lo
	v_add_co_u32 v0, vcc_lo, s0, v0
	v_add_co_ci_u32_e32 v1, vcc_lo, s1, v1, vcc_lo
	v_add_f32_e32 v16, 0, v11
	v_add_nc_u32_e32 v12, 0x400, v18
	v_add_co_u32 v8, vcc_lo, s0, v8
	v_lshlrev_b64 v[10:11], 2, v[2:3]
	v_add_nc_u32_e32 v2, s18, v2
	v_add_co_ci_u32_e32 v9, vcc_lo, s1, v9, vcc_lo
	ds_load_2addr_b32 v[12:13], v12 offset0:32 offset1:68
	s_clause 0x2
	global_store_b32 v[4:5], v14, off
	global_store_b32 v[0:1], v15, off
	;; [unrolled: 1-line block ×3, first 2 shown]
	v_lshlrev_b64 v[0:1], 2, v[2:3]
	v_add_nc_u32_e32 v2, s18, v2
	v_add_co_u32 v4, vcc_lo, s0, v10
	v_add_co_ci_u32_e32 v5, vcc_lo, s1, v11, vcc_lo
	ds_load_b32 v11, v18 offset:1440
	s_waitcnt lgkmcnt(2)
	v_add_f32_e32 v14, 0, v6
	v_add_f32_e32 v10, 0, v7
	v_lshlrev_b64 v[6:7], 2, v[2:3]
	v_add_nc_u32_e32 v2, s18, v2
	v_add_co_u32 v0, vcc_lo, s0, v0
	v_add_co_ci_u32_e32 v1, vcc_lo, s1, v1, vcc_lo
	s_delay_alu instid0(VALU_DEP_3) | instskip(SKIP_3) | instid1(VALU_DEP_3)
	v_lshlrev_b64 v[8:9], 2, v[2:3]
	v_add_nc_u32_e32 v2, s18, v2
	v_add_co_u32 v6, vcc_lo, s0, v6
	v_add_co_ci_u32_e32 v7, vcc_lo, s1, v7, vcc_lo
	v_lshlrev_b64 v[2:3], 2, v[2:3]
	v_add_co_u32 v8, vcc_lo, s0, v8
	v_add_co_ci_u32_e32 v9, vcc_lo, s1, v9, vcc_lo
	s_waitcnt lgkmcnt(1)
	v_add_f32_e32 v12, 0, v12
	s_delay_alu instid0(VALU_DEP_4)
	v_add_co_u32 v2, vcc_lo, s0, v2
	v_add_f32_e32 v13, 0, v13
	s_waitcnt lgkmcnt(0)
	v_add_f32_e32 v11, 0, v11
	v_add_co_ci_u32_e32 v3, vcc_lo, s1, v3, vcc_lo
	s_clause 0x4
	global_store_b32 v[4:5], v14, off
	global_store_b32 v[0:1], v10, off
	;; [unrolled: 1-line block ×5, first 2 shown]
	s_nop 0
	s_sendmsg sendmsg(MSG_DEALLOC_VGPRS)
	s_endpgm
	.section	.rodata,"a",@progbits
	.p2align	6, 0x0
	.amdhsa_kernel _ZL9mul_mat_fI7__half2Li32ELi11ELi1ELb0EEvPKT_PKfPKiPfiiiiiiiiiiiiiiii
		.amdhsa_group_segment_fixed_size 0
		.amdhsa_private_segment_fixed_size 0
		.amdhsa_kernarg_size 96
		.amdhsa_user_sgpr_count 13
		.amdhsa_user_sgpr_dispatch_ptr 0
		.amdhsa_user_sgpr_queue_ptr 0
		.amdhsa_user_sgpr_kernarg_segment_ptr 1
		.amdhsa_user_sgpr_dispatch_id 0
		.amdhsa_user_sgpr_private_segment_size 0
		.amdhsa_wavefront_size32 1
		.amdhsa_uses_dynamic_stack 0
		.amdhsa_enable_private_segment 0
		.amdhsa_system_sgpr_workgroup_id_x 1
		.amdhsa_system_sgpr_workgroup_id_y 1
		.amdhsa_system_sgpr_workgroup_id_z 1
		.amdhsa_system_sgpr_workgroup_info 0
		.amdhsa_system_vgpr_workitem_id 1
		.amdhsa_next_free_vgpr 122
		.amdhsa_next_free_sgpr 60
		.amdhsa_reserve_vcc 1
		.amdhsa_float_round_mode_32 0
		.amdhsa_float_round_mode_16_64 0
		.amdhsa_float_denorm_mode_32 3
		.amdhsa_float_denorm_mode_16_64 3
		.amdhsa_dx10_clamp 1
		.amdhsa_ieee_mode 1
		.amdhsa_fp16_overflow 0
		.amdhsa_workgroup_processor_mode 1
		.amdhsa_memory_ordered 1
		.amdhsa_forward_progress 0
		.amdhsa_shared_vgpr_count 0
		.amdhsa_exception_fp_ieee_invalid_op 0
		.amdhsa_exception_fp_denorm_src 0
		.amdhsa_exception_fp_ieee_div_zero 0
		.amdhsa_exception_fp_ieee_overflow 0
		.amdhsa_exception_fp_ieee_underflow 0
		.amdhsa_exception_fp_ieee_inexact 0
		.amdhsa_exception_int_div_zero 0
	.end_amdhsa_kernel
	.section	.text._ZL9mul_mat_fI7__half2Li32ELi11ELi1ELb0EEvPKT_PKfPKiPfiiiiiiiiiiiiiiii,"axG",@progbits,_ZL9mul_mat_fI7__half2Li32ELi11ELi1ELb0EEvPKT_PKfPKiPfiiiiiiiiiiiiiiii,comdat
.Lfunc_end29:
	.size	_ZL9mul_mat_fI7__half2Li32ELi11ELi1ELb0EEvPKT_PKfPKiPfiiiiiiiiiiiiiiii, .Lfunc_end29-_ZL9mul_mat_fI7__half2Li32ELi11ELi1ELb0EEvPKT_PKfPKiPfiiiiiiiiiiiiiiii
                                        ; -- End function
	.section	.AMDGPU.csdata,"",@progbits
; Kernel info:
; codeLenInByte = 4096
; NumSgprs: 62
; NumVgprs: 122
; ScratchSize: 0
; MemoryBound: 0
; FloatMode: 240
; IeeeMode: 1
; LDSByteSize: 0 bytes/workgroup (compile time only)
; SGPRBlocks: 7
; VGPRBlocks: 15
; NumSGPRsForWavesPerEU: 62
; NumVGPRsForWavesPerEU: 122
; Occupancy: 10
; WaveLimiterHint : 0
; COMPUTE_PGM_RSRC2:SCRATCH_EN: 0
; COMPUTE_PGM_RSRC2:USER_SGPR: 13
; COMPUTE_PGM_RSRC2:TRAP_HANDLER: 0
; COMPUTE_PGM_RSRC2:TGID_X_EN: 1
; COMPUTE_PGM_RSRC2:TGID_Y_EN: 1
; COMPUTE_PGM_RSRC2:TGID_Z_EN: 1
; COMPUTE_PGM_RSRC2:TIDIG_COMP_CNT: 1
	.section	.text._ZL13mul_mat_f_idsI7__half2Li32ELi11ELi2EEvPKT_PKfPKiS7_S7_Pfiiiiiiiiiiiiii15HIP_vector_typeIjLj3EESA_,"axG",@progbits,_ZL13mul_mat_f_idsI7__half2Li32ELi11ELi2EEvPKT_PKfPKiS7_S7_Pfiiiiiiiiiiiiii15HIP_vector_typeIjLj3EESA_,comdat
	.globl	_ZL13mul_mat_f_idsI7__half2Li32ELi11ELi2EEvPKT_PKfPKiS7_S7_Pfiiiiiiiiiiiiii15HIP_vector_typeIjLj3EESA_ ; -- Begin function _ZL13mul_mat_f_idsI7__half2Li32ELi11ELi2EEvPKT_PKfPKiS7_S7_Pfiiiiiiiiiiiiii15HIP_vector_typeIjLj3EESA_
	.p2align	8
	.type	_ZL13mul_mat_f_idsI7__half2Li32ELi11ELi2EEvPKT_PKfPKiS7_S7_Pfiiiiiiiiiiiiii15HIP_vector_typeIjLj3EESA_,@function
_ZL13mul_mat_f_idsI7__half2Li32ELi11ELi2EEvPKT_PKfPKiS7_S7_Pfiiiiiiiiiiiiii15HIP_vector_typeIjLj3EESA_: ; @_ZL13mul_mat_f_idsI7__half2Li32ELi11ELi2EEvPKT_PKfPKiS7_S7_Pfiiiiiiiiiiiiii15HIP_vector_typeIjLj3EESA_
; %bb.0:
	s_load_b64 s[4:5], s[0:1], 0x20
	s_mov_b32 s2, s15
	s_ashr_i32 s15, s14, 31
	s_delay_alu instid0(SALU_CYCLE_1)
	s_lshl_b64 s[6:7], s[14:15], 2
	s_waitcnt lgkmcnt(0)
	s_add_u32 s4, s4, s6
	s_addc_u32 s5, s5, s7
	s_load_b64 s[30:31], s[4:5], 0x0
	s_waitcnt lgkmcnt(0)
	s_sub_i32 s33, s31, s30
	s_delay_alu instid0(SALU_CYCLE_1) | instskip(NEXT) | instid1(SALU_CYCLE_1)
	s_add_i32 s3, s33, 10
	s_mul_hi_i32 s3, s3, 0x2e8ba2e9
	s_delay_alu instid0(SALU_CYCLE_1) | instskip(SKIP_1) | instid1(SALU_CYCLE_1)
	s_lshr_b32 s4, s3, 31
	s_ashr_i32 s3, s3, 1
	s_add_i32 s3, s3, s4
	s_delay_alu instid0(SALU_CYCLE_1)
	s_cmp_ge_i32 s2, s3
	s_cbranch_scc1 .LBB30_59
; %bb.1:
	s_clause 0x4
	s_load_b128 s[8:11], s[0:1], 0x30
	s_load_b64 s[24:25], s[0:1], 0x40
	s_load_b128 s[4:7], s[0:1], 0x4c
	s_load_b128 s[16:19], s[0:1], 0x68
	s_load_b64 s[26:27], s[0:1], 0x78
	v_bfe_u32 v105, v0, 10, 10
	v_and_b32_e32 v106, 0x3ff, v0
	s_ashr_i32 s31, s30, 31
	s_waitcnt lgkmcnt(0)
	s_mov_b32 s7, exec_lo
                                        ; implicit-def: $sgpr3
	v_lshlrev_b32_e32 v107, 5, v105
	v_and_b32_e32 v108, 15, v106
	s_delay_alu instid0(VALU_DEP_2) | instskip(NEXT) | instid1(VALU_DEP_1)
	v_add_nc_u32_e32 v80, v107, v106
	v_cmpx_le_i32_e64 s8, v80
	s_xor_b32 s7, exec_lo, s7
; %bb.2:
	v_and_b32_e32 v108, 15, v106
	s_mov_b32 s3, 0
                                        ; implicit-def: $vgpr80
; %bb.3:
	s_or_saveexec_b32 s36, s7
	s_clause 0x1
	s_load_b64 s[34:35], s[0:1], 0x18
	s_load_b64 s[28:29], s[0:1], 0x28
	v_dual_mov_b32 v7, s3 :: v_dual_mov_b32 v6, s3
	v_dual_mov_b32 v5, s3 :: v_dual_mov_b32 v4, s3
	;; [unrolled: 1-line block ×8, first 2 shown]
	s_lshl_b32 s7, s13, 5
	s_mul_i32 s2, s2, 11
	s_xor_b32 exec_lo, exec_lo, s36
	s_cbranch_execz .LBB30_40
; %bb.4:
	s_clause 0x1
	s_load_b128 s[20:23], s[0:1], 0x0
	s_load_b64 s[12:13], s[0:1], 0x10
	s_mul_i32 s0, s7, s11
	s_mul_i32 s14, s14, s4
	s_ashr_i32 s1, s0, 31
	s_ashr_i32 s15, s14, 31
	s_lshl_b64 s[0:1], s[0:1], 2
	s_lshl_b64 s[14:15], s[14:15], 2
	v_dual_mov_b32 v8, 0 :: v_dual_lshlrev_b32 v3, 7, v105
	s_add_u32 s0, s14, s0
	s_addc_u32 s47, s15, s1
	v_mad_u32_u24 v0, 0x900, v105, 0
	v_dual_mov_b32 v110, 0 :: v_dual_lshlrev_b32 v1, 2, v106
	v_mul_u32_u24_e32 v2, 0x90, v108
	s_mov_b32 s41, 0
	s_mul_i32 s45, s11, 3
	s_delay_alu instid0(VALU_DEP_2)
	v_dual_mov_b32 v10, v110 :: v_dual_add_nc_u32 v109, v0, v1
	s_waitcnt lgkmcnt(0)
	s_add_u32 s1, s0, s20
	s_addc_u32 s4, s47, s21
	s_lshl_b64 s[14:15], s[30:31], 2
	v_add_co_u32 v3, s0, s0, v3
	s_add_u32 s14, s12, s14
	s_addc_u32 s15, s13, s15
	s_cmp_lt_i32 s2, s33
	v_add_co_ci_u32_e64 v4, null, s47, 0, s0
	s_cselect_b32 s37, -1, 0
	s_ashr_i32 s3, s2, 31
	v_add_co_u32 v1, vcc_lo, v3, v1
	s_lshl_b64 s[12:13], s[2:3], 2
	v_add_co_ci_u32_e32 v3, vcc_lo, 0, v4, vcc_lo
	s_add_u32 s12, s14, s12
	s_addc_u32 s13, s15, s13
	s_add_i32 s3, s2, 1
	v_add_co_u32 v81, vcc_lo, s20, v1
	s_cmp_lt_i32 s3, s33
	v_add_co_ci_u32_e32 v82, vcc_lo, s21, v3, vcc_lo
	s_cselect_b32 s3, -1, 0
	s_add_i32 s14, s2, 2
	v_dual_mov_b32 v12, v110 :: v_dual_add_nc_u32 v111, v0, v2
	s_cmp_lt_i32 s14, s33
	v_dual_mov_b32 v9, v110 :: v_dual_mov_b32 v0, 0
	s_cselect_b32 s38, -1, 0
	s_add_i32 s14, s2, 3
	v_mov_b32_e32 v11, v110
	s_cmp_lt_i32 s14, s33
	v_mov_b32_e32 v13, v110
	s_cselect_b32 s39, -1, 0
	s_add_i32 s14, s2, 4
	v_mov_b32_e32 v14, v110
	s_cmp_lt_i32 s14, s33
	v_mov_b32_e32 v15, v110
	;; [unrolled: 5-line block ×5, first 2 shown]
	s_cselect_b32 s44, -1, 0
	s_add_i32 s15, s2, 8
	v_mov_b32_e32 v7, v110
	s_cmp_lt_i32 s15, s33
	s_mov_b32 s14, s11
	s_cselect_b32 s46, -1, 0
	s_add_i32 s15, s2, 9
	s_mul_i32 s49, s11, 5
	s_cmp_lt_i32 s15, s33
	s_mul_i32 s50, s11, 6
	s_cselect_b32 s47, -1, 0
	s_add_i32 s0, s2, 10
	s_mul_i32 s51, s11, 7
	s_cmp_lt_i32 s0, s33
	s_mul_i32 s53, s11, 9
	s_cselect_b32 s20, -1, 0
	s_ashr_i32 s15, s11, 31
	s_lshl_b32 s21, s11, 1
	s_lshl_b32 s48, s11, 2
	s_lshl_b64 s[14:15], s[14:15], 2
	s_lshl_b32 s52, s11, 3
	s_mul_i32 s54, s11, 10
	s_mul_i32 s55, s11, 11
	;; [unrolled: 1-line block ×6, first 2 shown]
	s_lshl_b32 s60, s11, 4
	s_mul_i32 s61, s11, 17
	s_mul_i32 s62, s11, 18
	;; [unrolled: 1-line block ×15, first 2 shown]
	s_branch .LBB30_6
.LBB30_5:                               ;   in Loop: Header=BB30_6 Depth=1
	s_waitcnt vmcnt(0)
	v_cvt_f16_f32_e32 v83, v83
	v_cvt_f16_f32_e32 v84, v84
	;; [unrolled: 1-line block ×8, first 2 shown]
	v_pack_b32_f16 v83, v83, v84
	v_pack_b32_f16 v84, v87, v88
	v_cvt_f16_f32_e32 v87, v89
	v_cvt_f16_f32_e32 v88, v90
	v_pack_b32_f16 v85, v85, v86
	v_pack_b32_f16 v86, v91, v92
	v_cvt_f16_f32_e32 v89, v95
	v_cvt_f16_f32_e32 v90, v96
	;; [unrolled: 1-line block ×4, first 2 shown]
	ds_store_2addr_b32 v109, v83, v84 offset1:36
	ds_store_2addr_b32 v109, v85, v86 offset0:72 offset1:108
	v_pack_b32_f16 v83, v87, v88
	v_cvt_f16_f32_e32 v86, v99
	v_cvt_f16_f32_e32 v87, v100
	v_pack_b32_f16 v84, v89, v90
	v_pack_b32_f16 v85, v91, v92
	v_cvt_f16_f32_e32 v88, v97
	v_cvt_f16_f32_e32 v89, v98
	;; [unrolled: 1-line block ×6, first 2 shown]
	v_pack_b32_f16 v86, v86, v87
	v_pack_b32_f16 v87, v88, v89
	v_pack_b32_f16 v88, v90, v91
	v_add_nc_u32_e32 v89, 0x400, v109
	v_pack_b32_f16 v90, v92, v93
	ds_store_2addr_b32 v109, v83, v84 offset0:144 offset1:180
	v_add_nc_u32_e32 v83, 0x600, v109
	ds_store_2addr_b32 v109, v85, v86 offset0:216 offset1:252
	ds_store_2addr_b32 v89, v87, v88 offset0:32 offset1:68
	;; [unrolled: 1-line block ×5, first 2 shown]
	ds_load_b128 v[83:86], v111
	ds_load_b128 v[87:90], v111 offset:16
	ds_load_b128 v[91:94], v111 offset:32
	;; [unrolled: 1-line block ×5, first 2 shown]
	v_add_nc_u32_e32 v80, 64, v80
	v_add_co_u32 v81, s0, 0x100, v81
	s_delay_alu instid0(VALU_DEP_1) | instskip(NEXT) | instid1(VALU_DEP_3)
	v_add_co_ci_u32_e64 v82, s0, 0, v82, s0
	v_cmp_le_i32_e32 vcc_lo, s8, v80
	s_or_b32 s41, vcc_lo, s41
	s_waitcnt lgkmcnt(4)
	v_wmma_f32_16x16x16_f16 v[8:15], v[48:55], v[83:90], v[8:15]
	ds_load_b128 v[48:51], v111 offset:96
	ds_load_b128 v[52:55], v111 offset:112
	v_wmma_f32_16x16x16_f16 v[0:7], v[72:79], v[83:90], v[0:7]
	s_waitcnt lgkmcnt(4)
	v_wmma_f32_16x16x16_f16 v[8:15], v[32:39], v[91:98], v[8:15]
	s_delay_alu instid0(VALU_DEP_2) | instskip(SKIP_1) | instid1(VALU_DEP_2)
	v_wmma_f32_16x16x16_f16 v[0:7], v[64:71], v[91:98], v[0:7]
	s_waitcnt lgkmcnt(2)
	v_wmma_f32_16x16x16_f16 v[8:15], v[24:31], v[112:119], v[8:15]
	s_delay_alu instid0(VALU_DEP_2) | instskip(SKIP_1) | instid1(VALU_DEP_2)
	v_wmma_f32_16x16x16_f16 v[0:7], v[56:63], v[112:119], v[0:7]
	s_waitcnt lgkmcnt(0)
	v_wmma_f32_16x16x16_f16 v[8:15], v[16:23], v[48:55], v[8:15]
	s_delay_alu instid0(VALU_DEP_2)
	v_wmma_f32_16x16x16_f16 v[0:7], v[40:47], v[48:55], v[0:7]
	s_and_not1_b32 exec_lo, exec_lo, s41
	s_cbranch_execz .LBB30_39
.LBB30_6:                               ; =>This Inner Loop Header: Depth=1
	v_dual_mov_b32 v83, 0 :: v_dual_add_nc_u32 v16, s21, v80
	v_add_nc_u32_e32 v22, s48, v80
	v_add_nc_u32_e32 v18, s45, v80
	v_add_co_u32 v20, vcc_lo, v81, s14
	s_delay_alu instid0(VALU_DEP_4)
	v_ashrrev_i32_e32 v17, 31, v16
	v_add_co_ci_u32_e32 v21, vcc_lo, s15, v82, vcc_lo
	v_ashrrev_i32_e32 v23, 31, v22
	v_ashrrev_i32_e32 v19, 31, v18
	v_add_nc_u32_e32 v24, s49, v80
	v_lshlrev_b64 v[16:17], 2, v[16:17]
	s_clause 0x1
	global_load_b32 v38, v[81:82], off
	global_load_b32 v39, v[20:21], off
	v_lshlrev_b64 v[20:21], 2, v[22:23]
	v_add_nc_u32_e32 v22, s50, v80
	v_lshlrev_b64 v[18:19], 2, v[18:19]
	v_ashrrev_i32_e32 v25, 31, v24
	v_add_nc_u32_e32 v26, s51, v80
	v_add_co_u32 v16, vcc_lo, s1, v16
	v_ashrrev_i32_e32 v23, 31, v22
	v_add_co_ci_u32_e32 v17, vcc_lo, s4, v17, vcc_lo
	v_add_nc_u32_e32 v28, s52, v80
	v_add_co_u32 v18, vcc_lo, s1, v18
	v_lshlrev_b64 v[24:25], 2, v[24:25]
	v_ashrrev_i32_e32 v27, 31, v26
	v_add_co_ci_u32_e32 v19, vcc_lo, s4, v19, vcc_lo
	v_add_nc_u32_e32 v30, s53, v80
	v_add_co_u32 v20, vcc_lo, s1, v20
	v_lshlrev_b64 v[22:23], 2, v[22:23]
	v_ashrrev_i32_e32 v29, 31, v28
	v_add_co_ci_u32_e32 v21, vcc_lo, s4, v21, vcc_lo
	v_add_co_u32 v24, vcc_lo, s1, v24
	v_lshlrev_b64 v[26:27], 2, v[26:27]
	v_ashrrev_i32_e32 v31, 31, v30
	v_add_co_ci_u32_e32 v25, vcc_lo, s4, v25, vcc_lo
	v_add_co_u32 v22, vcc_lo, s1, v22
	v_lshlrev_b64 v[28:29], 2, v[28:29]
	v_add_co_ci_u32_e32 v23, vcc_lo, s4, v23, vcc_lo
	v_add_nc_u32_e32 v32, s54, v80
	v_add_co_u32 v26, vcc_lo, s1, v26
	v_lshlrev_b64 v[30:31], 2, v[30:31]
	v_add_co_ci_u32_e32 v27, vcc_lo, s4, v27, vcc_lo
	v_add_nc_u32_e32 v34, s55, v80
	v_add_co_u32 v28, vcc_lo, s1, v28
	v_ashrrev_i32_e32 v33, 31, v32
	v_add_co_ci_u32_e32 v29, vcc_lo, s4, v29, vcc_lo
	v_add_nc_u32_e32 v36, s56, v80
	v_add_co_u32 v30, vcc_lo, s1, v30
	v_ashrrev_i32_e32 v35, 31, v34
	v_add_co_ci_u32_e32 v31, vcc_lo, s4, v31, vcc_lo
	s_clause 0x7
	global_load_b32 v40, v[16:17], off
	global_load_b32 v41, v[18:19], off
	global_load_b32 v42, v[20:21], off
	global_load_b32 v43, v[24:25], off
	global_load_b32 v44, v[22:23], off
	global_load_b32 v45, v[26:27], off
	global_load_b32 v46, v[28:29], off
	global_load_b32 v47, v[30:31], off
	v_add_nc_u32_e32 v18, s57, v80
	v_lshlrev_b64 v[32:33], 2, v[32:33]
	v_ashrrev_i32_e32 v37, 31, v36
	v_add_nc_u32_e32 v24, s58, v80
	v_lshlrev_b64 v[16:17], 2, v[34:35]
	v_ashrrev_i32_e32 v19, 31, v18
	v_add_nc_u32_e32 v26, s59, v80
	v_add_co_u32 v20, vcc_lo, s1, v32
	v_lshlrev_b64 v[22:23], 2, v[36:37]
	v_ashrrev_i32_e32 v25, 31, v24
	v_add_co_ci_u32_e32 v21, vcc_lo, s4, v33, vcc_lo
	v_add_nc_u32_e32 v28, s60, v80
	v_add_co_u32 v16, vcc_lo, s1, v16
	v_lshlrev_b64 v[18:19], 2, v[18:19]
	v_ashrrev_i32_e32 v27, 31, v26
	v_add_co_ci_u32_e32 v17, vcc_lo, s4, v17, vcc_lo
	v_add_nc_u32_e32 v30, s61, v80
	v_add_co_u32 v22, vcc_lo, s1, v22
	v_lshlrev_b64 v[24:25], 2, v[24:25]
	v_ashrrev_i32_e32 v29, 31, v28
	v_add_co_ci_u32_e32 v23, vcc_lo, s4, v23, vcc_lo
	v_add_co_u32 v18, vcc_lo, s1, v18
	v_lshlrev_b64 v[26:27], 2, v[26:27]
	v_ashrrev_i32_e32 v31, 31, v30
	v_add_co_ci_u32_e32 v19, vcc_lo, s4, v19, vcc_lo
	v_add_co_u32 v24, vcc_lo, s1, v24
	v_lshlrev_b64 v[28:29], 2, v[28:29]
	v_add_co_ci_u32_e32 v25, vcc_lo, s4, v25, vcc_lo
	v_add_nc_u32_e32 v32, s62, v80
	v_add_co_u32 v26, vcc_lo, s1, v26
	v_lshlrev_b64 v[30:31], 2, v[30:31]
	v_add_co_ci_u32_e32 v27, vcc_lo, s4, v27, vcc_lo
	v_add_nc_u32_e32 v34, s63, v80
	v_add_co_u32 v28, vcc_lo, s1, v28
	v_ashrrev_i32_e32 v33, 31, v32
	v_add_co_ci_u32_e32 v29, vcc_lo, s4, v29, vcc_lo
	v_add_nc_u32_e32 v36, s64, v80
	v_add_co_u32 v30, vcc_lo, s1, v30
	v_ashrrev_i32_e32 v35, 31, v34
	v_add_co_ci_u32_e32 v31, vcc_lo, s4, v31, vcc_lo
	s_clause 0x7
	global_load_b32 v48, v[20:21], off
	global_load_b32 v49, v[16:17], off
	global_load_b32 v50, v[22:23], off
	global_load_b32 v51, v[18:19], off
	global_load_b32 v52, v[24:25], off
	global_load_b32 v53, v[26:27], off
	global_load_b32 v56, v[28:29], off
	global_load_b32 v57, v[30:31], off
	v_add_nc_u32_e32 v18, s65, v80
	v_lshlrev_b64 v[32:33], 2, v[32:33]
	v_ashrrev_i32_e32 v37, 31, v36
	v_add_nc_u32_e32 v24, s66, v80
	v_lshlrev_b64 v[16:17], 2, v[34:35]
	v_ashrrev_i32_e32 v19, 31, v18
	v_add_nc_u32_e32 v26, s67, v80
	v_add_co_u32 v20, vcc_lo, s1, v32
	v_lshlrev_b64 v[22:23], 2, v[36:37]
	;; [unrolled: 49-line block ×3, first 2 shown]
	v_ashrrev_i32_e32 v25, 31, v24
	v_add_co_ci_u32_e32 v21, vcc_lo, s4, v33, vcc_lo
	v_add_co_u32 v16, vcc_lo, s1, v16
	v_lshlrev_b64 v[18:19], 2, v[18:19]
	v_ashrrev_i32_e32 v27, 31, v26
	v_add_co_ci_u32_e32 v17, vcc_lo, s4, v17, vcc_lo
	v_add_co_u32 v22, vcc_lo, s1, v22
	v_lshlrev_b64 v[24:25], 2, v[24:25]
	v_add_co_ci_u32_e32 v23, vcc_lo, s4, v23, vcc_lo
	v_add_co_u32 v18, vcc_lo, s1, v18
	v_lshlrev_b64 v[26:27], 2, v[26:27]
	v_add_co_ci_u32_e32 v19, vcc_lo, s4, v19, vcc_lo
	v_add_co_u32 v24, vcc_lo, s1, v24
	v_add_co_ci_u32_e32 v25, vcc_lo, s4, v25, vcc_lo
	s_delay_alu instid0(VALU_DEP_4)
	v_add_co_u32 v26, vcc_lo, s1, v26
	v_add_co_ci_u32_e32 v27, vcc_lo, s4, v27, vcc_lo
	s_clause 0x5
	global_load_b32 v66, v[20:21], off
	global_load_b32 v67, v[16:17], off
	;; [unrolled: 1-line block ×6, first 2 shown]
	v_mov_b32_e32 v84, 0
	s_and_not1_b32 vcc_lo, exec_lo, s37
	s_waitcnt vmcnt(31)
	ds_store_b32 v109, v38
	s_waitcnt vmcnt(30)
	ds_store_b32 v109, v39 offset:144
	s_waitcnt vmcnt(29)
	ds_store_b32 v109, v40 offset:288
	;; [unrolled: 2-line block ×15, first 2 shown]
	ds_load_b128 v[48:51], v111
	ds_load_b128 v[52:55], v111 offset:16
	ds_load_b128 v[32:35], v111 offset:32
	;; [unrolled: 1-line block ×7, first 2 shown]
	s_waitcnt vmcnt(15)
	ds_store_b32 v109, v56
	s_waitcnt vmcnt(14)
	ds_store_b32 v109, v57 offset:144
	s_waitcnt vmcnt(13)
	ds_store_b32 v109, v58 offset:288
	;; [unrolled: 2-line block ×15, first 2 shown]
	ds_load_b128 v[72:75], v111
	ds_load_b128 v[76:79], v111 offset:16
	ds_load_b128 v[64:67], v111 offset:32
	;; [unrolled: 1-line block ×7, first 2 shown]
	s_cbranch_vccnz .LBB30_9
; %bb.7:                                ;   in Loop: Header=BB30_6 Depth=1
	s_load_b32 s0, s[12:13], 0x0
	v_dual_mov_b32 v84, 0 :: v_dual_mov_b32 v83, 0
	s_waitcnt lgkmcnt(0)
	s_mul_hi_u32 s75, s0, s16
	s_delay_alu instid0(SALU_CYCLE_1) | instskip(NEXT) | instid1(SALU_CYCLE_1)
	s_add_i32 s75, s0, s75
	s_lshr_b32 s75, s75, s17
	s_delay_alu instid0(SALU_CYCLE_1)
	s_cmp_ge_i32 s75, s9
	s_cbranch_scc1 .LBB30_9
; %bb.8:                                ;   in Loop: Header=BB30_6 Depth=1
	v_mad_u64_u32 v[83:84], null, s75, s24, v[80:81]
	s_mul_i32 s75, s75, s18
	s_delay_alu instid0(SALU_CYCLE_1) | instskip(NEXT) | instid1(SALU_CYCLE_1)
	s_sub_i32 s0, s0, s75
	s_mul_i32 s0, s0, s5
	s_delay_alu instid0(VALU_DEP_1) | instid1(SALU_CYCLE_1)
	v_lshl_add_u32 v83, v83, 1, s0
	s_delay_alu instid0(VALU_DEP_1) | instskip(NEXT) | instid1(VALU_DEP_1)
	v_ashrrev_i32_e32 v84, 31, v83
	v_lshlrev_b64 v[83:84], 2, v[83:84]
	s_delay_alu instid0(VALU_DEP_1) | instskip(NEXT) | instid1(VALU_DEP_2)
	v_add_co_u32 v83, vcc_lo, s22, v83
	v_add_co_ci_u32_e32 v84, vcc_lo, s23, v84, vcc_lo
	global_load_b64 v[83:84], v[83:84], off
.LBB30_9:                               ;   in Loop: Header=BB30_6 Depth=1
	v_dual_mov_b32 v85, 0 :: v_dual_mov_b32 v88, 0
	v_mov_b32_e32 v87, 0
	s_and_not1_b32 vcc_lo, exec_lo, s3
	s_cbranch_vccnz .LBB30_12
; %bb.10:                               ;   in Loop: Header=BB30_6 Depth=1
	s_load_b32 s0, s[12:13], 0x4
	v_dual_mov_b32 v88, 0 :: v_dual_mov_b32 v87, 0
	s_waitcnt lgkmcnt(0)
	s_mul_hi_u32 s75, s0, s16
	s_delay_alu instid0(SALU_CYCLE_1) | instskip(NEXT) | instid1(SALU_CYCLE_1)
	s_add_i32 s75, s0, s75
	s_lshr_b32 s75, s75, s17
	s_delay_alu instid0(SALU_CYCLE_1)
	s_cmp_ge_i32 s75, s9
	s_cbranch_scc1 .LBB30_12
; %bb.11:                               ;   in Loop: Header=BB30_6 Depth=1
	v_mad_u64_u32 v[86:87], null, s75, s24, v[80:81]
	s_mul_i32 s75, s75, s18
	s_delay_alu instid0(SALU_CYCLE_1) | instskip(NEXT) | instid1(SALU_CYCLE_1)
	s_sub_i32 s0, s0, s75
	s_mul_i32 s0, s0, s5
	s_delay_alu instid0(VALU_DEP_1) | instid1(SALU_CYCLE_1)
	v_lshl_add_u32 v86, v86, 1, s0
	s_delay_alu instid0(VALU_DEP_1) | instskip(NEXT) | instid1(VALU_DEP_1)
	v_ashrrev_i32_e32 v87, 31, v86
	v_lshlrev_b64 v[86:87], 2, v[86:87]
	s_delay_alu instid0(VALU_DEP_1) | instskip(NEXT) | instid1(VALU_DEP_2)
	v_add_co_u32 v86, vcc_lo, s22, v86
	v_add_co_ci_u32_e32 v87, vcc_lo, s23, v87, vcc_lo
	global_load_b64 v[87:88], v[86:87], off
.LBB30_12:                              ;   in Loop: Header=BB30_6 Depth=1
	v_mov_b32_e32 v86, 0
	s_and_not1_b32 vcc_lo, exec_lo, s38
	s_cbranch_vccnz .LBB30_15
; %bb.13:                               ;   in Loop: Header=BB30_6 Depth=1
	s_load_b32 s0, s[12:13], 0x8
	v_dual_mov_b32 v86, 0 :: v_dual_mov_b32 v85, 0
	s_waitcnt lgkmcnt(0)
	s_mul_hi_u32 s75, s0, s16
	s_delay_alu instid0(SALU_CYCLE_1) | instskip(NEXT) | instid1(SALU_CYCLE_1)
	s_add_i32 s75, s0, s75
	s_lshr_b32 s75, s75, s17
	s_delay_alu instid0(SALU_CYCLE_1)
	s_cmp_ge_i32 s75, s9
	s_cbranch_scc1 .LBB30_15
; %bb.14:                               ;   in Loop: Header=BB30_6 Depth=1
	v_mad_u64_u32 v[85:86], null, s75, s24, v[80:81]
	s_mul_i32 s75, s75, s18
	s_delay_alu instid0(SALU_CYCLE_1) | instskip(NEXT) | instid1(SALU_CYCLE_1)
	s_sub_i32 s0, s0, s75
	s_mul_i32 s0, s0, s5
	s_delay_alu instid0(VALU_DEP_1) | instid1(SALU_CYCLE_1)
	v_lshl_add_u32 v85, v85, 1, s0
	s_delay_alu instid0(VALU_DEP_1) | instskip(NEXT) | instid1(VALU_DEP_1)
	v_ashrrev_i32_e32 v86, 31, v85
	v_lshlrev_b64 v[85:86], 2, v[85:86]
	s_delay_alu instid0(VALU_DEP_1) | instskip(NEXT) | instid1(VALU_DEP_2)
	v_add_co_u32 v85, vcc_lo, s22, v85
	v_add_co_ci_u32_e32 v86, vcc_lo, s23, v86, vcc_lo
	global_load_b64 v[85:86], v[85:86], off
.LBB30_15:                              ;   in Loop: Header=BB30_6 Depth=1
	v_dual_mov_b32 v89, 0 :: v_dual_mov_b32 v92, 0
	v_mov_b32_e32 v91, 0
	s_and_not1_b32 vcc_lo, exec_lo, s39
	s_cbranch_vccnz .LBB30_18
; %bb.16:                               ;   in Loop: Header=BB30_6 Depth=1
	s_load_b32 s0, s[12:13], 0xc
	v_dual_mov_b32 v92, 0 :: v_dual_mov_b32 v91, 0
	s_waitcnt lgkmcnt(0)
	s_mul_hi_u32 s75, s0, s16
	s_delay_alu instid0(SALU_CYCLE_1) | instskip(NEXT) | instid1(SALU_CYCLE_1)
	s_add_i32 s75, s0, s75
	s_lshr_b32 s75, s75, s17
	s_delay_alu instid0(SALU_CYCLE_1)
	s_cmp_ge_i32 s75, s9
	s_cbranch_scc1 .LBB30_18
; %bb.17:                               ;   in Loop: Header=BB30_6 Depth=1
	v_mad_u64_u32 v[90:91], null, s75, s24, v[80:81]
	s_mul_i32 s75, s75, s18
	s_delay_alu instid0(SALU_CYCLE_1) | instskip(NEXT) | instid1(SALU_CYCLE_1)
	s_sub_i32 s0, s0, s75
	s_mul_i32 s0, s0, s5
	s_delay_alu instid0(VALU_DEP_1) | instid1(SALU_CYCLE_1)
	v_lshl_add_u32 v90, v90, 1, s0
	s_delay_alu instid0(VALU_DEP_1) | instskip(NEXT) | instid1(VALU_DEP_1)
	v_ashrrev_i32_e32 v91, 31, v90
	v_lshlrev_b64 v[90:91], 2, v[90:91]
	s_delay_alu instid0(VALU_DEP_1) | instskip(NEXT) | instid1(VALU_DEP_2)
	v_add_co_u32 v90, vcc_lo, s22, v90
	v_add_co_ci_u32_e32 v91, vcc_lo, s23, v91, vcc_lo
	global_load_b64 v[91:92], v[90:91], off
.LBB30_18:                              ;   in Loop: Header=BB30_6 Depth=1
	v_mov_b32_e32 v90, 0
	s_and_not1_b32 vcc_lo, exec_lo, s40
	s_cbranch_vccnz .LBB30_21
; %bb.19:                               ;   in Loop: Header=BB30_6 Depth=1
	s_load_b32 s0, s[12:13], 0x10
	v_dual_mov_b32 v90, 0 :: v_dual_mov_b32 v89, 0
	s_waitcnt lgkmcnt(0)
	s_mul_hi_u32 s75, s0, s16
	s_delay_alu instid0(SALU_CYCLE_1) | instskip(NEXT) | instid1(SALU_CYCLE_1)
	s_add_i32 s75, s0, s75
	s_lshr_b32 s75, s75, s17
	s_delay_alu instid0(SALU_CYCLE_1)
	s_cmp_ge_i32 s75, s9
	s_cbranch_scc1 .LBB30_21
; %bb.20:                               ;   in Loop: Header=BB30_6 Depth=1
	v_mad_u64_u32 v[89:90], null, s75, s24, v[80:81]
	s_mul_i32 s75, s75, s18
	s_delay_alu instid0(SALU_CYCLE_1) | instskip(NEXT) | instid1(SALU_CYCLE_1)
	s_sub_i32 s0, s0, s75
	s_mul_i32 s0, s0, s5
	s_delay_alu instid0(VALU_DEP_1) | instid1(SALU_CYCLE_1)
	v_lshl_add_u32 v89, v89, 1, s0
	s_delay_alu instid0(VALU_DEP_1) | instskip(NEXT) | instid1(VALU_DEP_1)
	v_ashrrev_i32_e32 v90, 31, v89
	v_lshlrev_b64 v[89:90], 2, v[89:90]
	s_delay_alu instid0(VALU_DEP_1) | instskip(NEXT) | instid1(VALU_DEP_2)
	v_add_co_u32 v89, vcc_lo, s22, v89
	v_add_co_ci_u32_e32 v90, vcc_lo, s23, v90, vcc_lo
	global_load_b64 v[89:90], v[89:90], off
.LBB30_21:                              ;   in Loop: Header=BB30_6 Depth=1
	;; [unrolled: 61-line block ×4, first 2 shown]
	v_dual_mov_b32 v101, 0 :: v_dual_mov_b32 v104, 0
	v_mov_b32_e32 v103, 0
	s_and_not1_b32 vcc_lo, exec_lo, s47
	s_cbranch_vccnz .LBB30_36
; %bb.34:                               ;   in Loop: Header=BB30_6 Depth=1
	s_load_b32 s0, s[12:13], 0x24
	v_dual_mov_b32 v104, 0 :: v_dual_mov_b32 v103, 0
	s_waitcnt lgkmcnt(0)
	s_mul_hi_u32 s75, s0, s16
	s_delay_alu instid0(SALU_CYCLE_1) | instskip(NEXT) | instid1(SALU_CYCLE_1)
	s_add_i32 s75, s0, s75
	s_lshr_b32 s75, s75, s17
	s_delay_alu instid0(SALU_CYCLE_1)
	s_cmp_ge_i32 s75, s9
	s_cbranch_scc1 .LBB30_36
; %bb.35:                               ;   in Loop: Header=BB30_6 Depth=1
	v_mad_u64_u32 v[102:103], null, s75, s24, v[80:81]
	s_mul_i32 s75, s75, s18
	s_delay_alu instid0(SALU_CYCLE_1) | instskip(NEXT) | instid1(SALU_CYCLE_1)
	s_sub_i32 s0, s0, s75
	s_mul_i32 s0, s0, s5
	s_delay_alu instid0(VALU_DEP_1) | instid1(SALU_CYCLE_1)
	v_lshl_add_u32 v102, v102, 1, s0
	s_delay_alu instid0(VALU_DEP_1) | instskip(NEXT) | instid1(VALU_DEP_1)
	v_ashrrev_i32_e32 v103, 31, v102
	v_lshlrev_b64 v[102:103], 2, v[102:103]
	s_delay_alu instid0(VALU_DEP_1) | instskip(NEXT) | instid1(VALU_DEP_2)
	v_add_co_u32 v102, vcc_lo, s22, v102
	v_add_co_ci_u32_e32 v103, vcc_lo, s23, v103, vcc_lo
	global_load_b64 v[103:104], v[102:103], off
.LBB30_36:                              ;   in Loop: Header=BB30_6 Depth=1
	v_mov_b32_e32 v102, 0
	s_and_not1_b32 vcc_lo, exec_lo, s20
	s_cbranch_vccnz .LBB30_5
; %bb.37:                               ;   in Loop: Header=BB30_6 Depth=1
	s_load_b32 s0, s[12:13], 0x28
	v_dual_mov_b32 v102, 0 :: v_dual_mov_b32 v101, 0
	s_waitcnt lgkmcnt(0)
	s_mul_hi_u32 s75, s0, s16
	s_delay_alu instid0(SALU_CYCLE_1) | instskip(NEXT) | instid1(SALU_CYCLE_1)
	s_add_i32 s75, s0, s75
	s_lshr_b32 s75, s75, s17
	s_delay_alu instid0(SALU_CYCLE_1)
	s_cmp_ge_i32 s75, s9
	s_cbranch_scc1 .LBB30_5
; %bb.38:                               ;   in Loop: Header=BB30_6 Depth=1
	v_mad_u64_u32 v[101:102], null, s75, s24, v[80:81]
	s_mul_i32 s75, s75, s18
	s_delay_alu instid0(SALU_CYCLE_1) | instskip(NEXT) | instid1(SALU_CYCLE_1)
	s_sub_i32 s0, s0, s75
	s_mul_i32 s0, s0, s5
	s_delay_alu instid0(VALU_DEP_1) | instid1(SALU_CYCLE_1)
	v_lshl_add_u32 v101, v101, 1, s0
	s_delay_alu instid0(VALU_DEP_1) | instskip(NEXT) | instid1(VALU_DEP_1)
	v_ashrrev_i32_e32 v102, 31, v101
	v_lshlrev_b64 v[101:102], 2, v[101:102]
	s_delay_alu instid0(VALU_DEP_1) | instskip(NEXT) | instid1(VALU_DEP_2)
	v_add_co_u32 v101, vcc_lo, s22, v101
	v_add_co_ci_u32_e32 v102, vcc_lo, s23, v102, vcc_lo
	global_load_b64 v[101:102], v[101:102], off
	s_branch .LBB30_5
.LBB30_39:
	s_or_b32 exec_lo, exec_lo, s41
.LBB30_40:
	s_delay_alu instid0(SALU_CYCLE_1)
	s_or_b32 exec_lo, exec_lo, s36
	v_lshrrev_b32_e32 v16, 2, v106
	v_mad_u32_u24 v17, 0x110, v108, 0
	v_lshlrev_b32_e32 v18, 2, v107
	s_waitcnt lgkmcnt(0)
	s_barrier
	v_and_b32_e32 v16, 0xfc, v16
	buffer_gl0_inv
	s_lshl_b64 s[4:5], s[30:31], 2
	v_cmp_gt_u32_e64 s0, 11, v105
	s_add_u32 s1, s34, s4
	v_add3_u32 v16, v17, v16, v18
	s_addc_u32 s4, s35, s5
	s_cmp_gt_i32 s10, 0
	ds_store_2addr_b32 v16, v8, v9 offset1:2
	ds_store_2addr_b32 v16, v10, v11 offset0:4 offset1:6
	ds_store_2addr_b32 v16, v12, v13 offset0:8 offset1:10
	;; [unrolled: 1-line block ×6, first 2 shown]
	v_add_nc_u32_e32 v0, s2, v105
	s_cselect_b32 s3, -1, 0
	v_lshl_add_u32 v4, v106, 2, 0
	v_add_nc_u32_e32 v3, s7, v106
	v_mul_u32_u24_e32 v5, 0x110, v105
	v_cmp_gt_i32_e32 vcc_lo, s33, v0
	ds_store_2addr_b32 v16, v6, v7 offset0:28 offset1:30
	s_waitcnt lgkmcnt(0)
	s_barrier
	buffer_gl0_inv
	s_and_b32 s5, s3, vcc_lo
	s_delay_alu instid0(SALU_CYCLE_1) | instskip(NEXT) | instid1(SALU_CYCLE_1)
	s_and_b32 s5, s0, s5
	s_and_saveexec_b32 s0, s5
	s_cbranch_execz .LBB30_43
; %bb.41:
	v_ashrrev_i32_e32 v1, 31, v0
	s_delay_alu instid0(VALU_DEP_1) | instskip(NEXT) | instid1(VALU_DEP_1)
	v_lshlrev_b64 v[1:2], 2, v[0:1]
	v_add_co_u32 v1, vcc_lo, s1, v1
	s_delay_alu instid0(VALU_DEP_2) | instskip(SKIP_3) | instid1(VALU_DEP_1)
	v_add_co_ci_u32_e32 v2, vcc_lo, s4, v2, vcc_lo
	global_load_b32 v1, v[1:2], off
	s_waitcnt vmcnt(0)
	v_mul_hi_u32 v2, v1, s19
	v_add_nc_u32_e32 v2, v1, v2
	s_delay_alu instid0(VALU_DEP_1) | instskip(NEXT) | instid1(VALU_DEP_1)
	v_lshrrev_b32_e32 v2, s26, v2
	v_cmp_gt_i32_e32 vcc_lo, s9, v2
	s_and_b32 exec_lo, exec_lo, vcc_lo
	s_cbranch_execz .LBB30_43
; %bb.42:
	v_mul_lo_u32 v8, v2, s27
	v_add_nc_u32_e32 v6, v4, v5
	ds_load_2addr_b32 v[6:7], v6 offset1:32
	v_sub_nc_u32_e32 v1, v1, v8
	v_mul_lo_u32 v8, v2, s25
	v_mov_b32_e32 v2, 0
	s_delay_alu instid0(VALU_DEP_3) | instskip(NEXT) | instid1(VALU_DEP_1)
	v_mul_lo_u32 v1, v1, s6
	v_add3_u32 v1, v3, v8, v1
	s_waitcnt lgkmcnt(0)
	v_add_f32_e32 v6, 0, v6
	s_delay_alu instid0(VALU_DEP_2) | instskip(NEXT) | instid1(VALU_DEP_2)
	v_lshlrev_b64 v[1:2], 2, v[1:2]
	v_add_f32_e32 v6, v6, v7
	s_delay_alu instid0(VALU_DEP_2) | instskip(NEXT) | instid1(VALU_DEP_3)
	v_add_co_u32 v1, vcc_lo, s28, v1
	v_add_co_ci_u32_e32 v2, vcc_lo, s29, v2, vcc_lo
	global_store_b32 v[1:2], v6, off
.LBB30_43:
	s_or_b32 exec_lo, exec_lo, s0
	v_add_nc_u32_e32 v1, 2, v0
	v_cmp_gt_u32_e64 s0, 9, v105
	s_delay_alu instid0(VALU_DEP_2)
	v_cmp_gt_i32_e32 vcc_lo, s33, v1
	s_and_b32 s5, s3, vcc_lo
	s_delay_alu instid0(VALU_DEP_2) | instid1(SALU_CYCLE_1)
	s_and_b32 s5, s0, s5
	s_delay_alu instid0(SALU_CYCLE_1)
	s_and_saveexec_b32 s0, s5
	s_cbranch_execz .LBB30_46
; %bb.44:
	s_ashr_i32 s5, s2, 31
	v_add_co_u32 v1, s7, v105, s2
	s_delay_alu instid0(VALU_DEP_1) | instskip(NEXT) | instid1(VALU_DEP_1)
	v_add_co_ci_u32_e64 v2, null, 0, s5, s7
	v_lshlrev_b64 v[1:2], 2, v[1:2]
	s_delay_alu instid0(VALU_DEP_1) | instskip(NEXT) | instid1(VALU_DEP_2)
	v_add_co_u32 v1, vcc_lo, s1, v1
	v_add_co_ci_u32_e32 v2, vcc_lo, s4, v2, vcc_lo
	global_load_b32 v1, v[1:2], off offset:8
	s_waitcnt vmcnt(0)
	v_mul_hi_u32 v2, v1, s19
	s_delay_alu instid0(VALU_DEP_1) | instskip(NEXT) | instid1(VALU_DEP_1)
	v_add_nc_u32_e32 v2, v1, v2
	v_lshrrev_b32_e32 v6, s26, v2
	v_mov_b32_e32 v2, 0
	s_delay_alu instid0(VALU_DEP_2)
	v_cmp_gt_i32_e32 vcc_lo, s9, v6
	s_and_b32 exec_lo, exec_lo, vcc_lo
	s_cbranch_execz .LBB30_46
; %bb.45:
	v_mul_lo_u32 v9, v6, s27
	v_add_nc_u32_e32 v7, v5, v4
	v_mul_lo_u32 v6, v6, s25
	ds_load_2addr_b32 v[7:8], v7 offset0:136 offset1:168
	v_sub_nc_u32_e32 v1, v1, v9
	s_delay_alu instid0(VALU_DEP_1) | instskip(NEXT) | instid1(VALU_DEP_1)
	v_mul_lo_u32 v1, v1, s6
	v_add3_u32 v1, v3, v6, v1
	s_waitcnt lgkmcnt(0)
	v_add_f32_e32 v6, 0, v7
	s_delay_alu instid0(VALU_DEP_2) | instskip(NEXT) | instid1(VALU_DEP_2)
	v_lshlrev_b64 v[1:2], 2, v[1:2]
	v_add_f32_e32 v6, v6, v8
	s_delay_alu instid0(VALU_DEP_2) | instskip(NEXT) | instid1(VALU_DEP_3)
	v_add_co_u32 v1, vcc_lo, s28, v1
	v_add_co_ci_u32_e32 v2, vcc_lo, s29, v2, vcc_lo
	global_store_b32 v[1:2], v6, off
.LBB30_46:
	s_or_b32 exec_lo, exec_lo, s0
	v_add_nc_u32_e32 v1, 4, v0
	v_cmp_gt_u32_e64 s0, 7, v105
	s_delay_alu instid0(VALU_DEP_2)
	v_cmp_gt_i32_e32 vcc_lo, s33, v1
	s_and_b32 s5, s3, vcc_lo
	s_delay_alu instid0(VALU_DEP_2) | instid1(SALU_CYCLE_1)
	s_and_b32 s5, s0, s5
	s_delay_alu instid0(SALU_CYCLE_1)
	s_and_saveexec_b32 s0, s5
	s_cbranch_execz .LBB30_49
; %bb.47:
	s_ashr_i32 s5, s2, 31
	v_add_co_u32 v1, s7, v105, s2
	s_delay_alu instid0(VALU_DEP_1) | instskip(NEXT) | instid1(VALU_DEP_1)
	v_add_co_ci_u32_e64 v2, null, 0, s5, s7
	v_lshlrev_b64 v[1:2], 2, v[1:2]
	s_delay_alu instid0(VALU_DEP_1) | instskip(NEXT) | instid1(VALU_DEP_2)
	v_add_co_u32 v1, vcc_lo, s1, v1
	v_add_co_ci_u32_e32 v2, vcc_lo, s4, v2, vcc_lo
	global_load_b32 v1, v[1:2], off offset:16
	s_waitcnt vmcnt(0)
	v_mul_hi_u32 v2, v1, s19
	s_delay_alu instid0(VALU_DEP_1) | instskip(NEXT) | instid1(VALU_DEP_1)
	v_add_nc_u32_e32 v2, v1, v2
	v_lshrrev_b32_e32 v6, s26, v2
	v_mov_b32_e32 v2, 0
	s_delay_alu instid0(VALU_DEP_2)
	v_cmp_gt_i32_e32 vcc_lo, s9, v6
	s_and_b32 exec_lo, exec_lo, vcc_lo
	s_cbranch_execz .LBB30_49
; %bb.48:
	v_add_nc_u32_e32 v7, v4, v5
	v_mul_lo_u32 v9, v6, s27
	v_mul_lo_u32 v6, v6, s25
	s_delay_alu instid0(VALU_DEP_3) | instskip(NEXT) | instid1(VALU_DEP_3)
	v_add_nc_u32_e32 v7, 0x400, v7
	v_sub_nc_u32_e32 v1, v1, v9
	ds_load_2addr_b32 v[7:8], v7 offset0:16 offset1:48
	v_mul_lo_u32 v1, v1, s6
	s_delay_alu instid0(VALU_DEP_1) | instskip(NEXT) | instid1(VALU_DEP_1)
	v_add3_u32 v1, v3, v6, v1
	v_lshlrev_b64 v[1:2], 2, v[1:2]
	s_waitcnt lgkmcnt(0)
	v_add_f32_e32 v6, 0, v7
	s_delay_alu instid0(VALU_DEP_2) | instskip(NEXT) | instid1(VALU_DEP_2)
	v_add_co_u32 v1, vcc_lo, s28, v1
	v_add_f32_e32 v6, v6, v8
	s_delay_alu instid0(VALU_DEP_4)
	v_add_co_ci_u32_e32 v2, vcc_lo, s29, v2, vcc_lo
	global_store_b32 v[1:2], v6, off
.LBB30_49:
	s_or_b32 exec_lo, exec_lo, s0
	v_add_nc_u32_e32 v1, 6, v0
	v_cmp_gt_u32_e64 s0, 5, v105
	s_delay_alu instid0(VALU_DEP_2)
	v_cmp_gt_i32_e32 vcc_lo, s33, v1
	s_and_b32 s5, s3, vcc_lo
	s_delay_alu instid0(VALU_DEP_2) | instid1(SALU_CYCLE_1)
	s_and_b32 s5, s0, s5
	s_delay_alu instid0(SALU_CYCLE_1)
	s_and_saveexec_b32 s0, s5
	s_cbranch_execz .LBB30_52
; %bb.50:
	s_ashr_i32 s5, s2, 31
	v_add_co_u32 v1, s7, v105, s2
	s_delay_alu instid0(VALU_DEP_1) | instskip(NEXT) | instid1(VALU_DEP_1)
	v_add_co_ci_u32_e64 v2, null, 0, s5, s7
	v_lshlrev_b64 v[1:2], 2, v[1:2]
	s_delay_alu instid0(VALU_DEP_1) | instskip(NEXT) | instid1(VALU_DEP_2)
	v_add_co_u32 v1, vcc_lo, s1, v1
	v_add_co_ci_u32_e32 v2, vcc_lo, s4, v2, vcc_lo
	global_load_b32 v1, v[1:2], off offset:24
	s_waitcnt vmcnt(0)
	v_mul_hi_u32 v2, v1, s19
	s_delay_alu instid0(VALU_DEP_1) | instskip(NEXT) | instid1(VALU_DEP_1)
	v_add_nc_u32_e32 v2, v1, v2
	v_lshrrev_b32_e32 v6, s26, v2
	v_mov_b32_e32 v2, 0
	s_delay_alu instid0(VALU_DEP_2)
	v_cmp_gt_i32_e32 vcc_lo, s9, v6
	s_and_b32 exec_lo, exec_lo, vcc_lo
	s_cbranch_execz .LBB30_52
; %bb.51:
	v_add_nc_u32_e32 v7, v4, v5
	v_mul_lo_u32 v9, v6, s27
	v_mul_lo_u32 v6, v6, s25
	s_delay_alu instid0(VALU_DEP_3) | instskip(NEXT) | instid1(VALU_DEP_3)
	v_add_nc_u32_e32 v7, 0x400, v7
	v_sub_nc_u32_e32 v1, v1, v9
	ds_load_2addr_b32 v[7:8], v7 offset0:152 offset1:184
	v_mul_lo_u32 v1, v1, s6
	s_delay_alu instid0(VALU_DEP_1) | instskip(NEXT) | instid1(VALU_DEP_1)
	v_add3_u32 v1, v3, v6, v1
	v_lshlrev_b64 v[1:2], 2, v[1:2]
	s_waitcnt lgkmcnt(0)
	v_add_f32_e32 v6, 0, v7
	s_delay_alu instid0(VALU_DEP_2) | instskip(NEXT) | instid1(VALU_DEP_2)
	v_add_co_u32 v1, vcc_lo, s28, v1
	v_add_f32_e32 v6, v6, v8
	s_delay_alu instid0(VALU_DEP_4)
	v_add_co_ci_u32_e32 v2, vcc_lo, s29, v2, vcc_lo
	global_store_b32 v[1:2], v6, off
.LBB30_52:
	;; [unrolled: 52-line block ×3, first 2 shown]
	s_or_b32 exec_lo, exec_lo, s0
	s_delay_alu instid0(SALU_CYCLE_1)
	s_mov_b32 s0, exec_lo
	v_cmpx_eq_u32_e32 0, v105
	s_cbranch_execz .LBB30_59
; %bb.56:
	s_add_i32 s0, s2, 10
	s_delay_alu instid0(SALU_CYCLE_1) | instskip(SKIP_2) | instid1(SALU_CYCLE_1)
	s_cmp_ge_i32 s0, s33
	s_cselect_b32 s0, -1, 0
	s_xor_b32 s3, s3, -1
	s_or_b32 s0, s3, s0
	s_delay_alu instid0(SALU_CYCLE_1)
	s_and_b32 vcc_lo, exec_lo, s0
	s_cbranch_vccnz .LBB30_59
; %bb.57:
	s_ashr_i32 s3, s2, 31
	s_delay_alu instid0(SALU_CYCLE_1) | instskip(NEXT) | instid1(SALU_CYCLE_1)
	s_lshl_b64 s[2:3], s[2:3], 2
	s_add_u32 s0, s1, s2
	s_addc_u32 s1, s4, s3
	s_load_b32 s0, s[0:1], 0x28
	s_waitcnt lgkmcnt(0)
	s_mul_hi_u32 s1, s0, s19
	s_delay_alu instid0(SALU_CYCLE_1) | instskip(NEXT) | instid1(SALU_CYCLE_1)
	s_add_i32 s1, s0, s1
	s_lshr_b32 s1, s1, s26
	s_delay_alu instid0(SALU_CYCLE_1)
	s_cmp_ge_i32 s1, s9
	s_cbranch_scc1 .LBB30_59
; %bb.58:
	v_add_nc_u32_e32 v0, 0x800, v4
	s_mul_i32 s2, s1, s27
	s_mul_i32 s1, s1, s25
	s_sub_i32 s0, s0, s2
	v_mov_b32_e32 v4, 0
	ds_load_2addr_b32 v[0:1], v0 offset0:168 offset1:200
	s_mul_i32 s0, s0, s6
	s_delay_alu instid0(SALU_CYCLE_1) | instskip(NEXT) | instid1(VALU_DEP_1)
	v_add3_u32 v3, s0, s1, v3
	v_lshlrev_b64 v[2:3], 2, v[3:4]
	s_waitcnt lgkmcnt(0)
	v_add_f32_e32 v0, 0, v0
	s_delay_alu instid0(VALU_DEP_1) | instskip(NEXT) | instid1(VALU_DEP_3)
	v_add_f32_e32 v4, v0, v1
	v_add_co_u32 v0, vcc_lo, s28, v2
	s_delay_alu instid0(VALU_DEP_4)
	v_add_co_ci_u32_e32 v1, vcc_lo, s29, v3, vcc_lo
	global_store_b32 v[0:1], v4, off
.LBB30_59:
	s_nop 0
	s_sendmsg sendmsg(MSG_DEALLOC_VGPRS)
	s_endpgm
	.section	.rodata,"a",@progbits
	.p2align	6, 0x0
	.amdhsa_kernel _ZL13mul_mat_f_idsI7__half2Li32ELi11ELi2EEvPKT_PKfPKiS7_S7_Pfiiiiiiiiiiiiii15HIP_vector_typeIjLj3EESA_
		.amdhsa_group_segment_fixed_size 0
		.amdhsa_private_segment_fixed_size 0
		.amdhsa_kernarg_size 128
		.amdhsa_user_sgpr_count 13
		.amdhsa_user_sgpr_dispatch_ptr 0
		.amdhsa_user_sgpr_queue_ptr 0
		.amdhsa_user_sgpr_kernarg_segment_ptr 1
		.amdhsa_user_sgpr_dispatch_id 0
		.amdhsa_user_sgpr_private_segment_size 0
		.amdhsa_wavefront_size32 1
		.amdhsa_uses_dynamic_stack 0
		.amdhsa_enable_private_segment 0
		.amdhsa_system_sgpr_workgroup_id_x 1
		.amdhsa_system_sgpr_workgroup_id_y 1
		.amdhsa_system_sgpr_workgroup_id_z 1
		.amdhsa_system_sgpr_workgroup_info 0
		.amdhsa_system_vgpr_workitem_id 1
		.amdhsa_next_free_vgpr 120
		.amdhsa_next_free_sgpr 76
		.amdhsa_reserve_vcc 1
		.amdhsa_float_round_mode_32 0
		.amdhsa_float_round_mode_16_64 0
		.amdhsa_float_denorm_mode_32 3
		.amdhsa_float_denorm_mode_16_64 3
		.amdhsa_dx10_clamp 1
		.amdhsa_ieee_mode 1
		.amdhsa_fp16_overflow 0
		.amdhsa_workgroup_processor_mode 1
		.amdhsa_memory_ordered 1
		.amdhsa_forward_progress 0
		.amdhsa_shared_vgpr_count 0
		.amdhsa_exception_fp_ieee_invalid_op 0
		.amdhsa_exception_fp_denorm_src 0
		.amdhsa_exception_fp_ieee_div_zero 0
		.amdhsa_exception_fp_ieee_overflow 0
		.amdhsa_exception_fp_ieee_underflow 0
		.amdhsa_exception_fp_ieee_inexact 0
		.amdhsa_exception_int_div_zero 0
	.end_amdhsa_kernel
	.section	.text._ZL13mul_mat_f_idsI7__half2Li32ELi11ELi2EEvPKT_PKfPKiS7_S7_Pfiiiiiiiiiiiiii15HIP_vector_typeIjLj3EESA_,"axG",@progbits,_ZL13mul_mat_f_idsI7__half2Li32ELi11ELi2EEvPKT_PKfPKiS7_S7_Pfiiiiiiiiiiiiii15HIP_vector_typeIjLj3EESA_,comdat
.Lfunc_end30:
	.size	_ZL13mul_mat_f_idsI7__half2Li32ELi11ELi2EEvPKT_PKfPKiS7_S7_Pfiiiiiiiiiiiiii15HIP_vector_typeIjLj3EESA_, .Lfunc_end30-_ZL13mul_mat_f_idsI7__half2Li32ELi11ELi2EEvPKT_PKfPKiS7_S7_Pfiiiiiiiiiiiiii15HIP_vector_typeIjLj3EESA_
                                        ; -- End function
	.section	.AMDGPU.csdata,"",@progbits
; Kernel info:
; codeLenInByte = 6120
; NumSgprs: 78
; NumVgprs: 120
; ScratchSize: 0
; MemoryBound: 0
; FloatMode: 240
; IeeeMode: 1
; LDSByteSize: 0 bytes/workgroup (compile time only)
; SGPRBlocks: 9
; VGPRBlocks: 14
; NumSGPRsForWavesPerEU: 78
; NumVGPRsForWavesPerEU: 120
; Occupancy: 12
; WaveLimiterHint : 1
; COMPUTE_PGM_RSRC2:SCRATCH_EN: 0
; COMPUTE_PGM_RSRC2:USER_SGPR: 13
; COMPUTE_PGM_RSRC2:TRAP_HANDLER: 0
; COMPUTE_PGM_RSRC2:TGID_X_EN: 1
; COMPUTE_PGM_RSRC2:TGID_Y_EN: 1
; COMPUTE_PGM_RSRC2:TGID_Z_EN: 1
; COMPUTE_PGM_RSRC2:TIDIG_COMP_CNT: 1
	.section	.text._ZL9mul_mat_fI7__half2Li32ELi11ELi2ELb1EEvPKT_PKfPKiPfiiiiiiiiiiiiiiii,"axG",@progbits,_ZL9mul_mat_fI7__half2Li32ELi11ELi2ELb1EEvPKT_PKfPKiPfiiiiiiiiiiiiiiii,comdat
	.globl	_ZL9mul_mat_fI7__half2Li32ELi11ELi2ELb1EEvPKT_PKfPKiPfiiiiiiiiiiiiiiii ; -- Begin function _ZL9mul_mat_fI7__half2Li32ELi11ELi2ELb1EEvPKT_PKfPKiPfiiiiiiiiiiiiiiii
	.p2align	8
	.type	_ZL9mul_mat_fI7__half2Li32ELi11ELi2ELb1EEvPKT_PKfPKiPfiiiiiiiiiiiiiiii,@function
_ZL9mul_mat_fI7__half2Li32ELi11ELi2ELb1EEvPKT_PKfPKiPfiiiiiiiiiiiiiiii: ; @_ZL9mul_mat_fI7__half2Li32ELi11ELi2ELb1EEvPKT_PKfPKiPfiiiiiiiiiiiiiiii
; %bb.0:
	s_clause 0x1
	s_load_b256 s[16:23], s[0:1], 0x20
	s_load_b128 s[24:27], s[0:1], 0x44
	v_and_b32_e32 v80, 0x3ff, v0
	v_bfe_u32 v88, v0, 10, 10
	s_delay_alu instid0(VALU_DEP_2) | instskip(NEXT) | instid1(VALU_DEP_2)
	v_cmp_eq_u32_e32 vcc_lo, 0, v80
	v_lshl_add_u32 v89, v88, 2, 0x100
	s_waitcnt lgkmcnt(0)
	s_add_i32 s2, s17, 10
	s_delay_alu instid0(SALU_CYCLE_1) | instskip(NEXT) | instid1(SALU_CYCLE_1)
	s_mul_hi_i32 s2, s2, 0x2e8ba2e9
	s_lshr_b32 s3, s2, 31
	s_ashr_i32 s2, s2, 1
	s_delay_alu instid0(SALU_CYCLE_1)
	s_add_i32 s2, s2, s3
	s_load_b32 s3, s[0:1], 0x64
	v_cvt_f32_u32_e32 v1, s2
	s_add_u32 s10, s0, 0x60
	s_addc_u32 s11, s1, 0
	s_sub_i32 s5, 0, s2
	s_delay_alu instid0(VALU_DEP_1) | instskip(SKIP_2) | instid1(VALU_DEP_1)
	v_rcp_iflag_f32_e32 v1, v1
	s_waitcnt_depctr 0xfff
	v_mul_f32_e32 v1, 0x4f7ffffe, v1
	v_cvt_u32_f32_e32 v1, v1
	s_delay_alu instid0(VALU_DEP_1) | instskip(NEXT) | instid1(VALU_DEP_1)
	v_readfirstlane_b32 s4, v1
	s_mul_i32 s5, s5, s4
	s_delay_alu instid0(SALU_CYCLE_1) | instskip(NEXT) | instid1(SALU_CYCLE_1)
	s_mul_hi_u32 s5, s4, s5
	s_add_i32 s4, s4, s5
	s_waitcnt lgkmcnt(0)
	s_mul_hi_u32 s4, s3, s4
	s_delay_alu instid0(SALU_CYCLE_1) | instskip(NEXT) | instid1(SALU_CYCLE_1)
	s_mul_i32 s5, s4, s2
	s_sub_i32 s3, s3, s5
	s_add_i32 s5, s4, 1
	s_sub_i32 s6, s3, s2
	s_cmp_ge_u32 s3, s2
	s_cselect_b32 s4, s5, s4
	s_cselect_b32 s3, s6, s3
	s_add_i32 s5, s4, 1
	s_cmp_ge_u32 s3, s2
	s_cselect_b32 s2, s5, s4
	s_load_b64 s[4:5], s[0:1], 0x10
	v_cvt_f32_u32_e32 v1, s2
	s_abs_i32 s33, s27
	s_sub_i32 s6, 0, s2
	v_cvt_f32_u32_e32 v2, s33
	s_delay_alu instid0(VALU_DEP_2) | instskip(NEXT) | instid1(VALU_DEP_1)
	v_rcp_iflag_f32_e32 v1, v1
	v_rcp_iflag_f32_e32 v2, v2
	s_waitcnt_depctr 0xfff
	v_dual_mul_f32 v1, 0x4f7ffffe, v1 :: v_dual_mul_f32 v2, 0x4f7ffffe, v2
	s_delay_alu instid0(VALU_DEP_1) | instskip(NEXT) | instid1(VALU_DEP_1)
	v_cvt_u32_f32_e32 v1, v1
	v_readfirstlane_b32 s3, v1
	s_delay_alu instid0(VALU_DEP_3) | instskip(NEXT) | instid1(VALU_DEP_2)
	v_cvt_u32_f32_e32 v1, v2
	s_mul_i32 s6, s6, s3
	s_delay_alu instid0(VALU_DEP_1) | instskip(SKIP_1) | instid1(SALU_CYCLE_1)
	v_readfirstlane_b32 s35, v1
	s_mul_hi_u32 s6, s3, s6
	s_add_i32 s3, s3, s6
	s_delay_alu instid0(SALU_CYCLE_1)
	s_mul_hi_u32 s3, s14, s3
	s_and_saveexec_b32 s6, vcc_lo
	s_cbranch_execz .LBB31_2
; %bb.1:
	v_mov_b32_e32 v1, -1
	ds_store_b32 v89, v1
.LBB31_2:
	s_or_b32 exec_lo, exec_lo, s6
	s_mul_i32 s6, s3, s2
	s_add_i32 s7, s3, 1
	s_sub_i32 s6, s14, s6
	v_mov_b32_e32 v3, 0
	s_sub_i32 s8, s6, s2
	s_cmp_ge_u32 s6, s2
	s_cselect_b32 s3, s7, s3
	s_cselect_b32 s6, s8, s6
	s_add_i32 s7, s3, 1
	s_cmp_ge_u32 s6, s2
	v_cmp_gt_i32_e64 s8, s18, v80
	s_cselect_b32 s3, s7, s3
	s_delay_alu instid0(SALU_CYCLE_1)
	s_mul_i32 s12, s3, 11
	s_mul_i32 s3, s3, s2
	v_add_nc_u32_e32 v1, s12, v88
	s_mul_hi_i32 s7, s12, s23
	s_mul_i32 s6, s12, s23
	s_sub_i32 s34, s14, s3
	s_lshl_b64 s[6:7], s[6:7], 2
	v_cmp_gt_i32_e64 s2, s17, v1
	s_waitcnt lgkmcnt(0)
	s_add_u32 s14, s4, s6
	s_addc_u32 s36, s5, s7
	s_delay_alu instid0(VALU_DEP_1)
	s_and_saveexec_b32 s5, s2
	s_cbranch_execz .LBB31_10
; %bb.3:
	v_mov_b32_e32 v3, 0
	s_and_saveexec_b32 s6, s8
	s_cbranch_execz .LBB31_9
; %bb.4:
	v_mul_lo_u32 v1, v88, s23
	v_dual_mov_b32 v3, 0 :: v_dual_mov_b32 v6, v80
	s_lshl_b32 s9, s22, 5
	s_mov_b32 s7, 0
	s_delay_alu instid0(VALU_DEP_2) | instskip(NEXT) | instid1(VALU_DEP_1)
	v_ashrrev_i32_e32 v2, 31, v1
	v_lshlrev_b64 v[4:5], 2, v[1:2]
	v_mul_lo_u32 v1, v80, s22
	s_delay_alu instid0(VALU_DEP_2) | instskip(NEXT) | instid1(VALU_DEP_1)
	v_add_co_u32 v4, s3, s14, v4
	v_add_co_ci_u32_e64 v5, s3, s36, v5, s3
	s_set_inst_prefetch_distance 0x1
	s_branch .LBB31_6
	.p2align	6
.LBB31_5:                               ;   in Loop: Header=BB31_6 Depth=1
	s_or_b32 exec_lo, exec_lo, s28
	v_add_nc_u32_e32 v6, 32, v6
	s_xor_b32 s3, s3, -1
	v_add_nc_u32_e32 v1, s9, v1
	s_delay_alu instid0(VALU_DEP_2) | instskip(NEXT) | instid1(VALU_DEP_1)
	v_cmp_le_i32_e64 s4, s18, v6
	s_or_b32 s3, s3, s4
	s_delay_alu instid0(SALU_CYCLE_1) | instskip(NEXT) | instid1(SALU_CYCLE_1)
	s_and_b32 s3, exec_lo, s3
	s_or_b32 s7, s3, s7
	s_delay_alu instid0(SALU_CYCLE_1)
	s_and_not1_b32 exec_lo, exec_lo, s7
	s_cbranch_execz .LBB31_8
.LBB31_6:                               ; =>This Inner Loop Header: Depth=1
	s_delay_alu instid0(VALU_DEP_3) | instskip(SKIP_1) | instid1(VALU_DEP_1)
	v_ashrrev_i32_e32 v2, 31, v1
	s_mov_b32 s28, exec_lo
	v_lshlrev_b64 v[7:8], 2, v[1:2]
	s_delay_alu instid0(VALU_DEP_1) | instskip(NEXT) | instid1(VALU_DEP_1)
	v_add_co_u32 v7, s3, v4, v7
	v_add_co_ci_u32_e64 v8, s3, v5, v8, s3
	global_load_b32 v2, v[7:8], off
	s_waitcnt vmcnt(0)
	v_cmp_ne_u32_e64 s3, s34, v2
	v_cmpx_eq_u32_e64 s34, v2
	s_cbranch_execz .LBB31_5
; %bb.7:                                ;   in Loop: Header=BB31_6 Depth=1
	v_mov_b32_e32 v3, 1
	ds_store_b32 v89, v6
	s_branch .LBB31_5
.LBB31_8:
	s_set_inst_prefetch_distance 0x2
	s_or_b32 exec_lo, exec_lo, s7
.LBB31_9:
	s_delay_alu instid0(SALU_CYCLE_1)
	s_or_b32 exec_lo, exec_lo, s6
.LBB31_10:
	s_delay_alu instid0(SALU_CYCLE_1)
	s_or_b32 exec_lo, exec_lo, s5
	s_and_saveexec_b32 s3, vcc_lo
	s_cbranch_execz .LBB31_12
; %bb.11:
	v_mov_b32_e32 v1, -1
	ds_store_b32 v89, v1 offset:8
.LBB31_12:
	s_or_b32 exec_lo, exec_lo, s3
	v_add_nc_u32_e32 v90, 2, v88
	s_delay_alu instid0(VALU_DEP_1) | instskip(NEXT) | instid1(VALU_DEP_1)
	v_add_nc_u32_e32 v1, s12, v90
	v_cmp_gt_i32_e64 s3, s17, v1
	s_delay_alu instid0(VALU_DEP_1)
	s_and_saveexec_b32 s6, s3
	s_cbranch_execz .LBB31_20
; %bb.13:
	s_and_saveexec_b32 s7, s8
	s_cbranch_execz .LBB31_19
; %bb.14:
	v_mul_lo_u32 v1, v90, s23
	v_mov_b32_e32 v6, v80
	s_lshl_b32 s28, s22, 5
	s_mov_b32 s9, 0
	s_delay_alu instid0(VALU_DEP_2) | instskip(NEXT) | instid1(VALU_DEP_1)
	v_ashrrev_i32_e32 v2, 31, v1
	v_lshlrev_b64 v[4:5], 2, v[1:2]
	v_mul_lo_u32 v1, v80, s22
	s_delay_alu instid0(VALU_DEP_2) | instskip(NEXT) | instid1(VALU_DEP_1)
	v_add_co_u32 v4, s4, s14, v4
	v_add_co_ci_u32_e64 v5, s4, s36, v5, s4
	s_set_inst_prefetch_distance 0x1
	s_branch .LBB31_16
	.p2align	6
.LBB31_15:                              ;   in Loop: Header=BB31_16 Depth=1
	s_or_b32 exec_lo, exec_lo, s29
	v_add_nc_u32_e32 v6, 32, v6
	s_xor_b32 s4, s4, -1
	v_add_nc_u32_e32 v1, s28, v1
	s_delay_alu instid0(VALU_DEP_2) | instskip(NEXT) | instid1(VALU_DEP_1)
	v_cmp_le_i32_e64 s5, s18, v6
	s_or_b32 s4, s4, s5
	s_delay_alu instid0(SALU_CYCLE_1) | instskip(NEXT) | instid1(SALU_CYCLE_1)
	s_and_b32 s4, exec_lo, s4
	s_or_b32 s9, s4, s9
	s_delay_alu instid0(SALU_CYCLE_1)
	s_and_not1_b32 exec_lo, exec_lo, s9
	s_cbranch_execz .LBB31_18
.LBB31_16:                              ; =>This Inner Loop Header: Depth=1
	s_delay_alu instid0(VALU_DEP_3) | instskip(SKIP_1) | instid1(VALU_DEP_1)
	v_ashrrev_i32_e32 v2, 31, v1
	s_mov_b32 s29, exec_lo
	v_lshlrev_b64 v[7:8], 2, v[1:2]
	s_delay_alu instid0(VALU_DEP_1) | instskip(NEXT) | instid1(VALU_DEP_1)
	v_add_co_u32 v7, s4, v4, v7
	v_add_co_ci_u32_e64 v8, s4, v5, v8, s4
	global_load_b32 v2, v[7:8], off
	s_waitcnt vmcnt(0)
	v_cmp_ne_u32_e64 s4, s34, v2
	v_cmpx_eq_u32_e64 s34, v2
	s_cbranch_execz .LBB31_15
; %bb.17:                               ;   in Loop: Header=BB31_16 Depth=1
	v_mov_b32_e32 v3, 1
	ds_store_b32 v89, v6 offset:8
	s_branch .LBB31_15
.LBB31_18:
	s_set_inst_prefetch_distance 0x2
	s_or_b32 exec_lo, exec_lo, s9
.LBB31_19:
	s_delay_alu instid0(SALU_CYCLE_1)
	s_or_b32 exec_lo, exec_lo, s7
.LBB31_20:
	s_delay_alu instid0(SALU_CYCLE_1)
	s_or_b32 exec_lo, exec_lo, s6
	s_and_saveexec_b32 s4, vcc_lo
	s_cbranch_execz .LBB31_22
; %bb.21:
	v_mov_b32_e32 v1, -1
	ds_store_b32 v89, v1 offset:16
.LBB31_22:
	s_or_b32 exec_lo, exec_lo, s4
	v_add_nc_u32_e32 v91, 4, v88
	s_delay_alu instid0(VALU_DEP_1) | instskip(NEXT) | instid1(VALU_DEP_1)
	v_add_nc_u32_e32 v1, s12, v91
	v_cmp_gt_i32_e64 s4, s17, v1
	s_delay_alu instid0(VALU_DEP_1)
	s_and_saveexec_b32 s7, s4
	s_cbranch_execz .LBB31_30
; %bb.23:
	s_and_saveexec_b32 s9, s8
	s_cbranch_execz .LBB31_29
; %bb.24:
	v_mul_lo_u32 v1, v91, s23
	v_mov_b32_e32 v6, v80
	s_lshl_b32 s29, s22, 5
	s_mov_b32 s28, 0
	s_delay_alu instid0(VALU_DEP_2) | instskip(NEXT) | instid1(VALU_DEP_1)
	v_ashrrev_i32_e32 v2, 31, v1
	v_lshlrev_b64 v[4:5], 2, v[1:2]
	v_mul_lo_u32 v1, v80, s22
	s_delay_alu instid0(VALU_DEP_2) | instskip(NEXT) | instid1(VALU_DEP_1)
	v_add_co_u32 v4, s5, s14, v4
	v_add_co_ci_u32_e64 v5, s5, s36, v5, s5
	s_set_inst_prefetch_distance 0x1
	s_branch .LBB31_26
	.p2align	6
.LBB31_25:                              ;   in Loop: Header=BB31_26 Depth=1
	s_or_b32 exec_lo, exec_lo, s30
	v_add_nc_u32_e32 v6, 32, v6
	s_xor_b32 s5, s5, -1
	v_add_nc_u32_e32 v1, s29, v1
	s_delay_alu instid0(VALU_DEP_2) | instskip(NEXT) | instid1(VALU_DEP_1)
	v_cmp_le_i32_e64 s6, s18, v6
	s_or_b32 s5, s5, s6
	s_delay_alu instid0(SALU_CYCLE_1) | instskip(NEXT) | instid1(SALU_CYCLE_1)
	s_and_b32 s5, exec_lo, s5
	s_or_b32 s28, s5, s28
	s_delay_alu instid0(SALU_CYCLE_1)
	s_and_not1_b32 exec_lo, exec_lo, s28
	s_cbranch_execz .LBB31_28
.LBB31_26:                              ; =>This Inner Loop Header: Depth=1
	s_delay_alu instid0(VALU_DEP_3) | instskip(SKIP_1) | instid1(VALU_DEP_1)
	v_ashrrev_i32_e32 v2, 31, v1
	s_mov_b32 s30, exec_lo
	v_lshlrev_b64 v[7:8], 2, v[1:2]
	s_delay_alu instid0(VALU_DEP_1) | instskip(NEXT) | instid1(VALU_DEP_1)
	v_add_co_u32 v7, s5, v4, v7
	v_add_co_ci_u32_e64 v8, s5, v5, v8, s5
	global_load_b32 v2, v[7:8], off
	s_waitcnt vmcnt(0)
	v_cmp_ne_u32_e64 s5, s34, v2
	v_cmpx_eq_u32_e64 s34, v2
	s_cbranch_execz .LBB31_25
; %bb.27:                               ;   in Loop: Header=BB31_26 Depth=1
	v_mov_b32_e32 v3, 1
	ds_store_b32 v89, v6 offset:16
	s_branch .LBB31_25
.LBB31_28:
	s_set_inst_prefetch_distance 0x2
	s_or_b32 exec_lo, exec_lo, s28
.LBB31_29:
	s_delay_alu instid0(SALU_CYCLE_1)
	s_or_b32 exec_lo, exec_lo, s9
.LBB31_30:
	s_delay_alu instid0(SALU_CYCLE_1)
	s_or_b32 exec_lo, exec_lo, s7
	s_and_saveexec_b32 s5, vcc_lo
	s_cbranch_execz .LBB31_32
; %bb.31:
	v_mov_b32_e32 v1, -1
	ds_store_b32 v89, v1 offset:24
.LBB31_32:
	s_or_b32 exec_lo, exec_lo, s5
	v_add_nc_u32_e32 v92, 6, v88
	s_delay_alu instid0(VALU_DEP_1) | instskip(NEXT) | instid1(VALU_DEP_1)
	v_add_nc_u32_e32 v1, s12, v92
	v_cmp_gt_i32_e64 s5, s17, v1
	s_delay_alu instid0(VALU_DEP_1)
	s_and_saveexec_b32 s9, s5
	s_cbranch_execz .LBB31_40
; %bb.33:
	s_and_saveexec_b32 s28, s8
	s_cbranch_execz .LBB31_39
; %bb.34:
	v_mul_lo_u32 v1, v92, s23
	v_mov_b32_e32 v6, v80
	s_lshl_b32 s30, s22, 5
	s_mov_b32 s29, 0
	s_delay_alu instid0(VALU_DEP_2) | instskip(NEXT) | instid1(VALU_DEP_1)
	v_ashrrev_i32_e32 v2, 31, v1
	v_lshlrev_b64 v[4:5], 2, v[1:2]
	v_mul_lo_u32 v1, v80, s22
	s_delay_alu instid0(VALU_DEP_2) | instskip(NEXT) | instid1(VALU_DEP_1)
	v_add_co_u32 v4, s6, s14, v4
	v_add_co_ci_u32_e64 v5, s6, s36, v5, s6
	s_set_inst_prefetch_distance 0x1
	s_branch .LBB31_36
	.p2align	6
.LBB31_35:                              ;   in Loop: Header=BB31_36 Depth=1
	s_or_b32 exec_lo, exec_lo, s31
	v_add_nc_u32_e32 v6, 32, v6
	s_xor_b32 s6, s6, -1
	v_add_nc_u32_e32 v1, s30, v1
	s_delay_alu instid0(VALU_DEP_2) | instskip(NEXT) | instid1(VALU_DEP_1)
	v_cmp_le_i32_e64 s7, s18, v6
	s_or_b32 s6, s6, s7
	s_delay_alu instid0(SALU_CYCLE_1) | instskip(NEXT) | instid1(SALU_CYCLE_1)
	s_and_b32 s6, exec_lo, s6
	s_or_b32 s29, s6, s29
	s_delay_alu instid0(SALU_CYCLE_1)
	s_and_not1_b32 exec_lo, exec_lo, s29
	s_cbranch_execz .LBB31_38
.LBB31_36:                              ; =>This Inner Loop Header: Depth=1
	s_delay_alu instid0(VALU_DEP_3) | instskip(SKIP_1) | instid1(VALU_DEP_1)
	v_ashrrev_i32_e32 v2, 31, v1
	s_mov_b32 s31, exec_lo
	v_lshlrev_b64 v[7:8], 2, v[1:2]
	s_delay_alu instid0(VALU_DEP_1) | instskip(NEXT) | instid1(VALU_DEP_1)
	v_add_co_u32 v7, s6, v4, v7
	v_add_co_ci_u32_e64 v8, s6, v5, v8, s6
	global_load_b32 v2, v[7:8], off
	s_waitcnt vmcnt(0)
	v_cmp_ne_u32_e64 s6, s34, v2
	v_cmpx_eq_u32_e64 s34, v2
	s_cbranch_execz .LBB31_35
; %bb.37:                               ;   in Loop: Header=BB31_36 Depth=1
	v_mov_b32_e32 v3, 1
	ds_store_b32 v89, v6 offset:24
	s_branch .LBB31_35
.LBB31_38:
	s_set_inst_prefetch_distance 0x2
	s_or_b32 exec_lo, exec_lo, s29
.LBB31_39:
	s_delay_alu instid0(SALU_CYCLE_1)
	s_or_b32 exec_lo, exec_lo, s28
.LBB31_40:
	s_delay_alu instid0(SALU_CYCLE_1)
	s_or_b32 exec_lo, exec_lo, s9
	s_sub_i32 s28, 0, s33
	s_and_saveexec_b32 s6, vcc_lo
	s_cbranch_execz .LBB31_42
; %bb.41:
	v_mov_b32_e32 v1, -1
	ds_store_b32 v89, v1 offset:32
.LBB31_42:
	s_or_b32 exec_lo, exec_lo, s6
	v_add_nc_u32_e32 v93, 8, v88
	s_mul_i32 s28, s28, s35
	s_delay_alu instid0(VALU_DEP_1) | instskip(NEXT) | instid1(VALU_DEP_1)
	v_add_nc_u32_e32 v1, s12, v93
	v_cmp_gt_i32_e64 s6, s17, v1
	s_delay_alu instid0(VALU_DEP_1)
	s_and_saveexec_b32 s29, s6
	s_cbranch_execz .LBB31_50
; %bb.43:
	s_and_saveexec_b32 s30, s8
	s_cbranch_execz .LBB31_49
; %bb.44:
	v_mul_lo_u32 v1, v93, s23
	v_mov_b32_e32 v6, v80
	s_lshl_b32 s37, s22, 5
	s_mov_b32 s31, 0
	s_delay_alu instid0(VALU_DEP_2) | instskip(NEXT) | instid1(VALU_DEP_1)
	v_ashrrev_i32_e32 v2, 31, v1
	v_lshlrev_b64 v[4:5], 2, v[1:2]
	v_mul_lo_u32 v1, v80, s22
	s_delay_alu instid0(VALU_DEP_2) | instskip(NEXT) | instid1(VALU_DEP_1)
	v_add_co_u32 v4, s7, s14, v4
	v_add_co_ci_u32_e64 v5, s7, s36, v5, s7
	s_set_inst_prefetch_distance 0x1
	s_branch .LBB31_46
	.p2align	6
.LBB31_45:                              ;   in Loop: Header=BB31_46 Depth=1
	s_or_b32 exec_lo, exec_lo, s38
	v_add_nc_u32_e32 v6, 32, v6
	s_xor_b32 s7, s7, -1
	v_add_nc_u32_e32 v1, s37, v1
	s_delay_alu instid0(VALU_DEP_2) | instskip(NEXT) | instid1(VALU_DEP_1)
	v_cmp_le_i32_e64 s9, s18, v6
	s_or_b32 s7, s7, s9
	s_delay_alu instid0(SALU_CYCLE_1) | instskip(NEXT) | instid1(SALU_CYCLE_1)
	s_and_b32 s7, exec_lo, s7
	s_or_b32 s31, s7, s31
	s_delay_alu instid0(SALU_CYCLE_1)
	s_and_not1_b32 exec_lo, exec_lo, s31
	s_cbranch_execz .LBB31_48
.LBB31_46:                              ; =>This Inner Loop Header: Depth=1
	s_delay_alu instid0(VALU_DEP_3) | instskip(SKIP_1) | instid1(VALU_DEP_1)
	v_ashrrev_i32_e32 v2, 31, v1
	s_mov_b32 s38, exec_lo
	v_lshlrev_b64 v[7:8], 2, v[1:2]
	s_delay_alu instid0(VALU_DEP_1) | instskip(NEXT) | instid1(VALU_DEP_1)
	v_add_co_u32 v7, s7, v4, v7
	v_add_co_ci_u32_e64 v8, s7, v5, v8, s7
	global_load_b32 v2, v[7:8], off
	s_waitcnt vmcnt(0)
	v_cmp_ne_u32_e64 s7, s34, v2
	v_cmpx_eq_u32_e64 s34, v2
	s_cbranch_execz .LBB31_45
; %bb.47:                               ;   in Loop: Header=BB31_46 Depth=1
	v_mov_b32_e32 v3, 1
	ds_store_b32 v89, v6 offset:32
	s_branch .LBB31_45
.LBB31_48:
	s_set_inst_prefetch_distance 0x2
	s_or_b32 exec_lo, exec_lo, s31
.LBB31_49:
	s_delay_alu instid0(SALU_CYCLE_1)
	s_or_b32 exec_lo, exec_lo, s30
.LBB31_50:
	s_delay_alu instid0(SALU_CYCLE_1)
	s_or_b32 exec_lo, exec_lo, s29
	s_mul_hi_u32 s9, s35, s28
	s_and_saveexec_b32 s7, vcc_lo
	s_cbranch_execz .LBB31_52
; %bb.51:
	v_mov_b32_e32 v1, -1
	ds_store_b32 v89, v1 offset:40
.LBB31_52:
	s_or_b32 exec_lo, exec_lo, s7
	s_load_b128 s[28:31], s[0:1], 0x54
	v_add_nc_u32_e32 v94, 10, v88
	s_waitcnt lgkmcnt(0)
	s_abs_i32 s31, s15
	s_add_i32 s35, s35, s9
	s_delay_alu instid0(VALU_DEP_1) | instskip(NEXT) | instid1(VALU_DEP_1)
	v_add_nc_u32_e32 v1, s12, v94
	v_cmp_gt_i32_e64 s7, s17, v1
	s_delay_alu instid0(VALU_DEP_1)
	s_and_saveexec_b32 s9, s7
	s_cbranch_execz .LBB31_60
; %bb.53:
	s_and_saveexec_b32 s37, s8
	s_cbranch_execz .LBB31_59
; %bb.54:
	v_mul_lo_u32 v1, v94, s23
	v_mov_b32_e32 v6, v80
	s_delay_alu instid0(VALU_DEP_2) | instskip(NEXT) | instid1(VALU_DEP_1)
	v_ashrrev_i32_e32 v2, 31, v1
	v_lshlrev_b64 v[4:5], 2, v[1:2]
	v_mul_lo_u32 v1, v80, s22
	s_lshl_b32 s22, s22, 5
	s_delay_alu instid0(VALU_DEP_2) | instskip(NEXT) | instid1(VALU_DEP_3)
	v_add_co_u32 v4, vcc_lo, s14, v4
	v_add_co_ci_u32_e32 v5, vcc_lo, s36, v5, vcc_lo
	s_mov_b32 s14, 0
	s_set_inst_prefetch_distance 0x1
	s_branch .LBB31_56
	.p2align	6
.LBB31_55:                              ;   in Loop: Header=BB31_56 Depth=1
	s_or_b32 exec_lo, exec_lo, s23
	v_add_nc_u32_e32 v6, 32, v6
	s_xor_b32 s23, vcc_lo, -1
	v_add_nc_u32_e32 v1, s22, v1
	s_delay_alu instid0(VALU_DEP_2) | instskip(NEXT) | instid1(VALU_DEP_1)
	v_cmp_le_i32_e64 s8, s18, v6
	s_or_b32 s8, s23, s8
	s_delay_alu instid0(SALU_CYCLE_1) | instskip(NEXT) | instid1(SALU_CYCLE_1)
	s_and_b32 s8, exec_lo, s8
	s_or_b32 s14, s8, s14
	s_delay_alu instid0(SALU_CYCLE_1)
	s_and_not1_b32 exec_lo, exec_lo, s14
	s_cbranch_execz .LBB31_58
.LBB31_56:                              ; =>This Inner Loop Header: Depth=1
	s_delay_alu instid0(VALU_DEP_3) | instskip(SKIP_1) | instid1(VALU_DEP_1)
	v_ashrrev_i32_e32 v2, 31, v1
	s_mov_b32 s23, exec_lo
	v_lshlrev_b64 v[7:8], 2, v[1:2]
	s_delay_alu instid0(VALU_DEP_1) | instskip(NEXT) | instid1(VALU_DEP_2)
	v_add_co_u32 v7, vcc_lo, v4, v7
	v_add_co_ci_u32_e32 v8, vcc_lo, v5, v8, vcc_lo
	global_load_b32 v2, v[7:8], off
	s_waitcnt vmcnt(0)
	v_cmp_ne_u32_e32 vcc_lo, s34, v2
	v_cmpx_eq_u32_e64 s34, v2
	s_cbranch_execz .LBB31_55
; %bb.57:                               ;   in Loop: Header=BB31_56 Depth=1
	v_mov_b32_e32 v3, 1
	ds_store_b32 v89, v6 offset:40
	s_branch .LBB31_55
.LBB31_58:
	s_set_inst_prefetch_distance 0x2
	s_or_b32 exec_lo, exec_lo, s14
.LBB31_59:
	s_delay_alu instid0(SALU_CYCLE_1)
	s_or_b32 exec_lo, exec_lo, s37
.LBB31_60:
	s_delay_alu instid0(SALU_CYCLE_1)
	s_or_b32 exec_lo, exec_lo, s9
	v_cmp_ne_u32_e32 vcc_lo, 0, v3
	s_load_b64 s[36:37], s[10:11], 0xc
	s_clause 0x1
	s_load_b128 s[8:11], s[0:1], 0x0
	s_load_b64 s[22:23], s[0:1], 0x18
	v_cndmask_b32_e64 v1, 0, 1, vcc_lo
	s_delay_alu instid0(VALU_DEP_1) | instskip(NEXT) | instid1(VALU_DEP_1)
	v_or_b32_dpp v1, v1, v1 row_shl:1 row_mask:0xf bank_mask:0xf bound_ctrl:1
	v_or_b32_dpp v1, v1, v1 row_shl:2 row_mask:0xf bank_mask:0xf bound_ctrl:1
	s_delay_alu instid0(VALU_DEP_1)
	v_or_b32_dpp v1, v1, v1 row_shl:4 row_mask:0xf bank_mask:0xf bound_ctrl:1
	s_waitcnt lgkmcnt(0)
	s_lshr_b32 s14, s36, 16
	s_and_b32 s0, s36, 0xffff
	s_and_b32 s18, s37, 0xffff
	s_mul_i32 s1, s14, s0
	v_or_b32_dpp v1, v1, v1 row_shl:8 row_mask:0xf bank_mask:0xf bound_ctrl:1
	s_bfe_i32 s1, s1, 0x180000
	s_delay_alu instid0(SALU_CYCLE_1) | instskip(NEXT) | instid1(SALU_CYCLE_1)
	s_mul_i32 s1, s1, s18
	s_add_i32 s1, s1, 31
	s_delay_alu instid0(VALU_DEP_1) | instskip(SKIP_1) | instid1(SALU_CYCLE_1)
	v_mov_b32_dpp v1, v1 row_share:0 row_mask:0xf bank_mask:0xf bound_ctrl:1
	s_and_not1_b32 s1, s1, 31
	s_cmp_lg_u32 s1, 32
	s_mul_hi_u32 s1, s31, s35
	s_delay_alu instid0(VALU_DEP_1) | instskip(NEXT) | instid1(VALU_DEP_1)
	v_permlanex16_b32 v2, v1, 0, 0 op_sel:[0,1]
	v_or_b32_e32 v2, v2, v1
	s_cbranch_scc0 .LBB31_69
; %bb.61:
	v_bfe_u32 v0, v0, 20, 10
	s_delay_alu instid0(VALU_DEP_1) | instskip(NEXT) | instid1(VALU_DEP_1)
	v_mad_u32_u24 v3, v0, s14, v88
	v_mad_u64_u32 v[0:1], null, v3, s0, v[80:81]
	v_mbcnt_lo_u32_b32 v1, -1, 0
	s_mov_b32 s0, exec_lo
	s_delay_alu instid0(VALU_DEP_2) | instskip(NEXT) | instid1(VALU_DEP_1)
	v_lshrrev_b32_e32 v3, 5, v0
	v_or_b32_e32 v3, v1, v3
	s_delay_alu instid0(VALU_DEP_1)
	v_cmpx_eq_u32_e32 0, v3
	s_cbranch_execz .LBB31_63
; %bb.62:
	v_mov_b32_e32 v3, 0
	ds_store_b32 v3, v2
.LBB31_63:
	s_or_b32 exec_lo, exec_lo, s0
	v_cmp_eq_u32_e32 vcc_lo, 0, v1
	v_cmp_lt_u32_e64 s0, 31, v0
	s_mov_b32 s14, 0
	s_waitcnt lgkmcnt(0)
	s_barrier
	buffer_gl0_inv
	s_and_b32 s18, s0, vcc_lo
	s_delay_alu instid0(SALU_CYCLE_1)
	s_and_saveexec_b32 s0, s18
	s_cbranch_execz .LBB31_68
; %bb.64:
	s_mov_b32 s18, exec_lo
.LBB31_65:                              ; =>This Inner Loop Header: Depth=1
	s_delay_alu instid0(SALU_CYCLE_1) | instskip(NEXT) | instid1(SALU_CYCLE_1)
	s_ctz_i32_b32 s35, s18
	v_readlane_b32 s36, v2, s35
	s_lshl_b32 s35, 1, s35
	s_delay_alu instid0(SALU_CYCLE_1) | instskip(NEXT) | instid1(VALU_DEP_1)
	s_and_not1_b32 s18, s18, s35
	s_or_b32 s14, s14, s36
	s_cmp_lg_u32 s18, 0
	s_cbranch_scc1 .LBB31_65
; %bb.66:
	v_mbcnt_lo_u32_b32 v0, exec_lo, 0
	s_mov_b32 s18, exec_lo
	s_delay_alu instid0(VALU_DEP_1)
	v_cmpx_eq_u32_e32 0, v0
	s_xor_b32 s18, exec_lo, s18
	s_cbranch_execz .LBB31_68
; %bb.67:
	v_dual_mov_b32 v0, 0 :: v_dual_mov_b32 v1, s14
	ds_or_b32 v0, v1
.LBB31_68:
	s_or_b32 exec_lo, exec_lo, s0
	v_mov_b32_e32 v0, 0
	s_waitcnt lgkmcnt(0)
	s_barrier
	buffer_gl0_inv
	ds_load_b32 v2, v0
	s_waitcnt lgkmcnt(0)
	s_barrier
	buffer_gl0_inv
.LBB31_69:
	s_ashr_i32 s0, s15, 31
	s_ashr_i32 s18, s27, 31
	s_mov_b32 s14, exec_lo
	v_cmpx_ne_u32_e32 0, v2
	s_cbranch_execz .LBB31_132
; %bb.70:
	v_lshlrev_b32_e32 v95, 5, v88
	v_and_b32_e32 v96, 15, v80
	s_mov_b32 s14, exec_lo
                                        ; implicit-def: $sgpr27
	s_delay_alu instid0(VALU_DEP_2) | instskip(NEXT) | instid1(VALU_DEP_1)
	v_add_nc_u32_e32 v97, v95, v80
	v_cmpx_le_i32_e64 s16, v97
	s_xor_b32 s14, exec_lo, s14
; %bb.71:
	v_and_b32_e32 v96, 15, v80
	s_mov_b32 s27, 0
                                        ; implicit-def: $vgpr97
; %bb.72:
	s_or_saveexec_b32 s14, s14
	v_dual_mov_b32 v15, s27 :: v_dual_mov_b32 v14, s27
	v_dual_mov_b32 v13, s27 :: v_dual_mov_b32 v12, s27
	v_dual_mov_b32 v11, s27 :: v_dual_mov_b32 v10, s27
	v_dual_mov_b32 v9, s27 :: v_dual_mov_b32 v8, s27
	v_dual_mov_b32 v7, s27 :: v_dual_mov_b32 v6, s27
	v_dual_mov_b32 v5, s27 :: v_dual_mov_b32 v4, s27
	v_dual_mov_b32 v3, s27 :: v_dual_mov_b32 v2, s27
	v_dual_mov_b32 v1, s27 :: v_dual_mov_b32 v0, s27
	s_lshl_b32 s13, s13, 5
	s_xor_b32 exec_lo, exec_lo, s14
	s_cbranch_execz .LBB31_109
; %bb.73:
	s_mul_i32 s27, s1, s33
	s_xor_b32 s18, s0, s18
	s_sub_i32 s0, s31, s27
	s_add_i32 s27, s1, 1
	s_sub_i32 s31, s0, s33
	s_cmp_ge_u32 s0, s33
	s_mul_hi_i32 s39, s29, s15
	s_cselect_b32 s1, s27, s1
	s_cselect_b32 s0, s31, s0
	s_add_i32 s27, s1, 1
	s_cmp_ge_u32 s0, s33
	s_mul_i32 s38, s29, s15
	s_cselect_b32 s0, s27, s1
	v_dual_mov_b32 v99, 0 :: v_dual_lshlrev_b32 v2, 1, v80
	s_xor_b32 s1, s0, s18
	s_mul_i32 s0, s34, s24
	s_sub_i32 s1, s1, s18
	s_mul_i32 s34, s13, s19
	s_mul_hi_i32 s37, s1, s28
	s_mul_i32 s36, s1, s28
	s_ashr_i32 s1, s0, 31
	s_lshl_b64 s[44:45], s[36:37], 2
	v_lshl_add_u32 v81, v88, 6, v2
	s_add_u32 s18, s8, s44
	s_addc_u32 s24, s9, s45
	s_lshl_b64 s[46:47], s[0:1], 2
	s_mul_hi_i32 s1, s20, s12
	s_add_u32 s18, s18, s46
	s_addc_u32 s24, s24, s47
	s_ashr_i32 s35, s34, 31
	s_mul_i32 s0, s20, s12
	s_lshl_b64 s[48:49], s[34:35], 2
	v_dual_mov_b32 v101, 0x100 :: v_dual_lshlrev_b32 v2, 2, v97
	s_add_u32 s18, s18, s48
	s_addc_u32 s24, s24, s49
	s_lshl_b64 s[28:29], s[38:39], 2
	s_lshl_b64 s[0:1], s[0:1], 3
	s_add_u32 s10, s10, s28
	s_addc_u32 s11, s11, s29
	s_add_u32 s10, s10, s0
	s_addc_u32 s11, s11, s1
	s_cmp_lt_i32 s12, s17
	s_movk_i32 s1, 0x900
	s_cselect_b32 s27, -1, 0
	s_add_i32 s0, s12, 1
	v_mad_u32_u24 v1, v88, s1, 0x100
	s_cmp_lt_i32 s0, s17
	v_mul_u32_u24_e32 v0, 0x90, v96
	s_cselect_b32 s28, -1, 0
	s_add_i32 s0, s12, 2
	v_lshl_add_u32 v98, v80, 2, v1
	s_cmp_lt_i32 s0, s17
	v_dual_mov_b32 v1, v99 :: v_dual_add_nc_u32 v100, v1, v0
	s_cselect_b32 s29, -1, 0
	s_add_i32 s0, s12, 3
	s_lshl_b32 s31, s20, 2
	s_cmp_lt_i32 s0, s17
	v_dual_mov_b32 v0, 0 :: v_dual_mov_b32 v3, v99
	s_cselect_b32 s33, -1, 0
	s_add_i32 s0, s12, 4
	v_mov_b32_e32 v4, v99
	s_cmp_lt_i32 s0, s17
	v_dual_mov_b32 v5, v99 :: v_dual_mov_b32 v8, 0
	s_cselect_b32 s34, -1, 0
	s_add_i32 s0, s12, 5
	s_lshl_b32 s35, s20, 3
	s_cmp_lt_i32 s0, s17
	v_mov_b32_e32 v6, v99
	s_cselect_b32 s36, -1, 0
	s_add_i32 s0, s12, 6
	v_mov_b32_e32 v7, v99
	s_cmp_lt_i32 s0, s17
	v_mov_b32_e32 v9, v99
	s_cselect_b32 s37, -1, 0
	s_add_i32 s0, s12, 7
	v_mov_b32_e32 v10, v99
	;; [unrolled: 5-line block ×3, first 2 shown]
	s_cmp_lt_i32 s0, s17
	v_mov_b32_e32 v13, v99
	s_cselect_b32 s41, -1, 0
	s_add_i32 s0, s12, 9
	s_lshl_b32 s42, s20, 4
	s_cmp_lt_i32 s0, s17
	v_mov_b32_e32 v14, v99
	s_cselect_b32 s43, -1, 0
	s_add_i32 s0, s12, 10
	v_mov_b32_e32 v15, v99
	s_cmp_lt_i32 s0, s17
	s_mov_b32 s0, s19
	s_cselect_b32 s17, -1, 0
	s_ashr_i32 s1, s19, 31
	s_mul_i32 s39, s20, 6
	s_lshl_b64 s[0:1], s[0:1], 2
	s_add_u32 s44, s44, s48
	s_addc_u32 s45, s45, s49
	s_add_u32 s44, s44, s46
	s_addc_u32 s45, s45, s47
	;; [unrolled: 2-line block ×3, first 2 shown]
	v_add_co_u32 v82, s8, s8, v2
	s_delay_alu instid0(VALU_DEP_1)
	v_add_co_ci_u32_e64 v83, null, s9, 0, s8
	v_mov_b32_e32 v2, v99
	s_mul_i32 s40, s20, 10
	s_mul_i32 s8, s20, 20
	;; [unrolled: 1-line block ×5, first 2 shown]
	s_lshl_b32 s20, s20, 1
	s_lshl_b32 s46, s19, 1
	s_mul_i32 s47, s19, 3
	s_lshl_b32 s48, s19, 2
	s_mul_i32 s49, s19, 5
	s_mul_i32 s50, s19, 6
	;; [unrolled: 1-line block ×3, first 2 shown]
	s_lshl_b32 s52, s19, 3
	s_mul_i32 s53, s19, 9
	s_mul_i32 s54, s19, 10
	;; [unrolled: 1-line block ×7, first 2 shown]
	s_lshl_b32 s60, s19, 4
	s_mul_i32 s61, s19, 17
	s_mul_i32 s62, s19, 18
	;; [unrolled: 1-line block ×15, first 2 shown]
	s_mov_b32 s19, 0
	s_branch .LBB31_75
.LBB31_74:                              ;   in Loop: Header=BB31_75 Depth=1
	s_waitcnt vmcnt(0)
	v_cvt_f16_f32_e32 v84, v84
	v_cvt_f16_f32_e32 v85, v85
	v_add_nc_u32_e32 v97, 64, v97
	v_add_co_u32 v82, vcc_lo, 0x100, v82
	v_add_co_ci_u32_e32 v83, vcc_lo, 0, v83, vcc_lo
	s_delay_alu instid0(VALU_DEP_4)
	v_pack_b32_f16 v84, v84, v85
	v_add_nc_u32_e32 v85, 0x400, v98
	v_cmp_le_i32_e32 vcc_lo, s16, v97
	ds_store_2addr_b32 v85, v84, v99 offset0:120 offset1:156
	ds_store_2addr_b32 v85, v99, v99 offset0:192 offset1:228
	v_add_nc_u32_e32 v84, 0x800, v98
	v_add_nc_u32_e32 v81, 0x80, v81
	s_or_b32 s19, vcc_lo, s19
	ds_store_2addr_b32 v84, v99, v99 offset0:8 offset1:44
	ds_load_b128 v[102:105], v100 offset:64
	ds_load_b128 v[106:109], v100 offset:80
	;; [unrolled: 1-line block ×4, first 2 shown]
	s_waitcnt lgkmcnt(2)
	v_wmma_f32_16x16x16_f16 v[8:15], v[56:63], v[102:109], v[8:15]
	v_wmma_f32_16x16x16_f16 v[0:7], v[72:79], v[102:109], v[0:7]
	s_waitcnt lgkmcnt(0)
	s_delay_alu instid0(VALU_DEP_2)
	v_wmma_f32_16x16x16_f16 v[8:15], v[48:55], v[110:117], v[8:15]
	ds_load_b128 v[48:51], v100 offset:128
	ds_load_b128 v[52:55], v100 offset:144
	v_wmma_f32_16x16x16_f16 v[0:7], v[64:71], v[110:117], v[0:7]
	s_waitcnt lgkmcnt(0)
	v_wmma_f32_16x16x16_f16 v[8:15], v[32:39], v[48:55], v[8:15]
	ds_load_b128 v[32:35], v100 offset:160
	ds_load_b128 v[36:39], v100 offset:176
	v_wmma_f32_16x16x16_f16 v[0:7], v[40:47], v[48:55], v[0:7]
	s_waitcnt lgkmcnt(0)
	v_wmma_f32_16x16x16_f16 v[8:15], v[16:23], v[32:39], v[8:15]
	s_delay_alu instid0(VALU_DEP_2)
	v_wmma_f32_16x16x16_f16 v[0:7], v[24:31], v[32:39], v[0:7]
	s_and_not1_b32 exec_lo, exec_lo, s19
	s_cbranch_execz .LBB31_108
.LBB31_75:                              ; =>This Inner Loop Header: Depth=1
	v_dual_mov_b32 v85, 0 :: v_dual_add_nc_u32 v16, s46, v97
	v_add_nc_u32_e32 v22, s48, v97
	v_add_nc_u32_e32 v18, s47, v97
	v_add_co_u32 v20, vcc_lo, v82, s0
	s_delay_alu instid0(VALU_DEP_4)
	v_ashrrev_i32_e32 v17, 31, v16
	v_add_co_ci_u32_e32 v21, vcc_lo, s1, v83, vcc_lo
	v_ashrrev_i32_e32 v23, 31, v22
	v_ashrrev_i32_e32 v19, 31, v18
	v_add_nc_u32_e32 v24, s49, v97
	v_lshlrev_b64 v[16:17], 2, v[16:17]
	s_clause 0x1
	global_load_b32 v38, v[82:83], off
	global_load_b32 v39, v[20:21], off
	v_lshlrev_b64 v[20:21], 2, v[22:23]
	v_add_nc_u32_e32 v22, s50, v97
	v_lshlrev_b64 v[18:19], 2, v[18:19]
	v_ashrrev_i32_e32 v25, 31, v24
	v_add_nc_u32_e32 v26, s51, v97
	v_add_co_u32 v16, vcc_lo, s18, v16
	v_ashrrev_i32_e32 v23, 31, v22
	v_add_co_ci_u32_e32 v17, vcc_lo, s24, v17, vcc_lo
	v_add_nc_u32_e32 v28, s52, v97
	v_add_co_u32 v18, vcc_lo, s18, v18
	v_lshlrev_b64 v[24:25], 2, v[24:25]
	v_ashrrev_i32_e32 v27, 31, v26
	v_add_co_ci_u32_e32 v19, vcc_lo, s24, v19, vcc_lo
	v_add_nc_u32_e32 v30, s53, v97
	v_add_co_u32 v20, vcc_lo, s18, v20
	v_lshlrev_b64 v[22:23], 2, v[22:23]
	v_ashrrev_i32_e32 v29, 31, v28
	v_add_co_ci_u32_e32 v21, vcc_lo, s24, v21, vcc_lo
	v_add_co_u32 v24, vcc_lo, s18, v24
	v_lshlrev_b64 v[26:27], 2, v[26:27]
	v_ashrrev_i32_e32 v31, 31, v30
	v_add_co_ci_u32_e32 v25, vcc_lo, s24, v25, vcc_lo
	v_add_co_u32 v22, vcc_lo, s18, v22
	v_lshlrev_b64 v[28:29], 2, v[28:29]
	v_add_co_ci_u32_e32 v23, vcc_lo, s24, v23, vcc_lo
	v_add_nc_u32_e32 v32, s54, v97
	v_add_co_u32 v26, vcc_lo, s18, v26
	v_lshlrev_b64 v[30:31], 2, v[30:31]
	v_add_co_ci_u32_e32 v27, vcc_lo, s24, v27, vcc_lo
	v_add_nc_u32_e32 v34, s55, v97
	v_add_co_u32 v28, vcc_lo, s18, v28
	v_ashrrev_i32_e32 v33, 31, v32
	v_add_co_ci_u32_e32 v29, vcc_lo, s24, v29, vcc_lo
	v_add_nc_u32_e32 v36, s56, v97
	v_add_co_u32 v30, vcc_lo, s18, v30
	v_ashrrev_i32_e32 v35, 31, v34
	v_add_co_ci_u32_e32 v31, vcc_lo, s24, v31, vcc_lo
	s_clause 0x7
	global_load_b32 v40, v[16:17], off
	global_load_b32 v41, v[18:19], off
	global_load_b32 v42, v[20:21], off
	global_load_b32 v43, v[24:25], off
	global_load_b32 v44, v[22:23], off
	global_load_b32 v45, v[26:27], off
	global_load_b32 v46, v[28:29], off
	global_load_b32 v47, v[30:31], off
	v_add_nc_u32_e32 v18, s57, v97
	v_lshlrev_b64 v[32:33], 2, v[32:33]
	v_ashrrev_i32_e32 v37, 31, v36
	v_add_nc_u32_e32 v24, s58, v97
	v_lshlrev_b64 v[16:17], 2, v[34:35]
	v_ashrrev_i32_e32 v19, 31, v18
	v_add_nc_u32_e32 v26, s59, v97
	v_add_co_u32 v20, vcc_lo, s18, v32
	v_lshlrev_b64 v[22:23], 2, v[36:37]
	v_ashrrev_i32_e32 v25, 31, v24
	v_add_co_ci_u32_e32 v21, vcc_lo, s24, v33, vcc_lo
	v_add_nc_u32_e32 v28, s60, v97
	v_add_co_u32 v16, vcc_lo, s18, v16
	v_lshlrev_b64 v[18:19], 2, v[18:19]
	v_ashrrev_i32_e32 v27, 31, v26
	v_add_co_ci_u32_e32 v17, vcc_lo, s24, v17, vcc_lo
	v_add_nc_u32_e32 v30, s61, v97
	v_add_co_u32 v22, vcc_lo, s18, v22
	v_lshlrev_b64 v[24:25], 2, v[24:25]
	v_ashrrev_i32_e32 v29, 31, v28
	v_add_co_ci_u32_e32 v23, vcc_lo, s24, v23, vcc_lo
	v_add_co_u32 v18, vcc_lo, s18, v18
	v_lshlrev_b64 v[26:27], 2, v[26:27]
	v_ashrrev_i32_e32 v31, 31, v30
	v_add_co_ci_u32_e32 v19, vcc_lo, s24, v19, vcc_lo
	v_add_co_u32 v24, vcc_lo, s18, v24
	v_lshlrev_b64 v[28:29], 2, v[28:29]
	v_add_co_ci_u32_e32 v25, vcc_lo, s24, v25, vcc_lo
	v_add_nc_u32_e32 v32, s62, v97
	v_add_co_u32 v26, vcc_lo, s18, v26
	v_lshlrev_b64 v[30:31], 2, v[30:31]
	v_add_co_ci_u32_e32 v27, vcc_lo, s24, v27, vcc_lo
	v_add_nc_u32_e32 v34, s63, v97
	v_add_co_u32 v28, vcc_lo, s18, v28
	v_ashrrev_i32_e32 v33, 31, v32
	v_add_co_ci_u32_e32 v29, vcc_lo, s24, v29, vcc_lo
	v_add_nc_u32_e32 v36, s64, v97
	v_add_co_u32 v30, vcc_lo, s18, v30
	v_ashrrev_i32_e32 v35, 31, v34
	v_add_co_ci_u32_e32 v31, vcc_lo, s24, v31, vcc_lo
	s_clause 0x7
	global_load_b32 v48, v[20:21], off
	global_load_b32 v49, v[16:17], off
	global_load_b32 v50, v[22:23], off
	global_load_b32 v51, v[18:19], off
	global_load_b32 v52, v[24:25], off
	global_load_b32 v53, v[26:27], off
	global_load_b32 v64, v[28:29], off
	global_load_b32 v65, v[30:31], off
	v_add_nc_u32_e32 v18, s65, v97
	v_lshlrev_b64 v[32:33], 2, v[32:33]
	v_ashrrev_i32_e32 v37, 31, v36
	v_add_nc_u32_e32 v24, s66, v97
	v_lshlrev_b64 v[16:17], 2, v[34:35]
	v_ashrrev_i32_e32 v19, 31, v18
	v_add_nc_u32_e32 v26, s67, v97
	v_add_co_u32 v20, vcc_lo, s18, v32
	v_lshlrev_b64 v[22:23], 2, v[36:37]
	;; [unrolled: 49-line block ×3, first 2 shown]
	v_ashrrev_i32_e32 v25, 31, v24
	v_add_co_ci_u32_e32 v21, vcc_lo, s24, v33, vcc_lo
	v_add_co_u32 v16, vcc_lo, s18, v16
	v_lshlrev_b64 v[18:19], 2, v[18:19]
	v_ashrrev_i32_e32 v27, 31, v26
	v_add_co_ci_u32_e32 v17, vcc_lo, s24, v17, vcc_lo
	v_add_co_u32 v22, vcc_lo, s18, v22
	v_lshlrev_b64 v[24:25], 2, v[24:25]
	v_add_co_ci_u32_e32 v23, vcc_lo, s24, v23, vcc_lo
	v_add_co_u32 v18, vcc_lo, s18, v18
	v_lshlrev_b64 v[26:27], 2, v[26:27]
	v_add_co_ci_u32_e32 v19, vcc_lo, s24, v19, vcc_lo
	v_add_co_u32 v24, vcc_lo, s18, v24
	v_add_co_ci_u32_e32 v25, vcc_lo, s24, v25, vcc_lo
	s_delay_alu instid0(VALU_DEP_4)
	v_add_co_u32 v26, vcc_lo, s18, v26
	v_add_co_ci_u32_e32 v27, vcc_lo, s24, v27, vcc_lo
	s_clause 0x5
	global_load_b32 v30, v[20:21], off
	global_load_b32 v31, v[16:17], off
	;; [unrolled: 1-line block ×6, first 2 shown]
	v_mov_b32_e32 v84, 0
	s_and_not1_b32 vcc_lo, exec_lo, s27
	s_waitcnt vmcnt(31)
	ds_store_b32 v98, v38 offset:64
	s_waitcnt vmcnt(30)
	ds_store_b32 v98, v39 offset:208
	;; [unrolled: 2-line block ×16, first 2 shown]
	ds_load_b128 v[56:59], v100 offset:64
	ds_load_b128 v[60:63], v100 offset:80
	;; [unrolled: 1-line block ×8, first 2 shown]
	s_waitcnt vmcnt(15)
	ds_store_b32 v98, v64 offset:64
	s_waitcnt vmcnt(14)
	ds_store_b32 v98, v65 offset:208
	;; [unrolled: 2-line block ×16, first 2 shown]
	ds_load_b128 v[72:75], v100 offset:64
	ds_load_b128 v[76:79], v100 offset:80
	ds_load_b128 v[64:67], v100 offset:96
	ds_load_b128 v[68:71], v100 offset:112
	ds_load_b128 v[40:43], v100 offset:128
	ds_load_b128 v[44:47], v100 offset:144
	ds_load_b128 v[24:27], v100 offset:160
	ds_load_b128 v[28:31], v100 offset:176
	s_cbranch_vccnz .LBB31_78
; %bb.76:                               ;   in Loop: Header=BB31_75 Depth=1
	ds_load_b32 v86, v101
	v_dual_mov_b32 v84, 0 :: v_dual_mov_b32 v85, 0
	s_waitcnt lgkmcnt(0)
	v_cmp_gt_i32_e32 vcc_lo, 0, v86
	s_cbranch_vccnz .LBB31_78
; %bb.77:                               ;   in Loop: Header=BB31_75 Depth=1
	v_mad_u64_u32 v[84:85], null, v86, s25, v[81:82]
	s_delay_alu instid0(VALU_DEP_1) | instskip(NEXT) | instid1(VALU_DEP_1)
	v_ashrrev_i32_e32 v85, 31, v84
	v_lshlrev_b64 v[84:85], 2, v[84:85]
	s_delay_alu instid0(VALU_DEP_1) | instskip(NEXT) | instid1(VALU_DEP_2)
	v_add_co_u32 v84, vcc_lo, s10, v84
	v_add_co_ci_u32_e32 v85, vcc_lo, s11, v85, vcc_lo
	global_load_b64 v[84:85], v[84:85], off
.LBB31_78:                              ;   in Loop: Header=BB31_75 Depth=1
	s_waitcnt vmcnt(0)
	v_cvt_f16_f32_e32 v84, v84
	v_cvt_f16_f32_e32 v85, v85
	v_mov_b32_e32 v87, 0
	s_and_not1_b32 vcc_lo, exec_lo, s28
	v_mov_b32_e32 v86, 0
	s_delay_alu instid0(VALU_DEP_3)
	v_pack_b32_f16 v84, v84, v85
	v_mov_b32_e32 v85, 0
	ds_store_b32 v98, v84 offset:64
	s_cbranch_vccnz .LBB31_81
; %bb.79:                               ;   in Loop: Header=BB31_75 Depth=1
	ds_load_b32 v84, v101 offset:4
	v_dual_mov_b32 v86, 0 :: v_dual_mov_b32 v87, 0
	s_waitcnt lgkmcnt(0)
	v_cmp_gt_i32_e32 vcc_lo, 0, v84
	s_cbranch_vccnz .LBB31_81
; %bb.80:                               ;   in Loop: Header=BB31_75 Depth=1
	v_mul_lo_u32 v84, v84, s25
	s_delay_alu instid0(VALU_DEP_1) | instskip(NEXT) | instid1(VALU_DEP_1)
	v_add3_u32 v86, v84, s20, v81
	v_ashrrev_i32_e32 v87, 31, v86
	s_delay_alu instid0(VALU_DEP_1) | instskip(NEXT) | instid1(VALU_DEP_1)
	v_lshlrev_b64 v[86:87], 2, v[86:87]
	v_add_co_u32 v86, vcc_lo, s10, v86
	s_delay_alu instid0(VALU_DEP_2)
	v_add_co_ci_u32_e32 v87, vcc_lo, s11, v87, vcc_lo
	global_load_b64 v[86:87], v[86:87], off
.LBB31_81:                              ;   in Loop: Header=BB31_75 Depth=1
	s_waitcnt vmcnt(0)
	v_cvt_f16_f32_e32 v84, v86
	v_cvt_f16_f32_e32 v86, v87
	s_and_not1_b32 vcc_lo, exec_lo, s29
	s_delay_alu instid0(VALU_DEP_1)
	v_pack_b32_f16 v86, v84, v86
	v_mov_b32_e32 v84, 0
	ds_store_b32 v98, v86 offset:208
	s_cbranch_vccnz .LBB31_84
; %bb.82:                               ;   in Loop: Header=BB31_75 Depth=1
	ds_load_b32 v86, v101 offset:8
	v_dual_mov_b32 v84, 0 :: v_dual_mov_b32 v85, 0
	s_waitcnt lgkmcnt(0)
	v_cmp_gt_i32_e32 vcc_lo, 0, v86
	s_cbranch_vccnz .LBB31_84
; %bb.83:                               ;   in Loop: Header=BB31_75 Depth=1
	v_mul_lo_u32 v84, v86, s25
	s_delay_alu instid0(VALU_DEP_1) | instskip(NEXT) | instid1(VALU_DEP_1)
	v_add3_u32 v84, v84, s31, v81
	v_ashrrev_i32_e32 v85, 31, v84
	s_delay_alu instid0(VALU_DEP_1) | instskip(NEXT) | instid1(VALU_DEP_1)
	v_lshlrev_b64 v[84:85], 2, v[84:85]
	v_add_co_u32 v84, vcc_lo, s10, v84
	s_delay_alu instid0(VALU_DEP_2)
	v_add_co_ci_u32_e32 v85, vcc_lo, s11, v85, vcc_lo
	global_load_b64 v[84:85], v[84:85], off
.LBB31_84:                              ;   in Loop: Header=BB31_75 Depth=1
	s_waitcnt vmcnt(0)
	v_cvt_f16_f32_e32 v84, v84
	v_cvt_f16_f32_e32 v85, v85
	v_mov_b32_e32 v87, 0
	s_and_not1_b32 vcc_lo, exec_lo, s33
	v_mov_b32_e32 v86, 0
	s_delay_alu instid0(VALU_DEP_3)
	v_pack_b32_f16 v84, v84, v85
	v_mov_b32_e32 v85, 0
	ds_store_b32 v98, v84 offset:352
	s_cbranch_vccnz .LBB31_87
; %bb.85:                               ;   in Loop: Header=BB31_75 Depth=1
	ds_load_b32 v84, v101 offset:12
	v_dual_mov_b32 v86, 0 :: v_dual_mov_b32 v87, 0
	s_waitcnt lgkmcnt(0)
	v_cmp_gt_i32_e32 vcc_lo, 0, v84
	s_cbranch_vccnz .LBB31_87
; %bb.86:                               ;   in Loop: Header=BB31_75 Depth=1
	v_mul_lo_u32 v84, v84, s25
	s_delay_alu instid0(VALU_DEP_1) | instskip(NEXT) | instid1(VALU_DEP_1)
	v_add3_u32 v86, v84, s39, v81
	v_ashrrev_i32_e32 v87, 31, v86
	s_delay_alu instid0(VALU_DEP_1) | instskip(NEXT) | instid1(VALU_DEP_1)
	v_lshlrev_b64 v[86:87], 2, v[86:87]
	v_add_co_u32 v86, vcc_lo, s10, v86
	s_delay_alu instid0(VALU_DEP_2)
	v_add_co_ci_u32_e32 v87, vcc_lo, s11, v87, vcc_lo
	global_load_b64 v[86:87], v[86:87], off
.LBB31_87:                              ;   in Loop: Header=BB31_75 Depth=1
	s_waitcnt vmcnt(0)
	v_cvt_f16_f32_e32 v84, v86
	v_cvt_f16_f32_e32 v86, v87
	s_and_not1_b32 vcc_lo, exec_lo, s34
	s_delay_alu instid0(VALU_DEP_1)
	v_pack_b32_f16 v86, v84, v86
	v_mov_b32_e32 v84, 0
	ds_store_b32 v98, v86 offset:496
	s_cbranch_vccnz .LBB31_90
; %bb.88:                               ;   in Loop: Header=BB31_75 Depth=1
	ds_load_b32 v86, v101 offset:16
	v_dual_mov_b32 v84, 0 :: v_dual_mov_b32 v85, 0
	s_waitcnt lgkmcnt(0)
	v_cmp_gt_i32_e32 vcc_lo, 0, v86
	s_cbranch_vccnz .LBB31_90
; %bb.89:                               ;   in Loop: Header=BB31_75 Depth=1
	v_mul_lo_u32 v84, v86, s25
	s_delay_alu instid0(VALU_DEP_1) | instskip(NEXT) | instid1(VALU_DEP_1)
	v_add3_u32 v84, v84, s35, v81
	v_ashrrev_i32_e32 v85, 31, v84
	s_delay_alu instid0(VALU_DEP_1) | instskip(NEXT) | instid1(VALU_DEP_1)
	v_lshlrev_b64 v[84:85], 2, v[84:85]
	v_add_co_u32 v84, vcc_lo, s10, v84
	s_delay_alu instid0(VALU_DEP_2)
	v_add_co_ci_u32_e32 v85, vcc_lo, s11, v85, vcc_lo
	global_load_b64 v[84:85], v[84:85], off
.LBB31_90:                              ;   in Loop: Header=BB31_75 Depth=1
	;; [unrolled: 56-line block ×3, first 2 shown]
	s_waitcnt vmcnt(0)
	v_cvt_f16_f32_e32 v84, v84
	v_cvt_f16_f32_e32 v85, v85
	v_mov_b32_e32 v87, 0
	s_and_not1_b32 vcc_lo, exec_lo, s38
	v_mov_b32_e32 v86, 0
	s_delay_alu instid0(VALU_DEP_3)
	v_pack_b32_f16 v84, v84, v85
	v_mov_b32_e32 v85, 0
	ds_store_b32 v98, v84 offset:928
	s_cbranch_vccnz .LBB31_99
; %bb.97:                               ;   in Loop: Header=BB31_75 Depth=1
	ds_load_b32 v84, v101 offset:28
	v_dual_mov_b32 v86, 0 :: v_dual_mov_b32 v87, 0
	s_waitcnt lgkmcnt(0)
	v_cmp_gt_i32_e32 vcc_lo, 0, v84
	s_cbranch_vccnz .LBB31_99
; %bb.98:                               ;   in Loop: Header=BB31_75 Depth=1
	v_mul_lo_u32 v84, v84, s25
	s_delay_alu instid0(VALU_DEP_1) | instskip(NEXT) | instid1(VALU_DEP_1)
	v_add3_u32 v86, v84, s44, v81
	v_ashrrev_i32_e32 v87, 31, v86
	s_delay_alu instid0(VALU_DEP_1) | instskip(NEXT) | instid1(VALU_DEP_1)
	v_lshlrev_b64 v[86:87], 2, v[86:87]
	v_add_co_u32 v86, vcc_lo, s10, v86
	s_delay_alu instid0(VALU_DEP_2)
	v_add_co_ci_u32_e32 v87, vcc_lo, s11, v87, vcc_lo
	global_load_b64 v[86:87], v[86:87], off
.LBB31_99:                              ;   in Loop: Header=BB31_75 Depth=1
	s_waitcnt vmcnt(0)
	v_cvt_f16_f32_e32 v84, v86
	v_cvt_f16_f32_e32 v86, v87
	s_and_not1_b32 vcc_lo, exec_lo, s41
	s_delay_alu instid0(VALU_DEP_1)
	v_pack_b32_f16 v86, v84, v86
	v_mov_b32_e32 v84, 0
	ds_store_b32 v98, v86 offset:1072
	s_cbranch_vccnz .LBB31_102
; %bb.100:                              ;   in Loop: Header=BB31_75 Depth=1
	ds_load_b32 v86, v101 offset:32
	v_dual_mov_b32 v84, 0 :: v_dual_mov_b32 v85, 0
	s_waitcnt lgkmcnt(0)
	v_cmp_gt_i32_e32 vcc_lo, 0, v86
	s_cbranch_vccnz .LBB31_102
; %bb.101:                              ;   in Loop: Header=BB31_75 Depth=1
	v_mul_lo_u32 v84, v86, s25
	s_delay_alu instid0(VALU_DEP_1) | instskip(NEXT) | instid1(VALU_DEP_1)
	v_add3_u32 v84, v84, s42, v81
	v_ashrrev_i32_e32 v85, 31, v84
	s_delay_alu instid0(VALU_DEP_1) | instskip(NEXT) | instid1(VALU_DEP_1)
	v_lshlrev_b64 v[84:85], 2, v[84:85]
	v_add_co_u32 v84, vcc_lo, s10, v84
	s_delay_alu instid0(VALU_DEP_2)
	v_add_co_ci_u32_e32 v85, vcc_lo, s11, v85, vcc_lo
	global_load_b64 v[84:85], v[84:85], off
.LBB31_102:                             ;   in Loop: Header=BB31_75 Depth=1
	s_waitcnt vmcnt(0)
	v_cvt_f16_f32_e32 v84, v84
	v_cvt_f16_f32_e32 v85, v85
	v_mov_b32_e32 v87, 0
	s_and_not1_b32 vcc_lo, exec_lo, s43
	v_mov_b32_e32 v86, 0
	s_delay_alu instid0(VALU_DEP_3)
	v_pack_b32_f16 v84, v84, v85
	v_mov_b32_e32 v85, 0
	ds_store_b32 v98, v84 offset:1216
	s_cbranch_vccnz .LBB31_105
; %bb.103:                              ;   in Loop: Header=BB31_75 Depth=1
	ds_load_b32 v84, v101 offset:36
	v_dual_mov_b32 v86, 0 :: v_dual_mov_b32 v87, 0
	s_waitcnt lgkmcnt(0)
	v_cmp_gt_i32_e32 vcc_lo, 0, v84
	s_cbranch_vccnz .LBB31_105
; %bb.104:                              ;   in Loop: Header=BB31_75 Depth=1
	v_mul_lo_u32 v84, v84, s25
	s_delay_alu instid0(VALU_DEP_1) | instskip(NEXT) | instid1(VALU_DEP_1)
	v_add3_u32 v86, v84, s9, v81
	v_ashrrev_i32_e32 v87, 31, v86
	s_delay_alu instid0(VALU_DEP_1) | instskip(NEXT) | instid1(VALU_DEP_1)
	v_lshlrev_b64 v[86:87], 2, v[86:87]
	v_add_co_u32 v86, vcc_lo, s10, v86
	s_delay_alu instid0(VALU_DEP_2)
	v_add_co_ci_u32_e32 v87, vcc_lo, s11, v87, vcc_lo
	global_load_b64 v[86:87], v[86:87], off
.LBB31_105:                             ;   in Loop: Header=BB31_75 Depth=1
	s_waitcnt vmcnt(0)
	v_cvt_f16_f32_e32 v84, v86
	v_cvt_f16_f32_e32 v86, v87
	s_and_not1_b32 vcc_lo, exec_lo, s17
	s_delay_alu instid0(VALU_DEP_1)
	v_pack_b32_f16 v86, v84, v86
	v_mov_b32_e32 v84, 0
	ds_store_b32 v98, v86 offset:1360
	s_cbranch_vccnz .LBB31_74
; %bb.106:                              ;   in Loop: Header=BB31_75 Depth=1
	ds_load_b32 v86, v101 offset:40
	v_dual_mov_b32 v84, 0 :: v_dual_mov_b32 v85, 0
	s_waitcnt lgkmcnt(0)
	v_cmp_gt_i32_e32 vcc_lo, 0, v86
	s_cbranch_vccnz .LBB31_74
; %bb.107:                              ;   in Loop: Header=BB31_75 Depth=1
	v_mul_lo_u32 v84, v86, s25
	s_delay_alu instid0(VALU_DEP_1) | instskip(NEXT) | instid1(VALU_DEP_1)
	v_add3_u32 v84, v84, s8, v81
	v_ashrrev_i32_e32 v85, 31, v84
	s_delay_alu instid0(VALU_DEP_1) | instskip(NEXT) | instid1(VALU_DEP_1)
	v_lshlrev_b64 v[84:85], 2, v[84:85]
	v_add_co_u32 v84, vcc_lo, s10, v84
	s_delay_alu instid0(VALU_DEP_2)
	v_add_co_ci_u32_e32 v85, vcc_lo, s11, v85, vcc_lo
	global_load_b64 v[84:85], v[84:85], off
	s_branch .LBB31_74
.LBB31_108:
	s_or_b32 exec_lo, exec_lo, s19
.LBB31_109:
	s_delay_alu instid0(SALU_CYCLE_1) | instskip(SKIP_4) | instid1(VALU_DEP_3)
	s_or_b32 exec_lo, exec_lo, s14
	v_lshrrev_b32_e32 v16, 2, v80
	s_movk_i32 s0, 0x110
	v_lshlrev_b32_e32 v17, 2, v95
	v_mad_u32_u24 v18, v96, s0, 0x100
	v_and_b32_e32 v16, 0xfc, v16
	s_barrier
	buffer_gl0_inv
	s_mov_b32 s0, exec_lo
	v_add3_u32 v17, v18, v16, v17
	v_lshl_add_u32 v16, v80, 2, 0x100
	ds_store_2addr_b32 v17, v8, v9 offset0:16 offset1:18
	ds_store_2addr_b32 v17, v10, v11 offset0:20 offset1:22
	ds_store_2addr_b32 v17, v12, v13 offset0:24 offset1:26
	ds_store_2addr_b32 v17, v14, v15 offset0:28 offset1:30
	ds_store_2addr_b32 v17, v0, v1 offset0:32 offset1:34
	ds_store_2addr_b32 v17, v2, v3 offset0:36 offset1:38
	ds_store_2addr_b32 v17, v4, v5 offset0:40 offset1:42
	v_mov_b32_e32 v4, -1
	v_mad_u32_u24 v0, 0x110, v88, v16
	ds_store_2addr_b32 v17, v6, v7 offset0:44 offset1:46
	s_waitcnt lgkmcnt(0)
	s_barrier
	buffer_gl0_inv
	ds_load_2addr_b32 v[0:1], v0 offset0:16 offset1:48
	v_cmpx_gt_u32_e32 11, v88
	s_cbranch_execz .LBB31_111
; %bb.110:
	ds_load_b32 v4, v89
.LBB31_111:
	s_or_b32 exec_lo, exec_lo, s0
	s_mul_hi_i32 s1, s30, s15
	s_mul_i32 s0, s30, s15
	s_mul_hi_i32 s9, s12, s21
	s_lshl_b64 s[0:1], s[0:1], 2
	s_mul_i32 s8, s12, s21
	s_waitcnt lgkmcnt(0)
	v_cmp_lt_i32_e32 vcc_lo, -1, v4
	s_add_u32 s10, s22, s0
	v_mul_u32_u24_e32 v3, 0x110, v88
	s_addc_u32 s11, s23, s1
	s_lshl_b64 s[0:1], s[8:9], 2
	v_add_nc_u32_e32 v2, s13, v80
	s_add_u32 s0, s10, s0
	s_addc_u32 s1, s11, s1
	s_and_b32 s8, vcc_lo, s2
	s_delay_alu instid0(SALU_CYCLE_1)
	s_and_saveexec_b32 s2, s8
	s_cbranch_execz .LBB31_113
; %bb.112:
	v_mul_lo_u32 v4, v4, s26
	v_mul_lo_u32 v6, v88, s21
	v_dual_mov_b32 v5, 0 :: v_dual_add_f32 v0, 0, v0
	s_delay_alu instid0(VALU_DEP_2) | instskip(NEXT) | instid1(VALU_DEP_2)
	v_add3_u32 v4, v2, v6, v4
	v_add_f32_e32 v6, v0, v1
	s_delay_alu instid0(VALU_DEP_2) | instskip(NEXT) | instid1(VALU_DEP_1)
	v_lshlrev_b64 v[4:5], 2, v[4:5]
	v_add_co_u32 v0, vcc_lo, s0, v4
	s_delay_alu instid0(VALU_DEP_2)
	v_add_co_ci_u32_e32 v1, vcc_lo, s1, v5, vcc_lo
	global_store_b32 v[0:1], v6, off
.LBB31_113:
	s_or_b32 exec_lo, exec_lo, s2
	v_dual_mov_b32 v4, -1 :: v_dual_add_nc_u32 v3, v3, v16
	s_mov_b32 s2, exec_lo
	ds_load_2addr_b32 v[0:1], v3 offset0:152 offset1:184
	v_cmpx_gt_u32_e32 9, v88
	s_cbranch_execz .LBB31_115
; %bb.114:
	ds_load_b32 v4, v89 offset:8
.LBB31_115:
	s_or_b32 exec_lo, exec_lo, s2
	s_waitcnt lgkmcnt(0)
	v_cmp_lt_i32_e32 vcc_lo, -1, v4
	s_and_b32 s3, vcc_lo, s3
	s_delay_alu instid0(SALU_CYCLE_1)
	s_and_saveexec_b32 s2, s3
	s_cbranch_execz .LBB31_117
; %bb.116:
	v_mul_lo_u32 v4, v4, s26
	v_mul_lo_u32 v6, v90, s21
	v_dual_mov_b32 v5, 0 :: v_dual_add_f32 v0, 0, v0
	s_delay_alu instid0(VALU_DEP_2) | instskip(NEXT) | instid1(VALU_DEP_2)
	v_add3_u32 v4, v2, v6, v4
	v_add_f32_e32 v6, v0, v1
	s_delay_alu instid0(VALU_DEP_2) | instskip(NEXT) | instid1(VALU_DEP_1)
	v_lshlrev_b64 v[4:5], 2, v[4:5]
	v_add_co_u32 v0, vcc_lo, s0, v4
	s_delay_alu instid0(VALU_DEP_2)
	v_add_co_ci_u32_e32 v1, vcc_lo, s1, v5, vcc_lo
	global_store_b32 v[0:1], v6, off
.LBB31_117:
	s_or_b32 exec_lo, exec_lo, s2
	v_add_nc_u32_e32 v0, 0x400, v3
	v_mov_b32_e32 v4, -1
	s_mov_b32 s2, exec_lo
	ds_load_2addr_b32 v[0:1], v0 offset0:32 offset1:64
	v_cmpx_gt_u32_e32 7, v88
	s_cbranch_execz .LBB31_119
; %bb.118:
	ds_load_b32 v4, v89 offset:16
.LBB31_119:
	s_or_b32 exec_lo, exec_lo, s2
	s_waitcnt lgkmcnt(0)
	v_cmp_lt_i32_e32 vcc_lo, -1, v4
	s_and_b32 s3, vcc_lo, s4
	s_delay_alu instid0(SALU_CYCLE_1)
	s_and_saveexec_b32 s2, s3
	s_cbranch_execz .LBB31_121
; %bb.120:
	v_mul_lo_u32 v4, v4, s26
	v_mul_lo_u32 v6, v91, s21
	v_dual_mov_b32 v5, 0 :: v_dual_add_f32 v0, 0, v0
	s_delay_alu instid0(VALU_DEP_2) | instskip(NEXT) | instid1(VALU_DEP_2)
	v_add3_u32 v4, v2, v6, v4
	v_add_f32_e32 v6, v0, v1
	s_delay_alu instid0(VALU_DEP_2) | instskip(NEXT) | instid1(VALU_DEP_1)
	v_lshlrev_b64 v[4:5], 2, v[4:5]
	v_add_co_u32 v0, vcc_lo, s0, v4
	s_delay_alu instid0(VALU_DEP_2)
	v_add_co_ci_u32_e32 v1, vcc_lo, s1, v5, vcc_lo
	global_store_b32 v[0:1], v6, off
.LBB31_121:
	s_or_b32 exec_lo, exec_lo, s2
	v_add_nc_u32_e32 v0, 0x400, v3
	v_mov_b32_e32 v4, -1
	;; [unrolled: 31-line block ×3, first 2 shown]
	s_mov_b32 s2, exec_lo
	ds_load_2addr_b32 v[0:1], v0 offset0:48 offset1:80
	v_cmpx_gt_u32_e32 3, v88
	s_cbranch_execz .LBB31_127
; %bb.126:
	ds_load_b32 v4, v89 offset:32
.LBB31_127:
	s_or_b32 exec_lo, exec_lo, s2
	s_waitcnt lgkmcnt(0)
	v_cmp_lt_i32_e32 vcc_lo, -1, v4
	s_and_b32 s3, vcc_lo, s6
	s_delay_alu instid0(SALU_CYCLE_1)
	s_and_saveexec_b32 s2, s3
	s_cbranch_execz .LBB31_129
; %bb.128:
	v_mul_lo_u32 v4, v4, s26
	v_mul_lo_u32 v6, v93, s21
	v_dual_mov_b32 v5, 0 :: v_dual_add_f32 v0, 0, v0
	s_delay_alu instid0(VALU_DEP_2) | instskip(NEXT) | instid1(VALU_DEP_2)
	v_add3_u32 v4, v2, v6, v4
	v_add_f32_e32 v6, v0, v1
	s_delay_alu instid0(VALU_DEP_2) | instskip(NEXT) | instid1(VALU_DEP_1)
	v_lshlrev_b64 v[4:5], 2, v[4:5]
	v_add_co_u32 v0, vcc_lo, s0, v4
	s_delay_alu instid0(VALU_DEP_2)
	v_add_co_ci_u32_e32 v1, vcc_lo, s1, v5, vcc_lo
	global_store_b32 v[0:1], v6, off
.LBB31_129:
	s_or_b32 exec_lo, exec_lo, s2
	v_cmp_eq_u32_e32 vcc_lo, 0, v88
	s_and_b32 exec_lo, exec_lo, vcc_lo
	s_cbranch_execz .LBB31_132
; %bb.130:
	v_mov_b32_e32 v0, 0x100
	ds_load_b32 v0, v0 offset:40
	s_waitcnt lgkmcnt(0)
	v_readfirstlane_b32 s2, v0
	s_delay_alu instid0(VALU_DEP_1) | instskip(SKIP_1) | instid1(SALU_CYCLE_1)
	s_cmp_gt_i32 s2, -1
	s_cselect_b32 s2, -1, 0
	s_and_b32 s2, s2, s7
	s_delay_alu instid0(SALU_CYCLE_1)
	s_and_b32 exec_lo, exec_lo, s2
	s_cbranch_execz .LBB31_132
; %bb.131:
	v_add_nc_u32_e32 v1, 0x800, v3
	v_mul_lo_u32 v0, v0, s26
	v_mul_lo_u32 v5, v94, s21
	ds_load_2addr_b32 v[3:4], v1 offset0:184 offset1:216
	v_mov_b32_e32 v1, 0
	v_add3_u32 v0, v2, v5, v0
	s_waitcnt lgkmcnt(0)
	v_add_f32_e32 v2, 0, v3
	s_delay_alu instid0(VALU_DEP_2) | instskip(NEXT) | instid1(VALU_DEP_2)
	v_lshlrev_b64 v[0:1], 2, v[0:1]
	v_add_f32_e32 v2, v2, v4
	s_delay_alu instid0(VALU_DEP_2) | instskip(NEXT) | instid1(VALU_DEP_3)
	v_add_co_u32 v0, vcc_lo, s0, v0
	v_add_co_ci_u32_e32 v1, vcc_lo, s1, v1, vcc_lo
	global_store_b32 v[0:1], v2, off
.LBB31_132:
	s_nop 0
	s_sendmsg sendmsg(MSG_DEALLOC_VGPRS)
	s_endpgm
	.section	.rodata,"a",@progbits
	.p2align	6, 0x0
	.amdhsa_kernel _ZL9mul_mat_fI7__half2Li32ELi11ELi2ELb1EEvPKT_PKfPKiPfiiiiiiiiiiiiiiii
		.amdhsa_group_segment_fixed_size 256
		.amdhsa_private_segment_fixed_size 0
		.amdhsa_kernarg_size 352
		.amdhsa_user_sgpr_count 13
		.amdhsa_user_sgpr_dispatch_ptr 0
		.amdhsa_user_sgpr_queue_ptr 0
		.amdhsa_user_sgpr_kernarg_segment_ptr 1
		.amdhsa_user_sgpr_dispatch_id 0
		.amdhsa_user_sgpr_private_segment_size 0
		.amdhsa_wavefront_size32 1
		.amdhsa_uses_dynamic_stack 0
		.amdhsa_enable_private_segment 0
		.amdhsa_system_sgpr_workgroup_id_x 1
		.amdhsa_system_sgpr_workgroup_id_y 1
		.amdhsa_system_sgpr_workgroup_id_z 1
		.amdhsa_system_sgpr_workgroup_info 0
		.amdhsa_system_vgpr_workitem_id 2
		.amdhsa_next_free_vgpr 118
		.amdhsa_next_free_sgpr 76
		.amdhsa_reserve_vcc 1
		.amdhsa_float_round_mode_32 0
		.amdhsa_float_round_mode_16_64 0
		.amdhsa_float_denorm_mode_32 3
		.amdhsa_float_denorm_mode_16_64 3
		.amdhsa_dx10_clamp 1
		.amdhsa_ieee_mode 1
		.amdhsa_fp16_overflow 0
		.amdhsa_workgroup_processor_mode 1
		.amdhsa_memory_ordered 1
		.amdhsa_forward_progress 0
		.amdhsa_shared_vgpr_count 0
		.amdhsa_exception_fp_ieee_invalid_op 0
		.amdhsa_exception_fp_denorm_src 0
		.amdhsa_exception_fp_ieee_div_zero 0
		.amdhsa_exception_fp_ieee_overflow 0
		.amdhsa_exception_fp_ieee_underflow 0
		.amdhsa_exception_fp_ieee_inexact 0
		.amdhsa_exception_int_div_zero 0
	.end_amdhsa_kernel
	.section	.text._ZL9mul_mat_fI7__half2Li32ELi11ELi2ELb1EEvPKT_PKfPKiPfiiiiiiiiiiiiiiii,"axG",@progbits,_ZL9mul_mat_fI7__half2Li32ELi11ELi2ELb1EEvPKT_PKfPKiPfiiiiiiiiiiiiiiii,comdat
.Lfunc_end31:
	.size	_ZL9mul_mat_fI7__half2Li32ELi11ELi2ELb1EEvPKT_PKfPKiPfiiiiiiiiiiiiiiii, .Lfunc_end31-_ZL9mul_mat_fI7__half2Li32ELi11ELi2ELb1EEvPKT_PKfPKiPfiiiiiiiiiiiiiiii
                                        ; -- End function
	.section	.AMDGPU.csdata,"",@progbits
; Kernel info:
; codeLenInByte = 7944
; NumSgprs: 78
; NumVgprs: 118
; ScratchSize: 0
; MemoryBound: 0
; FloatMode: 240
; IeeeMode: 1
; LDSByteSize: 256 bytes/workgroup (compile time only)
; SGPRBlocks: 9
; VGPRBlocks: 14
; NumSGPRsForWavesPerEU: 78
; NumVGPRsForWavesPerEU: 118
; Occupancy: 12
; WaveLimiterHint : 0
; COMPUTE_PGM_RSRC2:SCRATCH_EN: 0
; COMPUTE_PGM_RSRC2:USER_SGPR: 13
; COMPUTE_PGM_RSRC2:TRAP_HANDLER: 0
; COMPUTE_PGM_RSRC2:TGID_X_EN: 1
; COMPUTE_PGM_RSRC2:TGID_Y_EN: 1
; COMPUTE_PGM_RSRC2:TGID_Z_EN: 1
; COMPUTE_PGM_RSRC2:TIDIG_COMP_CNT: 2
	.section	.text._ZL9mul_mat_fI7__half2Li32ELi11ELi2ELb0EEvPKT_PKfPKiPfiiiiiiiiiiiiiiii,"axG",@progbits,_ZL9mul_mat_fI7__half2Li32ELi11ELi2ELb0EEvPKT_PKfPKiPfiiiiiiiiiiiiiiii,comdat
	.globl	_ZL9mul_mat_fI7__half2Li32ELi11ELi2ELb0EEvPKT_PKfPKiPfiiiiiiiiiiiiiiii ; -- Begin function _ZL9mul_mat_fI7__half2Li32ELi11ELi2ELb0EEvPKT_PKfPKiPfiiiiiiiiiiiiiiii
	.p2align	8
	.type	_ZL9mul_mat_fI7__half2Li32ELi11ELi2ELb0EEvPKT_PKfPKiPfiiiiiiiiiiiiiiii,@function
_ZL9mul_mat_fI7__half2Li32ELi11ELi2ELb0EEvPKT_PKfPKiPfiiiiiiiiiiiiiiii: ; @_ZL9mul_mat_fI7__half2Li32ELi11ELi2ELb0EEvPKT_PKfPKiPfiiiiiiiiiiiiiiii
; %bb.0:
	s_clause 0x2
	s_load_b256 s[4:11], s[0:1], 0x40
	s_load_b32 s22, s[0:1], 0x20
	s_load_b128 s[16:19], s[0:1], 0x2c
	v_bfe_u32 v72, v0, 10, 10
	v_and_b32_e32 v73, 0x3ff, v0
	s_mov_b32 s12, 0
	s_ashr_i32 s24, s15, 31
	s_waitcnt lgkmcnt(0)
	s_mov_b32 s19, exec_lo
	v_and_b32_e32 v75, 15, v73
	s_abs_i32 s2, s4
	s_abs_i32 s23, s8
	v_cvt_f32_u32_e32 v1, s2
	v_cvt_f32_u32_e32 v2, s23
	s_delay_alu instid0(VALU_DEP_2) | instskip(NEXT) | instid1(VALU_DEP_1)
	v_rcp_iflag_f32_e32 v1, v1
	v_rcp_iflag_f32_e32 v2, v2
	v_lshlrev_b32_e32 v74, 5, v72
	s_waitcnt_depctr 0xfff
	v_dual_mul_f32 v0, 0x4f7ffffe, v1 :: v_dual_mul_f32 v1, 0x4f7ffffe, v2
	v_add_nc_u32_e32 v76, v74, v73
	s_delay_alu instid0(VALU_DEP_2) | instskip(NEXT) | instid1(VALU_DEP_3)
	v_cvt_u32_f32_e32 v0, v0
	v_cvt_u32_f32_e32 v1, v1
	s_delay_alu instid0(VALU_DEP_2) | instskip(NEXT) | instid1(VALU_DEP_2)
	v_readfirstlane_b32 s25, v0
	v_readfirstlane_b32 s3, v1
	v_cmpx_le_i32_e64 s22, v76
	s_xor_b32 s19, exec_lo, s19
; %bb.1:
	v_and_b32_e32 v75, 15, v73
                                        ; implicit-def: $vgpr76
; %bb.2:
	s_or_saveexec_b32 s19, s19
	s_load_b64 s[20:21], s[0:1], 0x18
	v_dual_mov_b32 v15, s12 :: v_dual_mov_b32 v14, s12
	v_dual_mov_b32 v13, s12 :: v_dual_mov_b32 v12, s12
	;; [unrolled: 1-line block ×8, first 2 shown]
	s_lshl_b32 s12, s13, 5
	s_xor_b32 exec_lo, exec_lo, s19
	s_cbranch_execz .LBB32_6
; %bb.3:
	s_sub_i32 s13, 0, s2
	s_sub_i32 s26, 0, s23
	s_mul_i32 s13, s13, s25
	s_mul_i32 s26, s26, s3
	s_mul_hi_u32 s13, s25, s13
	s_mul_hi_u32 s26, s3, s26
	s_abs_i32 s27, s14
	s_add_i32 s25, s25, s13
	s_add_i32 s26, s3, s26
	s_mul_hi_u32 s3, s27, s25
	s_ashr_i32 s25, s14, 31
	s_ashr_i32 s4, s4, 31
	s_mul_i32 s28, s3, s2
	s_xor_b32 s4, s25, s4
	s_sub_i32 s25, s27, s28
	s_abs_i32 s13, s15
	s_ashr_i32 s8, s8, 31
	s_add_i32 s27, s3, 1
	s_sub_i32 s28, s25, s2
	s_cmp_ge_u32 s25, s2
	s_mul_hi_u32 s26, s13, s26
	s_cselect_b32 s3, s27, s3
	s_cselect_b32 s25, s28, s25
	s_add_i32 s27, s3, 1
	s_cmp_ge_u32 s25, s2
	s_mul_i32 s28, s14, s6
	s_cselect_b32 s25, s27, s3
	s_load_b128 s[0:3], s[0:1], 0x0
	s_xor_b32 s25, s25, s4
	s_xor_b32 s8, s24, s8
	s_sub_i32 s4, s25, s4
	s_mul_i32 s25, s26, s23
	s_add_i32 s24, s26, 1
	s_sub_i32 s13, s13, s25
	s_mul_i32 s4, s4, s5
	s_sub_i32 s25, s13, s23
	s_cmp_ge_u32 s13, s23
	s_mul_hi_i32 s27, s10, s15
	s_cselect_b32 s24, s24, s26
	s_cselect_b32 s13, s25, s13
	s_add_i32 s25, s24, 1
	s_cmp_ge_u32 s13, s23
	s_mul_i32 s26, s10, s15
	s_cselect_b32 s13, s25, s24
	s_ashr_i32 s5, s4, 31
	s_xor_b32 s13, s13, s8
	v_lshlrev_b32_e32 v3, 7, v72
	s_sub_i32 s8, s13, s8
	v_mad_u32_u24 v1, 0x900, v72, 0
	s_mul_hi_i32 s25, s8, s9
	s_mul_i32 s24, s8, s9
	s_mul_i32 s8, s12, s16
	s_lshl_b64 s[24:25], s[24:25], 2
	v_dual_mov_b32 v79, 0 :: v_dual_lshlrev_b32 v0, 2, v73
	s_waitcnt lgkmcnt(0)
	s_add_u32 s13, s0, s24
	s_addc_u32 s23, s1, s25
	s_ashr_i32 s9, s8, 31
	s_lshl_b64 s[4:5], s[4:5], 2
	s_lshl_b64 s[8:9], s[8:9], 2
	v_lshlrev_b32_e32 v5, 8, v72
	s_add_u32 s30, s4, s8
	s_addc_u32 s31, s5, s9
	s_add_u32 s6, s30, s13
	s_addc_u32 s8, s31, s23
	s_ashr_i32 s29, s28, 31
	s_lshl_b64 s[4:5], s[26:27], 2
	s_lshl_b64 s[26:27], s[28:29], 2
	v_add_nc_u32_e32 v77, v1, v0
	s_add_u32 s13, s2, s26
	s_addc_u32 s23, s3, s27
	s_add_u32 s9, s13, s4
	s_addc_u32 s10, s23, s5
	s_ashr_i32 s3, s16, 31
	s_mov_b32 s2, s16
	s_ashr_i32 s27, s17, 31
	s_lshl_b64 s[2:3], s[2:3], 2
	s_add_u32 s24, s30, s24
	s_addc_u32 s25, s31, s25
	v_add_co_u32 v3, s24, s24, v3
	s_delay_alu instid0(VALU_DEP_1) | instskip(SKIP_1) | instid1(VALU_DEP_3)
	v_add_co_ci_u32_e64 v4, null, s25, 0, s24
	v_lshlrev_b32_e32 v6, 3, v73
	v_add_co_u32 v0, vcc_lo, v3, v0
	s_delay_alu instid0(VALU_DEP_3) | instskip(SKIP_1) | instid1(VALU_DEP_3)
	v_add_co_ci_u32_e32 v3, vcc_lo, 0, v4, vcc_lo
	v_add_co_u32 v4, s4, s4, v5
	v_add_co_u32 v16, vcc_lo, s0, v0
	v_add_co_ci_u32_e64 v5, null, s5, 0, s4
	s_delay_alu instid0(VALU_DEP_4) | instskip(NEXT) | instid1(VALU_DEP_4)
	v_add_co_ci_u32_e32 v17, vcc_lo, s1, v3, vcc_lo
	v_add_co_u32 v0, vcc_lo, v4, v6
	s_delay_alu instid0(VALU_DEP_3) | instskip(SKIP_1) | instid1(VALU_DEP_3)
	v_add_co_ci_u32_e32 v3, vcc_lo, 0, v5, vcc_lo
	v_mul_u32_u24_e32 v2, 0x90, v75
	v_add_co_u32 v18, vcc_lo, s13, v0
	v_mov_b32_e32 v0, 0
	s_delay_alu instid0(VALU_DEP_4) | instskip(NEXT) | instid1(VALU_DEP_4)
	v_add_co_ci_u32_e32 v19, vcc_lo, s23, v3, vcc_lo
	v_add_nc_u32_e32 v78, v1, v2
	s_mov_b32 s26, s17
	s_delay_alu instid0(VALU_DEP_3)
	v_mov_b32_e32 v3, v0
	v_mov_b32_e32 v1, v0
	;; [unrolled: 1-line block ×15, first 2 shown]
	s_lshl_b64 s[4:5], s[26:27], 3
	s_mul_i32 s1, s16, 31
	s_lshl_b32 s13, s17, 1
	s_mul_i32 s23, s17, 3
	s_lshl_b32 s24, s17, 2
	s_mul_i32 s25, s17, 5
	s_mul_i32 s26, s17, 6
	;; [unrolled: 1-line block ×3, first 2 shown]
	s_lshl_b32 s28, s17, 3
	s_mul_i32 s29, s17, 9
	s_mul_i32 s17, s17, 10
	s_lshl_b32 s30, s16, 1
	s_mul_i32 s31, s16, 3
	s_lshl_b32 s33, s16, 2
	s_mul_i32 s34, s16, 5
	s_mul_i32 s35, s16, 6
	;; [unrolled: 1-line block ×3, first 2 shown]
	s_lshl_b32 s37, s16, 3
	s_mul_i32 s38, s16, 9
	s_mul_i32 s39, s16, 10
	s_mul_i32 s40, s16, 11
	s_mul_i32 s41, s16, 12
	s_mul_i32 s42, s16, 13
	s_mul_i32 s43, s16, 14
	s_mul_i32 s44, s16, 15
	s_lshl_b32 s45, s16, 4
	s_mul_i32 s46, s16, 17
	s_mul_i32 s47, s16, 18
	;; [unrolled: 1-line block ×14, first 2 shown]
	s_mov_b32 s16, 0
.LBB32_4:                               ; =>This Inner Loop Header: Depth=1
	v_add_nc_u32_e32 v20, s30, v76
	v_add_nc_u32_e32 v22, s31, v76
	v_add_nc_u32_e32 v24, s33, v76
	v_add_nc_u32_e32 v26, s34, v76
	v_add_co_u32 v106, vcc_lo, v16, s2
	v_ashrrev_i32_e32 v21, 31, v20
	v_ashrrev_i32_e32 v23, 31, v22
	;; [unrolled: 1-line block ×3, first 2 shown]
	v_add_nc_u32_e32 v28, s35, v76
	v_add_co_ci_u32_e32 v107, vcc_lo, s3, v17, vcc_lo
	v_lshlrev_b64 v[20:21], 2, v[20:21]
	v_add_co_u32 v110, vcc_lo, v18, s4
	v_lshlrev_b64 v[22:23], 2, v[22:23]
	v_ashrrev_i32_e32 v27, 31, v26
	v_add_nc_u32_e32 v30, s36, v76
	v_add_co_ci_u32_e32 v111, vcc_lo, s5, v19, vcc_lo
	v_lshlrev_b64 v[24:25], 2, v[24:25]
	v_add_co_u32 v20, vcc_lo, s6, v20
	v_ashrrev_i32_e32 v29, 31, v28
	v_add_nc_u32_e32 v32, s37, v76
	v_add_co_ci_u32_e32 v21, vcc_lo, s8, v21, vcc_lo
	v_lshlrev_b64 v[26:27], 2, v[26:27]
	v_add_co_u32 v22, vcc_lo, s6, v22
	;; [unrolled: 5-line block ×34, first 2 shown]
	v_ashrrev_i32_e32 v103, 31, v102
	v_add_co_ci_u32_e32 v95, vcc_lo, s10, v95, vcc_lo
	v_lshlrev_b64 v[100:101], 3, v[100:101]
	v_add_co_u32 v96, vcc_lo, s9, v96
	v_ashrrev_i32_e32 v105, 31, v104
	v_add_co_ci_u32_e32 v97, vcc_lo, s10, v97, vcc_lo
	v_lshlrev_b64 v[102:103], 3, v[102:103]
	v_add_co_u32 v98, vcc_lo, s9, v98
	v_add_co_ci_u32_e32 v99, vcc_lo, s10, v99, vcc_lo
	global_load_b64 v[108:109], v[18:19], off
	global_load_b32 v112, v[16:17], off
	v_lshlrev_b64 v[104:105], 3, v[104:105]
	v_add_co_u32 v100, vcc_lo, s9, v100
	v_add_co_ci_u32_e32 v101, vcc_lo, s10, v101, vcc_lo
	global_load_b32 v113, v[106:107], off
	global_load_b64 v[106:107], v[110:111], off
	v_add_co_u32 v102, vcc_lo, s9, v102
	v_add_co_ci_u32_e32 v103, vcc_lo, s10, v103, vcc_lo
	v_add_co_u32 v104, vcc_lo, s9, v104
	v_add_co_ci_u32_e32 v105, vcc_lo, s10, v105, vcc_lo
	s_clause 0xd
	global_load_b32 v110, v[20:21], off
	global_load_b32 v111, v[22:23], off
	;; [unrolled: 1-line block ×14, first 2 shown]
	s_clause 0x8
	global_load_b64 v[20:21], v[88:89], off
	global_load_b64 v[22:23], v[90:91], off
	;; [unrolled: 1-line block ×9, first 2 shown]
	s_clause 0xf
	global_load_b32 v88, v[48:49], off
	global_load_b32 v89, v[50:51], off
	;; [unrolled: 1-line block ×16, first 2 shown]
	v_add_nc_u32_e32 v76, 64, v76
	v_add_co_u32 v16, vcc_lo, 0x100, v16
	v_add_co_ci_u32_e32 v17, vcc_lo, 0, v17, vcc_lo
	v_add_co_u32 v18, vcc_lo, 0x200, v18
	s_delay_alu instid0(VALU_DEP_4) | instskip(SKIP_1) | instid1(VALU_DEP_2)
	v_cmp_le_i32_e64 s0, s22, v76
	v_add_co_ci_u32_e32 v19, vcc_lo, 0, v19, vcc_lo
	s_or_b32 s16, s0, s16
	s_waitcnt vmcnt(24)
	v_cvt_f16_f32_e32 v70, v20
	v_cvt_f16_f32_e32 v71, v21
	s_waitcnt vmcnt(23)
	v_cvt_f16_f32_e32 v96, v22
	v_cvt_f16_f32_e32 v97, v23
	;; [unrolled: 3-line block ×4, first 2 shown]
	v_cvt_f16_f32_e32 v43, v108
	v_cvt_f16_f32_e32 v44, v109
	ds_store_b32 v77, v112
	s_waitcnt vmcnt(20)
	v_cvt_f16_f32_e32 v102, v28
	v_cvt_f16_f32_e32 v103, v29
	s_waitcnt vmcnt(19)
	v_cvt_f16_f32_e32 v104, v30
	ds_store_b32 v77, v113 offset:144
	v_cvt_f16_f32_e32 v45, v106
	v_cvt_f16_f32_e32 v46, v107
	v_pack_b32_f16 v68, v43, v44
	ds_store_b32 v77, v110 offset:288
	ds_store_b32 v77, v111 offset:432
	;; [unrolled: 1-line block ×14, first 2 shown]
	v_cvt_f16_f32_e32 v105, v31
	s_waitcnt vmcnt(18)
	v_cvt_f16_f32_e32 v106, v32
	v_pack_b32_f16 v69, v45, v46
	v_cvt_f16_f32_e32 v107, v33
	s_waitcnt vmcnt(17)
	v_cvt_f16_f32_e32 v108, v34
	v_cvt_f16_f32_e32 v109, v35
	s_waitcnt vmcnt(16)
	v_cvt_f16_f32_e32 v110, v36
	v_cvt_f16_f32_e32 v111, v37
	ds_load_b128 v[20:23], v78
	ds_load_b128 v[24:27], v78 offset:16
	ds_load_b128 v[28:31], v78 offset:32
	;; [unrolled: 1-line block ×7, first 2 shown]
	s_waitcnt vmcnt(15)
	ds_store_b32 v77, v88
	s_waitcnt vmcnt(14)
	ds_store_b32 v77, v89 offset:144
	s_waitcnt vmcnt(13)
	ds_store_b32 v77, v52 offset:288
	;; [unrolled: 2-line block ×15, first 2 shown]
	ds_load_b128 v[52:55], v78
	ds_load_b128 v[56:59], v78 offset:16
	ds_load_b128 v[60:63], v78 offset:32
	;; [unrolled: 1-line block ×7, first 2 shown]
	ds_store_b32 v77, v68
	v_pack_b32_f16 v68, v70, v71
	v_pack_b32_f16 v70, v96, v97
	;; [unrolled: 1-line block ×9, first 2 shown]
	ds_store_b32 v77, v69 offset:144
	ds_store_b32 v77, v68 offset:288
	;; [unrolled: 1-line block ×15, first 2 shown]
	ds_load_b128 v[96:99], v78
	ds_load_b128 v[100:103], v78 offset:16
	ds_load_b128 v[104:107], v78 offset:32
	;; [unrolled: 1-line block ×5, first 2 shown]
	s_waitcnt lgkmcnt(4)
	v_wmma_f32_16x16x16_f16 v[8:15], v[20:27], v[96:103], v[8:15]
	ds_load_b128 v[20:23], v78 offset:96
	ds_load_b128 v[24:27], v78 offset:112
	v_wmma_f32_16x16x16_f16 v[0:7], v[52:59], v[96:103], v[0:7]
	s_waitcnt lgkmcnt(4)
	v_wmma_f32_16x16x16_f16 v[8:15], v[28:35], v[104:111], v[8:15]
	s_delay_alu instid0(VALU_DEP_2) | instskip(SKIP_1) | instid1(VALU_DEP_2)
	v_wmma_f32_16x16x16_f16 v[0:7], v[60:67], v[104:111], v[0:7]
	s_waitcnt lgkmcnt(2)
	v_wmma_f32_16x16x16_f16 v[8:15], v[36:43], v[112:119], v[8:15]
	s_delay_alu instid0(VALU_DEP_2) | instskip(SKIP_1) | instid1(VALU_DEP_2)
	v_wmma_f32_16x16x16_f16 v[0:7], v[80:87], v[112:119], v[0:7]
	s_waitcnt lgkmcnt(0)
	v_wmma_f32_16x16x16_f16 v[8:15], v[44:51], v[20:27], v[8:15]
	s_delay_alu instid0(VALU_DEP_2)
	v_wmma_f32_16x16x16_f16 v[0:7], v[88:95], v[20:27], v[0:7]
	s_and_not1_b32 exec_lo, exec_lo, s16
	s_cbranch_execnz .LBB32_4
; %bb.5:
	s_or_b32 exec_lo, exec_lo, s16
.LBB32_6:
	s_delay_alu instid0(SALU_CYCLE_1)
	s_or_b32 exec_lo, exec_lo, s19
	v_lshrrev_b32_e32 v16, 2, v73
	v_mad_u32_u24 v17, 0x110, v75, 0
	v_lshlrev_b32_e32 v18, 2, v74
	s_waitcnt lgkmcnt(0)
	s_barrier
	v_and_b32_e32 v16, 0xfc, v16
	buffer_gl0_inv
	s_mul_hi_i32 s1, s11, s15
	s_mul_i32 s0, s11, s15
	s_mul_i32 s2, s14, s7
	v_add3_u32 v17, v17, v16, v18
	v_lshl_add_u32 v16, v73, 2, 0
	s_lshl_b64 s[0:1], s[0:1], 2
	ds_store_2addr_b32 v17, v8, v9 offset1:2
	ds_store_2addr_b32 v17, v10, v11 offset0:4 offset1:6
	ds_store_2addr_b32 v17, v12, v13 offset0:8 offset1:10
	;; [unrolled: 1-line block ×6, first 2 shown]
	v_mad_u32_u24 v11, 0x110, v72, v16
	ds_store_2addr_b32 v17, v6, v7 offset0:28 offset1:30
	s_waitcnt lgkmcnt(0)
	s_barrier
	buffer_gl0_inv
	ds_load_2addr_b32 v[3:4], v11 offset1:32
	ds_load_2addr_b32 v[5:6], v11 offset0:136 offset1:168
	s_add_u32 s4, s20, s0
	s_addc_u32 s5, s21, s1
	s_ashr_i32 s3, s2, 31
	s_delay_alu instid0(SALU_CYCLE_1) | instskip(NEXT) | instid1(SALU_CYCLE_1)
	s_lshl_b64 s[0:1], s[2:3], 2
	s_add_u32 s0, s4, s0
	s_addc_u32 s1, s5, s1
	s_lshl_b32 s2, s18, 1
	s_waitcnt lgkmcnt(1)
	v_add_f32_e32 v3, 0, v3
	s_waitcnt lgkmcnt(0)
	v_add_f32_e32 v5, 0, v5
	v_add_nc_u32_e32 v0, s12, v73
	s_delay_alu instid0(VALU_DEP_3) | instskip(NEXT) | instid1(VALU_DEP_2)
	v_dual_add_f32 v15, v3, v4 :: v_dual_add_nc_u32 v12, 0x400, v11
	v_mad_u64_u32 v[1:2], null, v72, s18, v[0:1]
	v_mov_b32_e32 v2, 0
	s_delay_alu instid0(VALU_DEP_1) | instskip(SKIP_1) | instid1(VALU_DEP_2)
	v_lshlrev_b64 v[9:10], 2, v[1:2]
	v_add_nc_u32_e32 v1, s2, v1
	v_add_co_u32 v9, vcc_lo, s0, v9
	s_delay_alu instid0(VALU_DEP_3)
	v_add_co_ci_u32_e32 v10, vcc_lo, s1, v10, vcc_lo
	global_store_b32 v[9:10], v15, off
	v_add_f32_e32 v15, v5, v6
	ds_load_2addr_b32 v[3:4], v12 offset0:152 offset1:184
	ds_load_2addr_b32 v[7:8], v12 offset0:16 offset1:48
	s_waitcnt lgkmcnt(1)
	v_add_f32_e32 v3, 0, v3
	v_add_nc_u32_e32 v13, 0x800, v11
	v_lshlrev_b64 v[11:12], 2, v[1:2]
	v_add_nc_u32_e32 v1, s2, v1
	s_waitcnt lgkmcnt(0)
	v_add_f32_e32 v7, 0, v7
	s_delay_alu instid0(VALU_DEP_3) | instskip(NEXT) | instid1(VALU_DEP_4)
	v_add_co_u32 v9, vcc_lo, s0, v11
	v_add_co_ci_u32_e32 v10, vcc_lo, s1, v12, vcc_lo
	v_add_f32_e32 v12, v3, v4
	ds_load_2addr_b32 v[13:14], v13 offset0:32 offset1:64
	v_lshlrev_b64 v[5:6], 2, v[1:2]
	v_add_nc_u32_e32 v1, s2, v1
	v_add_f32_e32 v11, v7, v8
	s_delay_alu instid0(VALU_DEP_2) | instskip(SKIP_3) | instid1(VALU_DEP_3)
	v_lshlrev_b64 v[7:8], 2, v[1:2]
	v_add_nc_u32_e32 v1, s2, v1
	v_add_co_u32 v5, vcc_lo, s0, v5
	v_add_co_ci_u32_e32 v6, vcc_lo, s1, v6, vcc_lo
	v_lshlrev_b64 v[3:4], 2, v[1:2]
	v_add_co_u32 v7, vcc_lo, s0, v7
	v_add_co_ci_u32_e32 v8, vcc_lo, s1, v8, vcc_lo
	s_mov_b32 s2, exec_lo
	s_delay_alu instid0(VALU_DEP_3) | instskip(SKIP_3) | instid1(VALU_DEP_2)
	v_add_co_u32 v3, vcc_lo, s0, v3
	s_waitcnt lgkmcnt(0)
	v_add_f32_e32 v13, 0, v13
	v_add_co_ci_u32_e32 v4, vcc_lo, s1, v4, vcc_lo
	v_add_f32_e32 v1, v13, v14
	s_clause 0x3
	global_store_b32 v[9:10], v15, off
	global_store_b32 v[5:6], v11, off
	;; [unrolled: 1-line block ×4, first 2 shown]
	v_cmpx_eq_u32_e32 0, v72
	s_cbranch_execz .LBB32_8
; %bb.7:
	v_add_nc_u32_e32 v1, 0x800, v16
	s_delay_alu instid0(VALU_DEP_1) | instskip(SKIP_3) | instid1(VALU_DEP_1)
	v_mad_u64_u32 v[5:6], null, s18, 10, v[0:1]
	v_mov_b32_e32 v6, v2
	ds_load_2addr_b32 v[3:4], v1 offset0:168 offset1:200
	v_lshlrev_b64 v[0:1], 2, v[5:6]
	v_add_co_u32 v0, vcc_lo, s0, v0
	s_delay_alu instid0(VALU_DEP_2) | instskip(SKIP_2) | instid1(VALU_DEP_1)
	v_add_co_ci_u32_e32 v1, vcc_lo, s1, v1, vcc_lo
	s_waitcnt lgkmcnt(0)
	v_add_f32_e32 v2, 0, v3
	v_add_f32_e32 v2, v2, v4
	global_store_b32 v[0:1], v2, off
.LBB32_8:
	s_nop 0
	s_sendmsg sendmsg(MSG_DEALLOC_VGPRS)
	s_endpgm
	.section	.rodata,"a",@progbits
	.p2align	6, 0x0
	.amdhsa_kernel _ZL9mul_mat_fI7__half2Li32ELi11ELi2ELb0EEvPKT_PKfPKiPfiiiiiiiiiiiiiiii
		.amdhsa_group_segment_fixed_size 0
		.amdhsa_private_segment_fixed_size 0
		.amdhsa_kernarg_size 96
		.amdhsa_user_sgpr_count 13
		.amdhsa_user_sgpr_dispatch_ptr 0
		.amdhsa_user_sgpr_queue_ptr 0
		.amdhsa_user_sgpr_kernarg_segment_ptr 1
		.amdhsa_user_sgpr_dispatch_id 0
		.amdhsa_user_sgpr_private_segment_size 0
		.amdhsa_wavefront_size32 1
		.amdhsa_uses_dynamic_stack 0
		.amdhsa_enable_private_segment 0
		.amdhsa_system_sgpr_workgroup_id_x 1
		.amdhsa_system_sgpr_workgroup_id_y 1
		.amdhsa_system_sgpr_workgroup_id_z 1
		.amdhsa_system_sgpr_workgroup_info 0
		.amdhsa_system_vgpr_workitem_id 1
		.amdhsa_next_free_vgpr 121
		.amdhsa_next_free_sgpr 60
		.amdhsa_reserve_vcc 1
		.amdhsa_float_round_mode_32 0
		.amdhsa_float_round_mode_16_64 0
		.amdhsa_float_denorm_mode_32 3
		.amdhsa_float_denorm_mode_16_64 3
		.amdhsa_dx10_clamp 1
		.amdhsa_ieee_mode 1
		.amdhsa_fp16_overflow 0
		.amdhsa_workgroup_processor_mode 1
		.amdhsa_memory_ordered 1
		.amdhsa_forward_progress 0
		.amdhsa_shared_vgpr_count 0
		.amdhsa_exception_fp_ieee_invalid_op 0
		.amdhsa_exception_fp_denorm_src 0
		.amdhsa_exception_fp_ieee_div_zero 0
		.amdhsa_exception_fp_ieee_overflow 0
		.amdhsa_exception_fp_ieee_underflow 0
		.amdhsa_exception_fp_ieee_inexact 0
		.amdhsa_exception_int_div_zero 0
	.end_amdhsa_kernel
	.section	.text._ZL9mul_mat_fI7__half2Li32ELi11ELi2ELb0EEvPKT_PKfPKiPfiiiiiiiiiiiiiiii,"axG",@progbits,_ZL9mul_mat_fI7__half2Li32ELi11ELi2ELb0EEvPKT_PKfPKiPfiiiiiiiiiiiiiiii,comdat
.Lfunc_end32:
	.size	_ZL9mul_mat_fI7__half2Li32ELi11ELi2ELb0EEvPKT_PKfPKiPfiiiiiiiiiiiiiiii, .Lfunc_end32-_ZL9mul_mat_fI7__half2Li32ELi11ELi2ELb0EEvPKT_PKfPKiPfiiiiiiiiiiiiiiii
                                        ; -- End function
	.section	.AMDGPU.csdata,"",@progbits
; Kernel info:
; codeLenInByte = 4032
; NumSgprs: 62
; NumVgprs: 121
; ScratchSize: 0
; MemoryBound: 0
; FloatMode: 240
; IeeeMode: 1
; LDSByteSize: 0 bytes/workgroup (compile time only)
; SGPRBlocks: 7
; VGPRBlocks: 15
; NumSGPRsForWavesPerEU: 62
; NumVGPRsForWavesPerEU: 121
; Occupancy: 10
; WaveLimiterHint : 0
; COMPUTE_PGM_RSRC2:SCRATCH_EN: 0
; COMPUTE_PGM_RSRC2:USER_SGPR: 13
; COMPUTE_PGM_RSRC2:TRAP_HANDLER: 0
; COMPUTE_PGM_RSRC2:TGID_X_EN: 1
; COMPUTE_PGM_RSRC2:TGID_Y_EN: 1
; COMPUTE_PGM_RSRC2:TGID_Z_EN: 1
; COMPUTE_PGM_RSRC2:TIDIG_COMP_CNT: 1
	.section	.text._ZL13mul_mat_f_idsI7__half2Li32ELi11ELi3EEvPKT_PKfPKiS7_S7_Pfiiiiiiiiiiiiii15HIP_vector_typeIjLj3EESA_,"axG",@progbits,_ZL13mul_mat_f_idsI7__half2Li32ELi11ELi3EEvPKT_PKfPKiS7_S7_Pfiiiiiiiiiiiiii15HIP_vector_typeIjLj3EESA_,comdat
	.globl	_ZL13mul_mat_f_idsI7__half2Li32ELi11ELi3EEvPKT_PKfPKiS7_S7_Pfiiiiiiiiiiiiii15HIP_vector_typeIjLj3EESA_ ; -- Begin function _ZL13mul_mat_f_idsI7__half2Li32ELi11ELi3EEvPKT_PKfPKiS7_S7_Pfiiiiiiiiiiiiii15HIP_vector_typeIjLj3EESA_
	.p2align	8
	.type	_ZL13mul_mat_f_idsI7__half2Li32ELi11ELi3EEvPKT_PKfPKiS7_S7_Pfiiiiiiiiiiiiii15HIP_vector_typeIjLj3EESA_,@function
_ZL13mul_mat_f_idsI7__half2Li32ELi11ELi3EEvPKT_PKfPKiS7_S7_Pfiiiiiiiiiiiiii15HIP_vector_typeIjLj3EESA_: ; @_ZL13mul_mat_f_idsI7__half2Li32ELi11ELi3EEvPKT_PKfPKiS7_S7_Pfiiiiiiiiiiiiii15HIP_vector_typeIjLj3EESA_
; %bb.0:
	s_load_b64 s[4:5], s[0:1], 0x20
	s_mov_b32 s2, s15
	s_ashr_i32 s15, s14, 31
	s_delay_alu instid0(SALU_CYCLE_1)
	s_lshl_b64 s[6:7], s[14:15], 2
	s_waitcnt lgkmcnt(0)
	s_add_u32 s4, s4, s6
	s_addc_u32 s5, s5, s7
	s_load_b64 s[30:31], s[4:5], 0x0
	s_waitcnt lgkmcnt(0)
	s_sub_i32 s33, s31, s30
	s_delay_alu instid0(SALU_CYCLE_1) | instskip(NEXT) | instid1(SALU_CYCLE_1)
	s_add_i32 s3, s33, 10
	s_mul_hi_i32 s3, s3, 0x2e8ba2e9
	s_delay_alu instid0(SALU_CYCLE_1) | instskip(SKIP_1) | instid1(SALU_CYCLE_1)
	s_lshr_b32 s4, s3, 31
	s_ashr_i32 s3, s3, 1
	s_add_i32 s3, s3, s4
	s_delay_alu instid0(SALU_CYCLE_1)
	s_cmp_ge_i32 s2, s3
	s_cbranch_scc1 .LBB33_53
; %bb.1:
	s_clause 0x4
	s_load_b128 s[8:11], s[0:1], 0x30
	s_load_b64 s[24:25], s[0:1], 0x40
	s_load_b128 s[4:7], s[0:1], 0x4c
	s_load_b128 s[16:19], s[0:1], 0x68
	s_load_b64 s[26:27], s[0:1], 0x78
	v_bfe_u32 v105, v0, 10, 10
	v_and_b32_e32 v106, 0x3ff, v0
	s_ashr_i32 s31, s30, 31
	s_waitcnt lgkmcnt(0)
	s_mov_b32 s7, exec_lo
                                        ; implicit-def: $sgpr3
	v_lshlrev_b32_e32 v107, 5, v105
	v_and_b32_e32 v108, 15, v106
	s_delay_alu instid0(VALU_DEP_2) | instskip(NEXT) | instid1(VALU_DEP_1)
	v_add_nc_u32_e32 v80, v107, v106
	v_cmpx_le_i32_e64 s8, v80
	s_xor_b32 s7, exec_lo, s7
; %bb.2:
	v_and_b32_e32 v108, 15, v106
	s_mov_b32 s3, 0
                                        ; implicit-def: $vgpr80
; %bb.3:
	s_or_saveexec_b32 s36, s7
	s_clause 0x1
	s_load_b64 s[34:35], s[0:1], 0x18
	s_load_b64 s[28:29], s[0:1], 0x28
	v_dual_mov_b32 v7, s3 :: v_dual_mov_b32 v6, s3
	v_dual_mov_b32 v5, s3 :: v_dual_mov_b32 v4, s3
	;; [unrolled: 1-line block ×8, first 2 shown]
	s_lshl_b32 s7, s13, 5
	s_mul_i32 s2, s2, 11
	s_xor_b32 exec_lo, exec_lo, s36
	s_cbranch_execz .LBB33_40
; %bb.4:
	s_clause 0x1
	s_load_b128 s[20:23], s[0:1], 0x0
	s_load_b64 s[12:13], s[0:1], 0x10
	s_mul_i32 s0, s7, s11
	s_mul_i32 s14, s14, s4
	s_ashr_i32 s1, s0, 31
	s_ashr_i32 s15, s14, 31
	s_lshl_b64 s[0:1], s[0:1], 2
	s_lshl_b64 s[14:15], s[14:15], 2
	v_dual_mov_b32 v8, 0 :: v_dual_lshlrev_b32 v3, 7, v105
	s_add_u32 s0, s14, s0
	s_addc_u32 s47, s15, s1
	v_mad_u32_u24 v0, 0x900, v105, 0
	v_dual_mov_b32 v110, 0 :: v_dual_lshlrev_b32 v1, 2, v106
	v_mul_u32_u24_e32 v2, 0x90, v108
	s_mov_b32 s41, 0
	s_mul_i32 s45, s11, 3
	s_delay_alu instid0(VALU_DEP_2)
	v_dual_mov_b32 v10, v110 :: v_dual_add_nc_u32 v109, v0, v1
	s_waitcnt lgkmcnt(0)
	s_add_u32 s1, s0, s20
	s_addc_u32 s4, s47, s21
	s_lshl_b64 s[14:15], s[30:31], 2
	v_add_co_u32 v3, s0, s0, v3
	s_add_u32 s14, s12, s14
	s_addc_u32 s15, s13, s15
	s_cmp_lt_i32 s2, s33
	v_add_co_ci_u32_e64 v4, null, s47, 0, s0
	s_cselect_b32 s37, -1, 0
	s_ashr_i32 s3, s2, 31
	v_add_co_u32 v1, vcc_lo, v3, v1
	s_lshl_b64 s[12:13], s[2:3], 2
	v_add_co_ci_u32_e32 v3, vcc_lo, 0, v4, vcc_lo
	s_add_u32 s12, s14, s12
	s_addc_u32 s13, s15, s13
	s_add_i32 s3, s2, 1
	v_add_co_u32 v81, vcc_lo, s20, v1
	s_cmp_lt_i32 s3, s33
	v_add_co_ci_u32_e32 v82, vcc_lo, s21, v3, vcc_lo
	s_cselect_b32 s3, -1, 0
	s_add_i32 s14, s2, 2
	v_dual_mov_b32 v12, v110 :: v_dual_add_nc_u32 v111, v0, v2
	s_cmp_lt_i32 s14, s33
	v_dual_mov_b32 v9, v110 :: v_dual_mov_b32 v0, 0
	s_cselect_b32 s38, -1, 0
	s_add_i32 s14, s2, 3
	v_mov_b32_e32 v11, v110
	s_cmp_lt_i32 s14, s33
	v_mov_b32_e32 v13, v110
	s_cselect_b32 s39, -1, 0
	s_add_i32 s14, s2, 4
	v_mov_b32_e32 v14, v110
	s_cmp_lt_i32 s14, s33
	v_mov_b32_e32 v15, v110
	;; [unrolled: 5-line block ×5, first 2 shown]
	s_cselect_b32 s44, -1, 0
	s_add_i32 s15, s2, 8
	v_mov_b32_e32 v7, v110
	s_cmp_lt_i32 s15, s33
	s_mov_b32 s14, s11
	s_cselect_b32 s46, -1, 0
	s_add_i32 s15, s2, 9
	s_mul_i32 s49, s11, 5
	s_cmp_lt_i32 s15, s33
	s_mul_i32 s50, s11, 6
	s_cselect_b32 s47, -1, 0
	s_add_i32 s0, s2, 10
	s_mul_i32 s51, s11, 7
	s_cmp_lt_i32 s0, s33
	s_mul_i32 s53, s11, 9
	s_cselect_b32 s20, -1, 0
	s_ashr_i32 s15, s11, 31
	s_lshl_b32 s21, s11, 1
	s_lshl_b32 s48, s11, 2
	s_lshl_b64 s[14:15], s[14:15], 2
	s_lshl_b32 s52, s11, 3
	s_mul_i32 s54, s11, 10
	s_mul_i32 s55, s11, 11
	;; [unrolled: 1-line block ×6, first 2 shown]
	s_lshl_b32 s60, s11, 4
	s_mul_i32 s61, s11, 17
	s_mul_i32 s62, s11, 18
	;; [unrolled: 1-line block ×15, first 2 shown]
	s_branch .LBB33_6
.LBB33_5:                               ;   in Loop: Header=BB33_6 Depth=1
	s_waitcnt vmcnt(0)
	v_cvt_f16_f32_e32 v83, v83
	v_cvt_f16_f32_e32 v84, v84
	v_cvt_f16_f32_e32 v87, v87
	v_cvt_f16_f32_e32 v88, v88
	v_cvt_f16_f32_e32 v85, v85
	v_cvt_f16_f32_e32 v86, v86
	v_cvt_f16_f32_e32 v91, v91
	v_cvt_f16_f32_e32 v92, v92
	v_pack_b32_f16 v83, v83, v84
	v_pack_b32_f16 v84, v87, v88
	v_cvt_f16_f32_e32 v87, v89
	v_cvt_f16_f32_e32 v88, v90
	v_pack_b32_f16 v85, v85, v86
	v_pack_b32_f16 v86, v91, v92
	v_cvt_f16_f32_e32 v89, v95
	v_cvt_f16_f32_e32 v90, v96
	;; [unrolled: 1-line block ×4, first 2 shown]
	ds_store_2addr_b32 v109, v83, v84 offset1:36
	ds_store_2addr_b32 v109, v85, v86 offset0:72 offset1:108
	v_pack_b32_f16 v83, v87, v88
	v_cvt_f16_f32_e32 v86, v99
	v_cvt_f16_f32_e32 v87, v100
	v_pack_b32_f16 v84, v89, v90
	v_pack_b32_f16 v85, v91, v92
	v_cvt_f16_f32_e32 v88, v97
	v_cvt_f16_f32_e32 v89, v98
	v_cvt_f16_f32_e32 v90, v103
	v_cvt_f16_f32_e32 v91, v104
	v_cvt_f16_f32_e32 v92, v101
	v_cvt_f16_f32_e32 v93, v102
	v_pack_b32_f16 v86, v86, v87
	v_pack_b32_f16 v87, v88, v89
	v_pack_b32_f16 v88, v90, v91
	v_add_nc_u32_e32 v89, 0x400, v109
	v_pack_b32_f16 v90, v92, v93
	ds_store_2addr_b32 v109, v83, v84 offset0:144 offset1:180
	v_add_nc_u32_e32 v83, 0x600, v109
	ds_store_2addr_b32 v109, v85, v86 offset0:216 offset1:252
	ds_store_2addr_b32 v89, v87, v88 offset0:32 offset1:68
	;; [unrolled: 1-line block ×5, first 2 shown]
	ds_load_b128 v[83:86], v111
	ds_load_b128 v[87:90], v111 offset:16
	ds_load_b128 v[91:94], v111 offset:32
	;; [unrolled: 1-line block ×5, first 2 shown]
	v_add_nc_u32_e32 v80, 0x60, v80
	v_add_co_u32 v81, s0, 0x180, v81
	s_delay_alu instid0(VALU_DEP_1) | instskip(NEXT) | instid1(VALU_DEP_3)
	v_add_co_ci_u32_e64 v82, s0, 0, v82, s0
	v_cmp_le_i32_e32 vcc_lo, s8, v80
	s_or_b32 s41, vcc_lo, s41
	s_waitcnt lgkmcnt(4)
	v_wmma_f32_16x16x16_f16 v[8:15], v[48:55], v[83:90], v[8:15]
	ds_load_b128 v[48:51], v111 offset:96
	ds_load_b128 v[52:55], v111 offset:112
	v_wmma_f32_16x16x16_f16 v[0:7], v[72:79], v[83:90], v[0:7]
	s_waitcnt lgkmcnt(4)
	v_wmma_f32_16x16x16_f16 v[8:15], v[32:39], v[91:98], v[8:15]
	s_delay_alu instid0(VALU_DEP_2) | instskip(SKIP_1) | instid1(VALU_DEP_2)
	v_wmma_f32_16x16x16_f16 v[0:7], v[64:71], v[91:98], v[0:7]
	s_waitcnt lgkmcnt(2)
	v_wmma_f32_16x16x16_f16 v[8:15], v[24:31], v[112:119], v[8:15]
	s_delay_alu instid0(VALU_DEP_2) | instskip(SKIP_1) | instid1(VALU_DEP_2)
	v_wmma_f32_16x16x16_f16 v[0:7], v[56:63], v[112:119], v[0:7]
	s_waitcnt lgkmcnt(0)
	v_wmma_f32_16x16x16_f16 v[8:15], v[16:23], v[48:55], v[8:15]
	s_delay_alu instid0(VALU_DEP_2)
	v_wmma_f32_16x16x16_f16 v[0:7], v[40:47], v[48:55], v[0:7]
	s_and_not1_b32 exec_lo, exec_lo, s41
	s_cbranch_execz .LBB33_39
.LBB33_6:                               ; =>This Inner Loop Header: Depth=1
	v_dual_mov_b32 v83, 0 :: v_dual_add_nc_u32 v16, s21, v80
	v_add_nc_u32_e32 v22, s48, v80
	v_add_nc_u32_e32 v18, s45, v80
	v_add_co_u32 v20, vcc_lo, v81, s14
	s_delay_alu instid0(VALU_DEP_4)
	v_ashrrev_i32_e32 v17, 31, v16
	v_add_co_ci_u32_e32 v21, vcc_lo, s15, v82, vcc_lo
	v_ashrrev_i32_e32 v23, 31, v22
	v_ashrrev_i32_e32 v19, 31, v18
	v_add_nc_u32_e32 v24, s49, v80
	v_lshlrev_b64 v[16:17], 2, v[16:17]
	s_clause 0x1
	global_load_b32 v38, v[81:82], off
	global_load_b32 v39, v[20:21], off
	v_lshlrev_b64 v[20:21], 2, v[22:23]
	v_add_nc_u32_e32 v22, s50, v80
	v_lshlrev_b64 v[18:19], 2, v[18:19]
	v_ashrrev_i32_e32 v25, 31, v24
	v_add_nc_u32_e32 v26, s51, v80
	v_add_co_u32 v16, vcc_lo, s1, v16
	v_ashrrev_i32_e32 v23, 31, v22
	v_add_co_ci_u32_e32 v17, vcc_lo, s4, v17, vcc_lo
	v_add_nc_u32_e32 v28, s52, v80
	v_add_co_u32 v18, vcc_lo, s1, v18
	v_lshlrev_b64 v[24:25], 2, v[24:25]
	v_ashrrev_i32_e32 v27, 31, v26
	v_add_co_ci_u32_e32 v19, vcc_lo, s4, v19, vcc_lo
	v_add_nc_u32_e32 v30, s53, v80
	v_add_co_u32 v20, vcc_lo, s1, v20
	v_lshlrev_b64 v[22:23], 2, v[22:23]
	v_ashrrev_i32_e32 v29, 31, v28
	v_add_co_ci_u32_e32 v21, vcc_lo, s4, v21, vcc_lo
	v_add_co_u32 v24, vcc_lo, s1, v24
	v_lshlrev_b64 v[26:27], 2, v[26:27]
	v_ashrrev_i32_e32 v31, 31, v30
	v_add_co_ci_u32_e32 v25, vcc_lo, s4, v25, vcc_lo
	v_add_co_u32 v22, vcc_lo, s1, v22
	v_lshlrev_b64 v[28:29], 2, v[28:29]
	v_add_co_ci_u32_e32 v23, vcc_lo, s4, v23, vcc_lo
	v_add_nc_u32_e32 v32, s54, v80
	v_add_co_u32 v26, vcc_lo, s1, v26
	v_lshlrev_b64 v[30:31], 2, v[30:31]
	v_add_co_ci_u32_e32 v27, vcc_lo, s4, v27, vcc_lo
	v_add_nc_u32_e32 v34, s55, v80
	v_add_co_u32 v28, vcc_lo, s1, v28
	v_ashrrev_i32_e32 v33, 31, v32
	v_add_co_ci_u32_e32 v29, vcc_lo, s4, v29, vcc_lo
	v_add_nc_u32_e32 v36, s56, v80
	v_add_co_u32 v30, vcc_lo, s1, v30
	v_ashrrev_i32_e32 v35, 31, v34
	v_add_co_ci_u32_e32 v31, vcc_lo, s4, v31, vcc_lo
	s_clause 0x7
	global_load_b32 v40, v[16:17], off
	global_load_b32 v41, v[18:19], off
	global_load_b32 v42, v[20:21], off
	global_load_b32 v43, v[24:25], off
	global_load_b32 v44, v[22:23], off
	global_load_b32 v45, v[26:27], off
	global_load_b32 v46, v[28:29], off
	global_load_b32 v47, v[30:31], off
	v_add_nc_u32_e32 v18, s57, v80
	v_lshlrev_b64 v[32:33], 2, v[32:33]
	v_ashrrev_i32_e32 v37, 31, v36
	v_add_nc_u32_e32 v24, s58, v80
	v_lshlrev_b64 v[16:17], 2, v[34:35]
	v_ashrrev_i32_e32 v19, 31, v18
	v_add_nc_u32_e32 v26, s59, v80
	v_add_co_u32 v20, vcc_lo, s1, v32
	v_lshlrev_b64 v[22:23], 2, v[36:37]
	v_ashrrev_i32_e32 v25, 31, v24
	v_add_co_ci_u32_e32 v21, vcc_lo, s4, v33, vcc_lo
	v_add_nc_u32_e32 v28, s60, v80
	v_add_co_u32 v16, vcc_lo, s1, v16
	v_lshlrev_b64 v[18:19], 2, v[18:19]
	v_ashrrev_i32_e32 v27, 31, v26
	v_add_co_ci_u32_e32 v17, vcc_lo, s4, v17, vcc_lo
	v_add_nc_u32_e32 v30, s61, v80
	v_add_co_u32 v22, vcc_lo, s1, v22
	v_lshlrev_b64 v[24:25], 2, v[24:25]
	v_ashrrev_i32_e32 v29, 31, v28
	v_add_co_ci_u32_e32 v23, vcc_lo, s4, v23, vcc_lo
	v_add_co_u32 v18, vcc_lo, s1, v18
	v_lshlrev_b64 v[26:27], 2, v[26:27]
	v_ashrrev_i32_e32 v31, 31, v30
	v_add_co_ci_u32_e32 v19, vcc_lo, s4, v19, vcc_lo
	v_add_co_u32 v24, vcc_lo, s1, v24
	v_lshlrev_b64 v[28:29], 2, v[28:29]
	v_add_co_ci_u32_e32 v25, vcc_lo, s4, v25, vcc_lo
	v_add_nc_u32_e32 v32, s62, v80
	v_add_co_u32 v26, vcc_lo, s1, v26
	v_lshlrev_b64 v[30:31], 2, v[30:31]
	v_add_co_ci_u32_e32 v27, vcc_lo, s4, v27, vcc_lo
	v_add_nc_u32_e32 v34, s63, v80
	v_add_co_u32 v28, vcc_lo, s1, v28
	v_ashrrev_i32_e32 v33, 31, v32
	v_add_co_ci_u32_e32 v29, vcc_lo, s4, v29, vcc_lo
	v_add_nc_u32_e32 v36, s64, v80
	v_add_co_u32 v30, vcc_lo, s1, v30
	v_ashrrev_i32_e32 v35, 31, v34
	v_add_co_ci_u32_e32 v31, vcc_lo, s4, v31, vcc_lo
	s_clause 0x7
	global_load_b32 v48, v[20:21], off
	global_load_b32 v49, v[16:17], off
	global_load_b32 v50, v[22:23], off
	global_load_b32 v51, v[18:19], off
	global_load_b32 v52, v[24:25], off
	global_load_b32 v53, v[26:27], off
	global_load_b32 v56, v[28:29], off
	global_load_b32 v57, v[30:31], off
	v_add_nc_u32_e32 v18, s65, v80
	v_lshlrev_b64 v[32:33], 2, v[32:33]
	v_ashrrev_i32_e32 v37, 31, v36
	v_add_nc_u32_e32 v24, s66, v80
	v_lshlrev_b64 v[16:17], 2, v[34:35]
	v_ashrrev_i32_e32 v19, 31, v18
	v_add_nc_u32_e32 v26, s67, v80
	v_add_co_u32 v20, vcc_lo, s1, v32
	v_lshlrev_b64 v[22:23], 2, v[36:37]
	;; [unrolled: 49-line block ×3, first 2 shown]
	v_ashrrev_i32_e32 v25, 31, v24
	v_add_co_ci_u32_e32 v21, vcc_lo, s4, v33, vcc_lo
	v_add_co_u32 v16, vcc_lo, s1, v16
	v_lshlrev_b64 v[18:19], 2, v[18:19]
	v_ashrrev_i32_e32 v27, 31, v26
	v_add_co_ci_u32_e32 v17, vcc_lo, s4, v17, vcc_lo
	v_add_co_u32 v22, vcc_lo, s1, v22
	v_lshlrev_b64 v[24:25], 2, v[24:25]
	v_add_co_ci_u32_e32 v23, vcc_lo, s4, v23, vcc_lo
	v_add_co_u32 v18, vcc_lo, s1, v18
	v_lshlrev_b64 v[26:27], 2, v[26:27]
	v_add_co_ci_u32_e32 v19, vcc_lo, s4, v19, vcc_lo
	v_add_co_u32 v24, vcc_lo, s1, v24
	v_add_co_ci_u32_e32 v25, vcc_lo, s4, v25, vcc_lo
	s_delay_alu instid0(VALU_DEP_4)
	v_add_co_u32 v26, vcc_lo, s1, v26
	v_add_co_ci_u32_e32 v27, vcc_lo, s4, v27, vcc_lo
	s_clause 0x5
	global_load_b32 v66, v[20:21], off
	global_load_b32 v67, v[16:17], off
	global_load_b32 v68, v[22:23], off
	global_load_b32 v69, v[18:19], off
	global_load_b32 v70, v[24:25], off
	global_load_b32 v71, v[26:27], off
	v_mov_b32_e32 v84, 0
	s_and_not1_b32 vcc_lo, exec_lo, s37
	s_waitcnt vmcnt(31)
	ds_store_b32 v109, v38
	s_waitcnt vmcnt(30)
	ds_store_b32 v109, v39 offset:144
	s_waitcnt vmcnt(29)
	ds_store_b32 v109, v40 offset:288
	s_waitcnt vmcnt(28)
	ds_store_b32 v109, v41 offset:432
	s_waitcnt vmcnt(27)
	ds_store_b32 v109, v42 offset:576
	s_waitcnt vmcnt(26)
	ds_store_b32 v109, v43 offset:720
	s_waitcnt vmcnt(25)
	ds_store_b32 v109, v44 offset:864
	s_waitcnt vmcnt(24)
	ds_store_b32 v109, v45 offset:1008
	s_waitcnt vmcnt(23)
	ds_store_b32 v109, v46 offset:1152
	s_waitcnt vmcnt(22)
	ds_store_b32 v109, v47 offset:1296
	s_waitcnt vmcnt(21)
	ds_store_b32 v109, v48 offset:1440
	s_waitcnt vmcnt(20)
	ds_store_b32 v109, v49 offset:1584
	s_waitcnt vmcnt(19)
	ds_store_b32 v109, v50 offset:1728
	s_waitcnt vmcnt(18)
	ds_store_b32 v109, v51 offset:1872
	s_waitcnt vmcnt(17)
	ds_store_b32 v109, v52 offset:2016
	s_waitcnt vmcnt(16)
	ds_store_b32 v109, v53 offset:2160
	ds_load_b128 v[48:51], v111
	ds_load_b128 v[52:55], v111 offset:16
	ds_load_b128 v[32:35], v111 offset:32
	;; [unrolled: 1-line block ×7, first 2 shown]
	s_waitcnt vmcnt(15)
	ds_store_b32 v109, v56
	s_waitcnt vmcnt(14)
	ds_store_b32 v109, v57 offset:144
	s_waitcnt vmcnt(13)
	ds_store_b32 v109, v58 offset:288
	;; [unrolled: 2-line block ×15, first 2 shown]
	ds_load_b128 v[72:75], v111
	ds_load_b128 v[76:79], v111 offset:16
	ds_load_b128 v[64:67], v111 offset:32
	;; [unrolled: 1-line block ×7, first 2 shown]
	s_cbranch_vccnz .LBB33_9
; %bb.7:                                ;   in Loop: Header=BB33_6 Depth=1
	s_load_b32 s0, s[12:13], 0x0
	v_dual_mov_b32 v84, 0 :: v_dual_mov_b32 v83, 0
	s_waitcnt lgkmcnt(0)
	s_mul_hi_u32 s75, s0, s16
	s_delay_alu instid0(SALU_CYCLE_1) | instskip(NEXT) | instid1(SALU_CYCLE_1)
	s_add_i32 s75, s0, s75
	s_lshr_b32 s75, s75, s17
	s_delay_alu instid0(SALU_CYCLE_1)
	s_cmp_ge_i32 s75, s9
	s_cbranch_scc1 .LBB33_9
; %bb.8:                                ;   in Loop: Header=BB33_6 Depth=1
	v_mad_u64_u32 v[83:84], null, s75, s24, v[80:81]
	s_mul_i32 s75, s75, s18
	s_delay_alu instid0(SALU_CYCLE_1) | instskip(NEXT) | instid1(SALU_CYCLE_1)
	s_sub_i32 s0, s0, s75
	s_mul_i32 s0, s0, s5
	s_delay_alu instid0(VALU_DEP_1) | instid1(SALU_CYCLE_1)
	v_lshl_add_u32 v83, v83, 1, s0
	s_delay_alu instid0(VALU_DEP_1) | instskip(NEXT) | instid1(VALU_DEP_1)
	v_ashrrev_i32_e32 v84, 31, v83
	v_lshlrev_b64 v[83:84], 2, v[83:84]
	s_delay_alu instid0(VALU_DEP_1) | instskip(NEXT) | instid1(VALU_DEP_2)
	v_add_co_u32 v83, vcc_lo, s22, v83
	v_add_co_ci_u32_e32 v84, vcc_lo, s23, v84, vcc_lo
	global_load_b64 v[83:84], v[83:84], off
.LBB33_9:                               ;   in Loop: Header=BB33_6 Depth=1
	v_dual_mov_b32 v85, 0 :: v_dual_mov_b32 v88, 0
	v_mov_b32_e32 v87, 0
	s_and_not1_b32 vcc_lo, exec_lo, s3
	s_cbranch_vccnz .LBB33_12
; %bb.10:                               ;   in Loop: Header=BB33_6 Depth=1
	s_load_b32 s0, s[12:13], 0x4
	v_dual_mov_b32 v88, 0 :: v_dual_mov_b32 v87, 0
	s_waitcnt lgkmcnt(0)
	s_mul_hi_u32 s75, s0, s16
	s_delay_alu instid0(SALU_CYCLE_1) | instskip(NEXT) | instid1(SALU_CYCLE_1)
	s_add_i32 s75, s0, s75
	s_lshr_b32 s75, s75, s17
	s_delay_alu instid0(SALU_CYCLE_1)
	s_cmp_ge_i32 s75, s9
	s_cbranch_scc1 .LBB33_12
; %bb.11:                               ;   in Loop: Header=BB33_6 Depth=1
	v_mad_u64_u32 v[86:87], null, s75, s24, v[80:81]
	s_mul_i32 s75, s75, s18
	s_delay_alu instid0(SALU_CYCLE_1) | instskip(NEXT) | instid1(SALU_CYCLE_1)
	s_sub_i32 s0, s0, s75
	s_mul_i32 s0, s0, s5
	s_delay_alu instid0(VALU_DEP_1) | instid1(SALU_CYCLE_1)
	v_lshl_add_u32 v86, v86, 1, s0
	s_delay_alu instid0(VALU_DEP_1) | instskip(NEXT) | instid1(VALU_DEP_1)
	v_ashrrev_i32_e32 v87, 31, v86
	v_lshlrev_b64 v[86:87], 2, v[86:87]
	s_delay_alu instid0(VALU_DEP_1) | instskip(NEXT) | instid1(VALU_DEP_2)
	v_add_co_u32 v86, vcc_lo, s22, v86
	v_add_co_ci_u32_e32 v87, vcc_lo, s23, v87, vcc_lo
	global_load_b64 v[87:88], v[86:87], off
.LBB33_12:                              ;   in Loop: Header=BB33_6 Depth=1
	v_mov_b32_e32 v86, 0
	s_and_not1_b32 vcc_lo, exec_lo, s38
	s_cbranch_vccnz .LBB33_15
; %bb.13:                               ;   in Loop: Header=BB33_6 Depth=1
	s_load_b32 s0, s[12:13], 0x8
	v_dual_mov_b32 v86, 0 :: v_dual_mov_b32 v85, 0
	s_waitcnt lgkmcnt(0)
	s_mul_hi_u32 s75, s0, s16
	s_delay_alu instid0(SALU_CYCLE_1) | instskip(NEXT) | instid1(SALU_CYCLE_1)
	s_add_i32 s75, s0, s75
	s_lshr_b32 s75, s75, s17
	s_delay_alu instid0(SALU_CYCLE_1)
	s_cmp_ge_i32 s75, s9
	s_cbranch_scc1 .LBB33_15
; %bb.14:                               ;   in Loop: Header=BB33_6 Depth=1
	v_mad_u64_u32 v[85:86], null, s75, s24, v[80:81]
	s_mul_i32 s75, s75, s18
	s_delay_alu instid0(SALU_CYCLE_1) | instskip(NEXT) | instid1(SALU_CYCLE_1)
	s_sub_i32 s0, s0, s75
	s_mul_i32 s0, s0, s5
	s_delay_alu instid0(VALU_DEP_1) | instid1(SALU_CYCLE_1)
	v_lshl_add_u32 v85, v85, 1, s0
	s_delay_alu instid0(VALU_DEP_1) | instskip(NEXT) | instid1(VALU_DEP_1)
	v_ashrrev_i32_e32 v86, 31, v85
	v_lshlrev_b64 v[85:86], 2, v[85:86]
	s_delay_alu instid0(VALU_DEP_1) | instskip(NEXT) | instid1(VALU_DEP_2)
	v_add_co_u32 v85, vcc_lo, s22, v85
	v_add_co_ci_u32_e32 v86, vcc_lo, s23, v86, vcc_lo
	global_load_b64 v[85:86], v[85:86], off
.LBB33_15:                              ;   in Loop: Header=BB33_6 Depth=1
	v_dual_mov_b32 v89, 0 :: v_dual_mov_b32 v92, 0
	v_mov_b32_e32 v91, 0
	s_and_not1_b32 vcc_lo, exec_lo, s39
	s_cbranch_vccnz .LBB33_18
; %bb.16:                               ;   in Loop: Header=BB33_6 Depth=1
	s_load_b32 s0, s[12:13], 0xc
	v_dual_mov_b32 v92, 0 :: v_dual_mov_b32 v91, 0
	s_waitcnt lgkmcnt(0)
	s_mul_hi_u32 s75, s0, s16
	s_delay_alu instid0(SALU_CYCLE_1) | instskip(NEXT) | instid1(SALU_CYCLE_1)
	s_add_i32 s75, s0, s75
	s_lshr_b32 s75, s75, s17
	s_delay_alu instid0(SALU_CYCLE_1)
	s_cmp_ge_i32 s75, s9
	s_cbranch_scc1 .LBB33_18
; %bb.17:                               ;   in Loop: Header=BB33_6 Depth=1
	v_mad_u64_u32 v[90:91], null, s75, s24, v[80:81]
	s_mul_i32 s75, s75, s18
	s_delay_alu instid0(SALU_CYCLE_1) | instskip(NEXT) | instid1(SALU_CYCLE_1)
	s_sub_i32 s0, s0, s75
	s_mul_i32 s0, s0, s5
	s_delay_alu instid0(VALU_DEP_1) | instid1(SALU_CYCLE_1)
	v_lshl_add_u32 v90, v90, 1, s0
	s_delay_alu instid0(VALU_DEP_1) | instskip(NEXT) | instid1(VALU_DEP_1)
	v_ashrrev_i32_e32 v91, 31, v90
	v_lshlrev_b64 v[90:91], 2, v[90:91]
	s_delay_alu instid0(VALU_DEP_1) | instskip(NEXT) | instid1(VALU_DEP_2)
	v_add_co_u32 v90, vcc_lo, s22, v90
	v_add_co_ci_u32_e32 v91, vcc_lo, s23, v91, vcc_lo
	global_load_b64 v[91:92], v[90:91], off
.LBB33_18:                              ;   in Loop: Header=BB33_6 Depth=1
	v_mov_b32_e32 v90, 0
	s_and_not1_b32 vcc_lo, exec_lo, s40
	s_cbranch_vccnz .LBB33_21
; %bb.19:                               ;   in Loop: Header=BB33_6 Depth=1
	s_load_b32 s0, s[12:13], 0x10
	v_dual_mov_b32 v90, 0 :: v_dual_mov_b32 v89, 0
	s_waitcnt lgkmcnt(0)
	s_mul_hi_u32 s75, s0, s16
	s_delay_alu instid0(SALU_CYCLE_1) | instskip(NEXT) | instid1(SALU_CYCLE_1)
	s_add_i32 s75, s0, s75
	s_lshr_b32 s75, s75, s17
	s_delay_alu instid0(SALU_CYCLE_1)
	s_cmp_ge_i32 s75, s9
	s_cbranch_scc1 .LBB33_21
; %bb.20:                               ;   in Loop: Header=BB33_6 Depth=1
	v_mad_u64_u32 v[89:90], null, s75, s24, v[80:81]
	s_mul_i32 s75, s75, s18
	s_delay_alu instid0(SALU_CYCLE_1) | instskip(NEXT) | instid1(SALU_CYCLE_1)
	s_sub_i32 s0, s0, s75
	s_mul_i32 s0, s0, s5
	s_delay_alu instid0(VALU_DEP_1) | instid1(SALU_CYCLE_1)
	v_lshl_add_u32 v89, v89, 1, s0
	s_delay_alu instid0(VALU_DEP_1) | instskip(NEXT) | instid1(VALU_DEP_1)
	v_ashrrev_i32_e32 v90, 31, v89
	v_lshlrev_b64 v[89:90], 2, v[89:90]
	s_delay_alu instid0(VALU_DEP_1) | instskip(NEXT) | instid1(VALU_DEP_2)
	v_add_co_u32 v89, vcc_lo, s22, v89
	v_add_co_ci_u32_e32 v90, vcc_lo, s23, v90, vcc_lo
	global_load_b64 v[89:90], v[89:90], off
.LBB33_21:                              ;   in Loop: Header=BB33_6 Depth=1
	;; [unrolled: 61-line block ×4, first 2 shown]
	v_dual_mov_b32 v101, 0 :: v_dual_mov_b32 v104, 0
	v_mov_b32_e32 v103, 0
	s_and_not1_b32 vcc_lo, exec_lo, s47
	s_cbranch_vccnz .LBB33_36
; %bb.34:                               ;   in Loop: Header=BB33_6 Depth=1
	s_load_b32 s0, s[12:13], 0x24
	v_dual_mov_b32 v104, 0 :: v_dual_mov_b32 v103, 0
	s_waitcnt lgkmcnt(0)
	s_mul_hi_u32 s75, s0, s16
	s_delay_alu instid0(SALU_CYCLE_1) | instskip(NEXT) | instid1(SALU_CYCLE_1)
	s_add_i32 s75, s0, s75
	s_lshr_b32 s75, s75, s17
	s_delay_alu instid0(SALU_CYCLE_1)
	s_cmp_ge_i32 s75, s9
	s_cbranch_scc1 .LBB33_36
; %bb.35:                               ;   in Loop: Header=BB33_6 Depth=1
	v_mad_u64_u32 v[102:103], null, s75, s24, v[80:81]
	s_mul_i32 s75, s75, s18
	s_delay_alu instid0(SALU_CYCLE_1) | instskip(NEXT) | instid1(SALU_CYCLE_1)
	s_sub_i32 s0, s0, s75
	s_mul_i32 s0, s0, s5
	s_delay_alu instid0(VALU_DEP_1) | instid1(SALU_CYCLE_1)
	v_lshl_add_u32 v102, v102, 1, s0
	s_delay_alu instid0(VALU_DEP_1) | instskip(NEXT) | instid1(VALU_DEP_1)
	v_ashrrev_i32_e32 v103, 31, v102
	v_lshlrev_b64 v[102:103], 2, v[102:103]
	s_delay_alu instid0(VALU_DEP_1) | instskip(NEXT) | instid1(VALU_DEP_2)
	v_add_co_u32 v102, vcc_lo, s22, v102
	v_add_co_ci_u32_e32 v103, vcc_lo, s23, v103, vcc_lo
	global_load_b64 v[103:104], v[102:103], off
.LBB33_36:                              ;   in Loop: Header=BB33_6 Depth=1
	v_mov_b32_e32 v102, 0
	s_and_not1_b32 vcc_lo, exec_lo, s20
	s_cbranch_vccnz .LBB33_5
; %bb.37:                               ;   in Loop: Header=BB33_6 Depth=1
	s_load_b32 s0, s[12:13], 0x28
	v_dual_mov_b32 v102, 0 :: v_dual_mov_b32 v101, 0
	s_waitcnt lgkmcnt(0)
	s_mul_hi_u32 s75, s0, s16
	s_delay_alu instid0(SALU_CYCLE_1) | instskip(NEXT) | instid1(SALU_CYCLE_1)
	s_add_i32 s75, s0, s75
	s_lshr_b32 s75, s75, s17
	s_delay_alu instid0(SALU_CYCLE_1)
	s_cmp_ge_i32 s75, s9
	s_cbranch_scc1 .LBB33_5
; %bb.38:                               ;   in Loop: Header=BB33_6 Depth=1
	v_mad_u64_u32 v[101:102], null, s75, s24, v[80:81]
	s_mul_i32 s75, s75, s18
	s_delay_alu instid0(SALU_CYCLE_1) | instskip(NEXT) | instid1(SALU_CYCLE_1)
	s_sub_i32 s0, s0, s75
	s_mul_i32 s0, s0, s5
	s_delay_alu instid0(VALU_DEP_1) | instid1(SALU_CYCLE_1)
	v_lshl_add_u32 v101, v101, 1, s0
	s_delay_alu instid0(VALU_DEP_1) | instskip(NEXT) | instid1(VALU_DEP_1)
	v_ashrrev_i32_e32 v102, 31, v101
	v_lshlrev_b64 v[101:102], 2, v[101:102]
	s_delay_alu instid0(VALU_DEP_1) | instskip(NEXT) | instid1(VALU_DEP_2)
	v_add_co_u32 v101, vcc_lo, s22, v101
	v_add_co_ci_u32_e32 v102, vcc_lo, s23, v102, vcc_lo
	global_load_b64 v[101:102], v[101:102], off
	s_branch .LBB33_5
.LBB33_39:
	s_or_b32 exec_lo, exec_lo, s41
.LBB33_40:
	s_delay_alu instid0(SALU_CYCLE_1)
	s_or_b32 exec_lo, exec_lo, s36
	v_lshrrev_b32_e32 v16, 2, v106
	v_mad_u32_u24 v17, 0x190, v108, 0
	v_lshlrev_b32_e32 v18, 2, v107
	s_waitcnt lgkmcnt(0)
	s_barrier
	v_and_b32_e32 v16, 0xfc, v16
	buffer_gl0_inv
	s_lshl_b64 s[4:5], s[30:31], 2
	v_cmp_gt_u32_e64 s0, 11, v105
	s_add_u32 s1, s34, s4
	v_add3_u32 v16, v17, v16, v18
	s_addc_u32 s3, s35, s5
	s_cmp_gt_i32 s10, 0
	ds_store_2addr_b32 v16, v8, v9 offset1:2
	ds_store_2addr_b32 v16, v10, v11 offset0:4 offset1:6
	ds_store_2addr_b32 v16, v12, v13 offset0:8 offset1:10
	;; [unrolled: 1-line block ×6, first 2 shown]
	v_add_nc_u32_e32 v0, s2, v105
	s_cselect_b32 s4, -1, 0
	v_lshl_add_u32 v4, v106, 2, 0
	v_add_nc_u32_e32 v3, s7, v106
	v_mul_u32_u24_e32 v5, 0x190, v105
	v_cmp_gt_i32_e32 vcc_lo, s33, v0
	ds_store_2addr_b32 v16, v6, v7 offset0:28 offset1:30
	s_waitcnt lgkmcnt(0)
	s_barrier
	buffer_gl0_inv
	s_and_b32 s5, s4, vcc_lo
	s_delay_alu instid0(SALU_CYCLE_1) | instskip(NEXT) | instid1(SALU_CYCLE_1)
	s_and_b32 s5, s0, s5
	s_and_saveexec_b32 s0, s5
	s_cbranch_execz .LBB33_43
; %bb.41:
	v_ashrrev_i32_e32 v1, 31, v0
	s_delay_alu instid0(VALU_DEP_1) | instskip(NEXT) | instid1(VALU_DEP_1)
	v_lshlrev_b64 v[1:2], 2, v[0:1]
	v_add_co_u32 v1, vcc_lo, s1, v1
	s_delay_alu instid0(VALU_DEP_2) | instskip(SKIP_3) | instid1(VALU_DEP_1)
	v_add_co_ci_u32_e32 v2, vcc_lo, s3, v2, vcc_lo
	global_load_b32 v1, v[1:2], off
	s_waitcnt vmcnt(0)
	v_mul_hi_u32 v2, v1, s19
	v_add_nc_u32_e32 v2, v1, v2
	s_delay_alu instid0(VALU_DEP_1) | instskip(NEXT) | instid1(VALU_DEP_1)
	v_lshrrev_b32_e32 v2, s26, v2
	v_cmp_gt_i32_e32 vcc_lo, s9, v2
	s_and_b32 exec_lo, exec_lo, vcc_lo
	s_cbranch_execz .LBB33_43
; %bb.42:
	v_add_nc_u32_e32 v8, v4, v5
	v_mul_lo_u32 v9, v2, s27
	ds_load_2addr_b32 v[6:7], v8 offset1:32
	ds_load_b32 v8, v8 offset:256
	v_sub_nc_u32_e32 v1, v1, v9
	v_mul_lo_u32 v9, v2, s25
	v_mov_b32_e32 v2, 0
	s_delay_alu instid0(VALU_DEP_3) | instskip(NEXT) | instid1(VALU_DEP_1)
	v_mul_lo_u32 v1, v1, s6
	v_add3_u32 v1, v3, v9, v1
	s_waitcnt lgkmcnt(1)
	v_add_f32_e32 v6, 0, v6
	s_delay_alu instid0(VALU_DEP_2) | instskip(NEXT) | instid1(VALU_DEP_2)
	v_lshlrev_b64 v[1:2], 2, v[1:2]
	v_add_f32_e32 v6, v6, v7
	s_delay_alu instid0(VALU_DEP_2) | instskip(SKIP_1) | instid1(VALU_DEP_2)
	v_add_co_u32 v1, vcc_lo, s28, v1
	s_waitcnt lgkmcnt(0)
	v_add_f32_e32 v6, v6, v8
	s_delay_alu instid0(VALU_DEP_4)
	v_add_co_ci_u32_e32 v2, vcc_lo, s29, v2, vcc_lo
	global_store_b32 v[1:2], v6, off
.LBB33_43:
	s_or_b32 exec_lo, exec_lo, s0
	v_add_nc_u32_e32 v1, 3, v0
	v_cmp_gt_u32_e64 s0, 8, v105
	s_delay_alu instid0(VALU_DEP_2)
	v_cmp_gt_i32_e32 vcc_lo, s33, v1
	s_and_b32 s5, s4, vcc_lo
	s_delay_alu instid0(VALU_DEP_2) | instid1(SALU_CYCLE_1)
	s_and_b32 s5, s0, s5
	s_delay_alu instid0(SALU_CYCLE_1)
	s_and_saveexec_b32 s0, s5
	s_cbranch_execz .LBB33_46
; %bb.44:
	s_ashr_i32 s5, s2, 31
	v_add_co_u32 v1, s7, v105, s2
	s_delay_alu instid0(VALU_DEP_1) | instskip(NEXT) | instid1(VALU_DEP_1)
	v_add_co_ci_u32_e64 v2, null, 0, s5, s7
	v_lshlrev_b64 v[1:2], 2, v[1:2]
	s_delay_alu instid0(VALU_DEP_1) | instskip(NEXT) | instid1(VALU_DEP_2)
	v_add_co_u32 v1, vcc_lo, s1, v1
	v_add_co_ci_u32_e32 v2, vcc_lo, s3, v2, vcc_lo
	global_load_b32 v1, v[1:2], off offset:12
	s_waitcnt vmcnt(0)
	v_mul_hi_u32 v2, v1, s19
	s_delay_alu instid0(VALU_DEP_1) | instskip(NEXT) | instid1(VALU_DEP_1)
	v_add_nc_u32_e32 v2, v1, v2
	v_lshrrev_b32_e32 v6, s26, v2
	v_mov_b32_e32 v2, 0
	s_delay_alu instid0(VALU_DEP_2)
	v_cmp_gt_i32_e32 vcc_lo, s9, v6
	s_and_b32 exec_lo, exec_lo, vcc_lo
	s_cbranch_execz .LBB33_46
; %bb.45:
	v_add_nc_u32_e32 v9, v5, v4
	v_mul_lo_u32 v10, v6, s27
	v_mul_lo_u32 v6, v6, s25
	s_delay_alu instid0(VALU_DEP_3) | instskip(SKIP_4) | instid1(VALU_DEP_1)
	v_add_nc_u32_e32 v7, 0x400, v9
	ds_load_b32 v9, v9 offset:1456
	v_sub_nc_u32_e32 v1, v1, v10
	ds_load_2addr_b32 v[7:8], v7 offset0:44 offset1:76
	v_mul_lo_u32 v1, v1, s6
	v_add3_u32 v1, v3, v6, v1
	s_delay_alu instid0(VALU_DEP_1) | instskip(SKIP_2) | instid1(VALU_DEP_2)
	v_lshlrev_b64 v[1:2], 2, v[1:2]
	s_waitcnt lgkmcnt(0)
	v_add_f32_e32 v7, 0, v7
	v_add_co_u32 v1, vcc_lo, s28, v1
	s_delay_alu instid0(VALU_DEP_2) | instskip(NEXT) | instid1(VALU_DEP_4)
	v_add_f32_e32 v6, v7, v8
	v_add_co_ci_u32_e32 v2, vcc_lo, s29, v2, vcc_lo
	s_delay_alu instid0(VALU_DEP_2)
	v_add_f32_e32 v6, v6, v9
	global_store_b32 v[1:2], v6, off
.LBB33_46:
	s_or_b32 exec_lo, exec_lo, s0
	v_add_nc_u32_e32 v1, 6, v0
	v_cmp_gt_u32_e64 s0, 5, v105
	s_delay_alu instid0(VALU_DEP_2)
	v_cmp_gt_i32_e32 vcc_lo, s33, v1
	s_and_b32 s5, s4, vcc_lo
	s_delay_alu instid0(VALU_DEP_2) | instid1(SALU_CYCLE_1)
	s_and_b32 s5, s0, s5
	s_delay_alu instid0(SALU_CYCLE_1)
	s_and_saveexec_b32 s0, s5
	s_cbranch_execz .LBB33_49
; %bb.47:
	s_ashr_i32 s5, s2, 31
	v_add_co_u32 v1, s7, v105, s2
	s_delay_alu instid0(VALU_DEP_1) | instskip(NEXT) | instid1(VALU_DEP_1)
	v_add_co_ci_u32_e64 v2, null, 0, s5, s7
	v_lshlrev_b64 v[1:2], 2, v[1:2]
	s_delay_alu instid0(VALU_DEP_1) | instskip(NEXT) | instid1(VALU_DEP_2)
	v_add_co_u32 v1, vcc_lo, s1, v1
	v_add_co_ci_u32_e32 v2, vcc_lo, s3, v2, vcc_lo
	global_load_b32 v1, v[1:2], off offset:24
	s_waitcnt vmcnt(0)
	v_mul_hi_u32 v2, v1, s19
	s_delay_alu instid0(VALU_DEP_1) | instskip(NEXT) | instid1(VALU_DEP_1)
	v_add_nc_u32_e32 v2, v1, v2
	v_lshrrev_b32_e32 v6, s26, v2
	v_mov_b32_e32 v2, 0
	s_delay_alu instid0(VALU_DEP_2)
	v_cmp_gt_i32_e32 vcc_lo, s9, v6
	s_and_b32 exec_lo, exec_lo, vcc_lo
	s_cbranch_execz .LBB33_49
; %bb.48:
	v_add_nc_u32_e32 v9, v4, v5
	v_mul_lo_u32 v10, v6, s27
	v_mul_lo_u32 v6, v6, s25
	s_delay_alu instid0(VALU_DEP_3) | instskip(NEXT) | instid1(VALU_DEP_3)
	v_add_nc_u32_e32 v7, 0x800, v9
	v_sub_nc_u32_e32 v1, v1, v10
	ds_load_2addr_b32 v[7:8], v7 offset0:88 offset1:120
	v_mul_lo_u32 v1, v1, s6
	s_delay_alu instid0(VALU_DEP_1) | instskip(NEXT) | instid1(VALU_DEP_1)
	v_add3_u32 v1, v3, v6, v1
	v_lshlrev_b64 v[1:2], 2, v[1:2]
	s_waitcnt lgkmcnt(0)
	v_add_f32_e32 v7, 0, v7
	s_delay_alu instid0(VALU_DEP_2) | instskip(NEXT) | instid1(VALU_DEP_2)
	v_add_co_u32 v1, vcc_lo, s28, v1
	v_add_f32_e32 v6, v7, v8
	ds_load_b32 v9, v9 offset:2656
	v_add_co_ci_u32_e32 v2, vcc_lo, s29, v2, vcc_lo
	s_waitcnt lgkmcnt(0)
	v_add_f32_e32 v6, v6, v9
	global_store_b32 v[1:2], v6, off
.LBB33_49:
	s_or_b32 exec_lo, exec_lo, s0
	s_delay_alu instid0(SALU_CYCLE_1)
	s_mov_b32 s0, exec_lo
	v_cmpx_gt_u32_e32 2, v105
	s_cbranch_execz .LBB33_53
; %bb.50:
	v_add_nc_u32_e32 v0, 9, v0
	s_delay_alu instid0(VALU_DEP_1) | instskip(SKIP_1) | instid1(SALU_CYCLE_1)
	v_cmp_gt_i32_e32 vcc_lo, s33, v0
	s_and_b32 s0, s4, vcc_lo
	s_and_b32 exec_lo, exec_lo, s0
	s_cbranch_execz .LBB33_53
; %bb.51:
	s_ashr_i32 s0, s2, 31
	v_add_co_u32 v0, s2, v105, s2
	s_delay_alu instid0(VALU_DEP_1) | instskip(NEXT) | instid1(VALU_DEP_1)
	v_add_co_ci_u32_e64 v1, null, 0, s0, s2
	v_lshlrev_b64 v[0:1], 2, v[0:1]
	s_delay_alu instid0(VALU_DEP_1) | instskip(NEXT) | instid1(VALU_DEP_2)
	v_add_co_u32 v0, vcc_lo, s1, v0
	v_add_co_ci_u32_e32 v1, vcc_lo, s3, v1, vcc_lo
	global_load_b32 v0, v[0:1], off offset:36
	s_waitcnt vmcnt(0)
	v_mul_hi_u32 v1, v0, s19
	s_delay_alu instid0(VALU_DEP_1) | instskip(NEXT) | instid1(VALU_DEP_1)
	v_add_nc_u32_e32 v1, v0, v1
	v_lshrrev_b32_e32 v2, s26, v1
	v_mov_b32_e32 v1, 0
	s_delay_alu instid0(VALU_DEP_2)
	v_cmp_gt_i32_e32 vcc_lo, s9, v2
	s_and_b32 exec_lo, exec_lo, vcc_lo
	s_cbranch_execz .LBB33_53
; %bb.52:
	v_add_nc_u32_e32 v6, v4, v5
	v_mul_lo_u32 v7, v2, s27
	v_mul_lo_u32 v2, v2, s25
	s_delay_alu instid0(VALU_DEP_3) | instskip(SKIP_4) | instid1(VALU_DEP_1)
	v_add_nc_u32_e32 v4, 0xc00, v6
	ds_load_b32 v6, v6 offset:3856
	v_sub_nc_u32_e32 v0, v0, v7
	ds_load_2addr_b32 v[4:5], v4 offset0:132 offset1:164
	v_mul_lo_u32 v0, v0, s6
	v_add3_u32 v0, v3, v2, v0
	s_delay_alu instid0(VALU_DEP_1) | instskip(SKIP_2) | instid1(VALU_DEP_2)
	v_lshlrev_b64 v[0:1], 2, v[0:1]
	s_waitcnt lgkmcnt(0)
	v_add_f32_e32 v4, 0, v4
	v_add_co_u32 v0, vcc_lo, s28, v0
	s_delay_alu instid0(VALU_DEP_2) | instskip(NEXT) | instid1(VALU_DEP_4)
	v_add_f32_e32 v2, v4, v5
	v_add_co_ci_u32_e32 v1, vcc_lo, s29, v1, vcc_lo
	s_delay_alu instid0(VALU_DEP_2)
	v_add_f32_e32 v2, v2, v6
	global_store_b32 v[0:1], v2, off
.LBB33_53:
	s_nop 0
	s_sendmsg sendmsg(MSG_DEALLOC_VGPRS)
	s_endpgm
	.section	.rodata,"a",@progbits
	.p2align	6, 0x0
	.amdhsa_kernel _ZL13mul_mat_f_idsI7__half2Li32ELi11ELi3EEvPKT_PKfPKiS7_S7_Pfiiiiiiiiiiiiii15HIP_vector_typeIjLj3EESA_
		.amdhsa_group_segment_fixed_size 0
		.amdhsa_private_segment_fixed_size 0
		.amdhsa_kernarg_size 128
		.amdhsa_user_sgpr_count 13
		.amdhsa_user_sgpr_dispatch_ptr 0
		.amdhsa_user_sgpr_queue_ptr 0
		.amdhsa_user_sgpr_kernarg_segment_ptr 1
		.amdhsa_user_sgpr_dispatch_id 0
		.amdhsa_user_sgpr_private_segment_size 0
		.amdhsa_wavefront_size32 1
		.amdhsa_uses_dynamic_stack 0
		.amdhsa_enable_private_segment 0
		.amdhsa_system_sgpr_workgroup_id_x 1
		.amdhsa_system_sgpr_workgroup_id_y 1
		.amdhsa_system_sgpr_workgroup_id_z 1
		.amdhsa_system_sgpr_workgroup_info 0
		.amdhsa_system_vgpr_workitem_id 1
		.amdhsa_next_free_vgpr 120
		.amdhsa_next_free_sgpr 76
		.amdhsa_reserve_vcc 1
		.amdhsa_float_round_mode_32 0
		.amdhsa_float_round_mode_16_64 0
		.amdhsa_float_denorm_mode_32 3
		.amdhsa_float_denorm_mode_16_64 3
		.amdhsa_dx10_clamp 1
		.amdhsa_ieee_mode 1
		.amdhsa_fp16_overflow 0
		.amdhsa_workgroup_processor_mode 1
		.amdhsa_memory_ordered 1
		.amdhsa_forward_progress 0
		.amdhsa_shared_vgpr_count 0
		.amdhsa_exception_fp_ieee_invalid_op 0
		.amdhsa_exception_fp_denorm_src 0
		.amdhsa_exception_fp_ieee_div_zero 0
		.amdhsa_exception_fp_ieee_overflow 0
		.amdhsa_exception_fp_ieee_underflow 0
		.amdhsa_exception_fp_ieee_inexact 0
		.amdhsa_exception_int_div_zero 0
	.end_amdhsa_kernel
	.section	.text._ZL13mul_mat_f_idsI7__half2Li32ELi11ELi3EEvPKT_PKfPKiS7_S7_Pfiiiiiiiiiiiiii15HIP_vector_typeIjLj3EESA_,"axG",@progbits,_ZL13mul_mat_f_idsI7__half2Li32ELi11ELi3EEvPKT_PKfPKiS7_S7_Pfiiiiiiiiiiiiii15HIP_vector_typeIjLj3EESA_,comdat
.Lfunc_end33:
	.size	_ZL13mul_mat_f_idsI7__half2Li32ELi11ELi3EEvPKT_PKfPKiS7_S7_Pfiiiiiiiiiiiiii15HIP_vector_typeIjLj3EESA_, .Lfunc_end33-_ZL13mul_mat_f_idsI7__half2Li32ELi11ELi3EEvPKT_PKfPKiS7_S7_Pfiiiiiiiiiiiiii15HIP_vector_typeIjLj3EESA_
                                        ; -- End function
	.section	.AMDGPU.csdata,"",@progbits
; Kernel info:
; codeLenInByte = 5716
; NumSgprs: 78
; NumVgprs: 120
; ScratchSize: 0
; MemoryBound: 0
; FloatMode: 240
; IeeeMode: 1
; LDSByteSize: 0 bytes/workgroup (compile time only)
; SGPRBlocks: 9
; VGPRBlocks: 14
; NumSGPRsForWavesPerEU: 78
; NumVGPRsForWavesPerEU: 120
; Occupancy: 12
; WaveLimiterHint : 1
; COMPUTE_PGM_RSRC2:SCRATCH_EN: 0
; COMPUTE_PGM_RSRC2:USER_SGPR: 13
; COMPUTE_PGM_RSRC2:TRAP_HANDLER: 0
; COMPUTE_PGM_RSRC2:TGID_X_EN: 1
; COMPUTE_PGM_RSRC2:TGID_Y_EN: 1
; COMPUTE_PGM_RSRC2:TGID_Z_EN: 1
; COMPUTE_PGM_RSRC2:TIDIG_COMP_CNT: 1
	.section	.text._ZL9mul_mat_fI7__half2Li32ELi11ELi3ELb1EEvPKT_PKfPKiPfiiiiiiiiiiiiiiii,"axG",@progbits,_ZL9mul_mat_fI7__half2Li32ELi11ELi3ELb1EEvPKT_PKfPKiPfiiiiiiiiiiiiiiii,comdat
	.globl	_ZL9mul_mat_fI7__half2Li32ELi11ELi3ELb1EEvPKT_PKfPKiPfiiiiiiiiiiiiiiii ; -- Begin function _ZL9mul_mat_fI7__half2Li32ELi11ELi3ELb1EEvPKT_PKfPKiPfiiiiiiiiiiiiiiii
	.p2align	8
	.type	_ZL9mul_mat_fI7__half2Li32ELi11ELi3ELb1EEvPKT_PKfPKiPfiiiiiiiiiiiiiiii,@function
_ZL9mul_mat_fI7__half2Li32ELi11ELi3ELb1EEvPKT_PKfPKiPfiiiiiiiiiiiiiiii: ; @_ZL9mul_mat_fI7__half2Li32ELi11ELi3ELb1EEvPKT_PKfPKiPfiiiiiiiiiiiiiiii
; %bb.0:
	s_clause 0x1
	s_load_b256 s[16:23], s[0:1], 0x20
	s_load_b128 s[8:11], s[0:1], 0x44
	v_and_b32_e32 v80, 0x3ff, v0
	v_bfe_u32 v89, v0, 10, 10
	s_delay_alu instid0(VALU_DEP_2) | instskip(NEXT) | instid1(VALU_DEP_2)
	v_cmp_eq_u32_e32 vcc_lo, 0, v80
	v_lshl_add_u32 v88, v89, 2, 0x100
	s_waitcnt lgkmcnt(0)
	s_add_i32 s2, s17, 10
	s_delay_alu instid0(SALU_CYCLE_1) | instskip(NEXT) | instid1(SALU_CYCLE_1)
	s_mul_hi_i32 s2, s2, 0x2e8ba2e9
	s_lshr_b32 s3, s2, 31
	s_ashr_i32 s2, s2, 1
	s_delay_alu instid0(SALU_CYCLE_1)
	s_add_i32 s2, s2, s3
	s_load_b32 s3, s[0:1], 0x64
	v_cvt_f32_u32_e32 v1, s2
	s_add_u32 s28, s0, 0x60
	s_addc_u32 s29, s1, 0
	s_sub_i32 s5, 0, s2
	s_delay_alu instid0(VALU_DEP_1) | instskip(SKIP_2) | instid1(VALU_DEP_1)
	v_rcp_iflag_f32_e32 v1, v1
	s_waitcnt_depctr 0xfff
	v_mul_f32_e32 v1, 0x4f7ffffe, v1
	v_cvt_u32_f32_e32 v1, v1
	s_delay_alu instid0(VALU_DEP_1) | instskip(NEXT) | instid1(VALU_DEP_1)
	v_readfirstlane_b32 s4, v1
	s_mul_i32 s5, s5, s4
	s_delay_alu instid0(SALU_CYCLE_1) | instskip(NEXT) | instid1(SALU_CYCLE_1)
	s_mul_hi_u32 s5, s4, s5
	s_add_i32 s4, s4, s5
	s_waitcnt lgkmcnt(0)
	s_mul_hi_u32 s4, s3, s4
	s_delay_alu instid0(SALU_CYCLE_1) | instskip(NEXT) | instid1(SALU_CYCLE_1)
	s_mul_i32 s5, s4, s2
	s_sub_i32 s3, s3, s5
	s_add_i32 s5, s4, 1
	s_sub_i32 s6, s3, s2
	s_cmp_ge_u32 s3, s2
	s_cselect_b32 s4, s5, s4
	s_cselect_b32 s3, s6, s3
	s_add_i32 s5, s4, 1
	s_cmp_ge_u32 s3, s2
	s_cselect_b32 s2, s5, s4
	s_load_b64 s[4:5], s[0:1], 0x10
	v_cvt_f32_u32_e32 v1, s2
	s_abs_i32 s33, s11
	s_sub_i32 s6, 0, s2
	v_cvt_f32_u32_e32 v2, s33
	s_delay_alu instid0(VALU_DEP_2) | instskip(NEXT) | instid1(VALU_DEP_1)
	v_rcp_iflag_f32_e32 v1, v1
	v_rcp_iflag_f32_e32 v2, v2
	s_waitcnt_depctr 0xfff
	v_dual_mul_f32 v1, 0x4f7ffffe, v1 :: v_dual_mul_f32 v2, 0x4f7ffffe, v2
	s_delay_alu instid0(VALU_DEP_1) | instskip(NEXT) | instid1(VALU_DEP_1)
	v_cvt_u32_f32_e32 v1, v1
	v_readfirstlane_b32 s3, v1
	s_delay_alu instid0(VALU_DEP_3) | instskip(NEXT) | instid1(VALU_DEP_2)
	v_cvt_u32_f32_e32 v1, v2
	s_mul_i32 s6, s6, s3
	s_delay_alu instid0(VALU_DEP_1) | instskip(SKIP_1) | instid1(SALU_CYCLE_1)
	v_readfirstlane_b32 s30, v1
	s_mul_hi_u32 s6, s3, s6
	s_add_i32 s3, s3, s6
	s_delay_alu instid0(SALU_CYCLE_1)
	s_mul_hi_u32 s3, s14, s3
	s_and_saveexec_b32 s6, vcc_lo
	s_cbranch_execz .LBB34_2
; %bb.1:
	v_mov_b32_e32 v1, -1
	ds_store_b32 v88, v1
.LBB34_2:
	s_or_b32 exec_lo, exec_lo, s6
	s_mul_i32 s6, s3, s2
	s_add_i32 s7, s3, 1
	s_sub_i32 s6, s14, s6
	v_mov_b32_e32 v3, 0
	s_sub_i32 s12, s6, s2
	s_cmp_ge_u32 s6, s2
	s_cselect_b32 s3, s7, s3
	s_cselect_b32 s6, s12, s6
	s_add_i32 s7, s3, 1
	s_cmp_ge_u32 s6, s2
	v_cmp_gt_i32_e64 s6, s18, v80
	s_cselect_b32 s3, s7, s3
	s_delay_alu instid0(SALU_CYCLE_1)
	s_mul_i32 s12, s3, 11
	s_mul_i32 s3, s3, s2
	v_add_nc_u32_e32 v1, s12, v89
	s_mul_hi_i32 s25, s12, s23
	s_mul_i32 s24, s12, s23
	s_sub_i32 s34, s14, s3
	s_lshl_b64 s[24:25], s[24:25], 2
	v_cmp_gt_i32_e64 s2, s17, v1
	s_waitcnt lgkmcnt(0)
	s_add_u32 s14, s4, s24
	s_addc_u32 s31, s5, s25
	s_delay_alu instid0(VALU_DEP_1)
	s_and_saveexec_b32 s5, s2
	s_cbranch_execz .LBB34_10
; %bb.3:
	v_mov_b32_e32 v3, 0
	s_and_saveexec_b32 s7, s6
	s_cbranch_execz .LBB34_9
; %bb.4:
	v_mul_lo_u32 v1, v89, s23
	v_dual_mov_b32 v3, 0 :: v_dual_mov_b32 v6, v80
	s_lshl_b32 s25, s22, 5
	s_mov_b32 s24, 0
	s_delay_alu instid0(VALU_DEP_2) | instskip(NEXT) | instid1(VALU_DEP_1)
	v_ashrrev_i32_e32 v2, 31, v1
	v_lshlrev_b64 v[4:5], 2, v[1:2]
	v_mul_lo_u32 v1, v80, s22
	s_delay_alu instid0(VALU_DEP_2) | instskip(NEXT) | instid1(VALU_DEP_1)
	v_add_co_u32 v4, s3, s14, v4
	v_add_co_ci_u32_e64 v5, s3, s31, v5, s3
	s_set_inst_prefetch_distance 0x1
	s_branch .LBB34_6
	.p2align	6
.LBB34_5:                               ;   in Loop: Header=BB34_6 Depth=1
	s_or_b32 exec_lo, exec_lo, s26
	v_add_nc_u32_e32 v6, 32, v6
	s_xor_b32 s3, s3, -1
	v_add_nc_u32_e32 v1, s25, v1
	s_delay_alu instid0(VALU_DEP_2) | instskip(NEXT) | instid1(VALU_DEP_1)
	v_cmp_le_i32_e64 s4, s18, v6
	s_or_b32 s3, s3, s4
	s_delay_alu instid0(SALU_CYCLE_1) | instskip(NEXT) | instid1(SALU_CYCLE_1)
	s_and_b32 s3, exec_lo, s3
	s_or_b32 s24, s3, s24
	s_delay_alu instid0(SALU_CYCLE_1)
	s_and_not1_b32 exec_lo, exec_lo, s24
	s_cbranch_execz .LBB34_8
.LBB34_6:                               ; =>This Inner Loop Header: Depth=1
	s_delay_alu instid0(VALU_DEP_3) | instskip(SKIP_1) | instid1(VALU_DEP_1)
	v_ashrrev_i32_e32 v2, 31, v1
	s_mov_b32 s26, exec_lo
	v_lshlrev_b64 v[7:8], 2, v[1:2]
	s_delay_alu instid0(VALU_DEP_1) | instskip(NEXT) | instid1(VALU_DEP_1)
	v_add_co_u32 v7, s3, v4, v7
	v_add_co_ci_u32_e64 v8, s3, v5, v8, s3
	global_load_b32 v2, v[7:8], off
	s_waitcnt vmcnt(0)
	v_cmp_ne_u32_e64 s3, s34, v2
	v_cmpx_eq_u32_e64 s34, v2
	s_cbranch_execz .LBB34_5
; %bb.7:                                ;   in Loop: Header=BB34_6 Depth=1
	v_mov_b32_e32 v3, 1
	ds_store_b32 v88, v6
	s_branch .LBB34_5
.LBB34_8:
	s_set_inst_prefetch_distance 0x2
	s_or_b32 exec_lo, exec_lo, s24
.LBB34_9:
	s_delay_alu instid0(SALU_CYCLE_1)
	s_or_b32 exec_lo, exec_lo, s7
.LBB34_10:
	s_delay_alu instid0(SALU_CYCLE_1)
	s_or_b32 exec_lo, exec_lo, s5
	s_and_saveexec_b32 s3, vcc_lo
	s_cbranch_execz .LBB34_12
; %bb.11:
	v_mov_b32_e32 v1, -1
	ds_store_b32 v88, v1 offset:12
.LBB34_12:
	s_or_b32 exec_lo, exec_lo, s3
	v_add_nc_u32_e32 v90, 3, v89
	s_delay_alu instid0(VALU_DEP_1) | instskip(NEXT) | instid1(VALU_DEP_1)
	v_add_nc_u32_e32 v1, s12, v90
	v_cmp_gt_i32_e64 s3, s17, v1
	s_delay_alu instid0(VALU_DEP_1)
	s_and_saveexec_b32 s7, s3
	s_cbranch_execz .LBB34_20
; %bb.13:
	s_and_saveexec_b32 s24, s6
	s_cbranch_execz .LBB34_19
; %bb.14:
	v_mul_lo_u32 v1, v90, s23
	v_mov_b32_e32 v6, v80
	s_lshl_b32 s26, s22, 5
	s_mov_b32 s25, 0
	s_delay_alu instid0(VALU_DEP_2) | instskip(NEXT) | instid1(VALU_DEP_1)
	v_ashrrev_i32_e32 v2, 31, v1
	v_lshlrev_b64 v[4:5], 2, v[1:2]
	v_mul_lo_u32 v1, v80, s22
	s_delay_alu instid0(VALU_DEP_2) | instskip(NEXT) | instid1(VALU_DEP_1)
	v_add_co_u32 v4, s4, s14, v4
	v_add_co_ci_u32_e64 v5, s4, s31, v5, s4
	s_set_inst_prefetch_distance 0x1
	s_branch .LBB34_16
	.p2align	6
.LBB34_15:                              ;   in Loop: Header=BB34_16 Depth=1
	s_or_b32 exec_lo, exec_lo, s27
	v_add_nc_u32_e32 v6, 32, v6
	s_xor_b32 s4, s4, -1
	v_add_nc_u32_e32 v1, s26, v1
	s_delay_alu instid0(VALU_DEP_2) | instskip(NEXT) | instid1(VALU_DEP_1)
	v_cmp_le_i32_e64 s5, s18, v6
	s_or_b32 s4, s4, s5
	s_delay_alu instid0(SALU_CYCLE_1) | instskip(NEXT) | instid1(SALU_CYCLE_1)
	s_and_b32 s4, exec_lo, s4
	s_or_b32 s25, s4, s25
	s_delay_alu instid0(SALU_CYCLE_1)
	s_and_not1_b32 exec_lo, exec_lo, s25
	s_cbranch_execz .LBB34_18
.LBB34_16:                              ; =>This Inner Loop Header: Depth=1
	s_delay_alu instid0(VALU_DEP_3) | instskip(SKIP_1) | instid1(VALU_DEP_1)
	v_ashrrev_i32_e32 v2, 31, v1
	s_mov_b32 s27, exec_lo
	v_lshlrev_b64 v[7:8], 2, v[1:2]
	s_delay_alu instid0(VALU_DEP_1) | instskip(NEXT) | instid1(VALU_DEP_1)
	v_add_co_u32 v7, s4, v4, v7
	v_add_co_ci_u32_e64 v8, s4, v5, v8, s4
	global_load_b32 v2, v[7:8], off
	s_waitcnt vmcnt(0)
	v_cmp_ne_u32_e64 s4, s34, v2
	v_cmpx_eq_u32_e64 s34, v2
	s_cbranch_execz .LBB34_15
; %bb.17:                               ;   in Loop: Header=BB34_16 Depth=1
	v_mov_b32_e32 v3, 1
	ds_store_b32 v88, v6 offset:12
	s_branch .LBB34_15
.LBB34_18:
	s_set_inst_prefetch_distance 0x2
	s_or_b32 exec_lo, exec_lo, s25
.LBB34_19:
	s_delay_alu instid0(SALU_CYCLE_1)
	s_or_b32 exec_lo, exec_lo, s24
.LBB34_20:
	s_delay_alu instid0(SALU_CYCLE_1)
	s_or_b32 exec_lo, exec_lo, s7
	s_sub_i32 s24, 0, s33
	s_and_saveexec_b32 s4, vcc_lo
	s_cbranch_execz .LBB34_22
; %bb.21:
	v_mov_b32_e32 v1, -1
	ds_store_b32 v88, v1 offset:24
.LBB34_22:
	s_or_b32 exec_lo, exec_lo, s4
	v_add_nc_u32_e32 v91, 6, v89
	s_mul_i32 s24, s24, s30
	s_delay_alu instid0(VALU_DEP_1) | instskip(NEXT) | instid1(VALU_DEP_1)
	v_add_nc_u32_e32 v1, s12, v91
	v_cmp_gt_i32_e64 s4, s17, v1
	s_delay_alu instid0(VALU_DEP_1)
	s_and_saveexec_b32 s25, s4
	s_cbranch_execz .LBB34_30
; %bb.23:
	s_and_saveexec_b32 s26, s6
	s_cbranch_execz .LBB34_29
; %bb.24:
	v_mul_lo_u32 v1, v91, s23
	v_mov_b32_e32 v6, v80
	s_lshl_b32 s35, s22, 5
	s_mov_b32 s27, 0
	s_delay_alu instid0(VALU_DEP_2) | instskip(NEXT) | instid1(VALU_DEP_1)
	v_ashrrev_i32_e32 v2, 31, v1
	v_lshlrev_b64 v[4:5], 2, v[1:2]
	v_mul_lo_u32 v1, v80, s22
	s_delay_alu instid0(VALU_DEP_2) | instskip(NEXT) | instid1(VALU_DEP_1)
	v_add_co_u32 v4, s5, s14, v4
	v_add_co_ci_u32_e64 v5, s5, s31, v5, s5
	s_set_inst_prefetch_distance 0x1
	s_branch .LBB34_26
	.p2align	6
.LBB34_25:                              ;   in Loop: Header=BB34_26 Depth=1
	s_or_b32 exec_lo, exec_lo, s36
	v_add_nc_u32_e32 v6, 32, v6
	s_xor_b32 s5, s5, -1
	v_add_nc_u32_e32 v1, s35, v1
	s_delay_alu instid0(VALU_DEP_2) | instskip(NEXT) | instid1(VALU_DEP_1)
	v_cmp_le_i32_e64 s7, s18, v6
	s_or_b32 s5, s5, s7
	s_delay_alu instid0(SALU_CYCLE_1) | instskip(NEXT) | instid1(SALU_CYCLE_1)
	s_and_b32 s5, exec_lo, s5
	s_or_b32 s27, s5, s27
	s_delay_alu instid0(SALU_CYCLE_1)
	s_and_not1_b32 exec_lo, exec_lo, s27
	s_cbranch_execz .LBB34_28
.LBB34_26:                              ; =>This Inner Loop Header: Depth=1
	s_delay_alu instid0(VALU_DEP_3) | instskip(SKIP_1) | instid1(VALU_DEP_1)
	v_ashrrev_i32_e32 v2, 31, v1
	s_mov_b32 s36, exec_lo
	v_lshlrev_b64 v[7:8], 2, v[1:2]
	s_delay_alu instid0(VALU_DEP_1) | instskip(NEXT) | instid1(VALU_DEP_1)
	v_add_co_u32 v7, s5, v4, v7
	v_add_co_ci_u32_e64 v8, s5, v5, v8, s5
	global_load_b32 v2, v[7:8], off
	s_waitcnt vmcnt(0)
	v_cmp_ne_u32_e64 s5, s34, v2
	v_cmpx_eq_u32_e64 s34, v2
	s_cbranch_execz .LBB34_25
; %bb.27:                               ;   in Loop: Header=BB34_26 Depth=1
	v_mov_b32_e32 v3, 1
	ds_store_b32 v88, v6 offset:24
	s_branch .LBB34_25
.LBB34_28:
	s_set_inst_prefetch_distance 0x2
	s_or_b32 exec_lo, exec_lo, s27
.LBB34_29:
	s_delay_alu instid0(SALU_CYCLE_1)
	s_or_b32 exec_lo, exec_lo, s26
.LBB34_30:
	s_delay_alu instid0(SALU_CYCLE_1)
	s_or_b32 exec_lo, exec_lo, s25
	s_mul_hi_u32 s7, s30, s24
	s_and_saveexec_b32 s5, vcc_lo
	s_cbranch_execz .LBB34_32
; %bb.31:
	v_mov_b32_e32 v1, -1
	ds_store_b32 v88, v1 offset:36
.LBB34_32:
	s_or_b32 exec_lo, exec_lo, s5
	s_load_b128 s[24:27], s[0:1], 0x54
	v_add_nc_u32_e32 v92, 9, v89
	s_waitcnt lgkmcnt(0)
	s_abs_i32 s27, s15
	s_add_i32 s35, s30, s7
	s_delay_alu instid0(VALU_DEP_1) | instskip(NEXT) | instid1(VALU_DEP_1)
	v_add_nc_u32_e32 v1, s12, v92
	v_cmp_gt_i32_e64 s5, s17, v1
	s_delay_alu instid0(VALU_DEP_1)
	s_and_saveexec_b32 s7, s5
	s_cbranch_execz .LBB34_40
; %bb.33:
	s_and_saveexec_b32 s30, s6
	s_cbranch_execz .LBB34_39
; %bb.34:
	v_mul_lo_u32 v1, v92, s23
	v_mov_b32_e32 v6, v80
	s_delay_alu instid0(VALU_DEP_2) | instskip(NEXT) | instid1(VALU_DEP_1)
	v_ashrrev_i32_e32 v2, 31, v1
	v_lshlrev_b64 v[4:5], 2, v[1:2]
	v_mul_lo_u32 v1, v80, s22
	s_lshl_b32 s22, s22, 5
	s_delay_alu instid0(VALU_DEP_2) | instskip(NEXT) | instid1(VALU_DEP_3)
	v_add_co_u32 v4, vcc_lo, s14, v4
	v_add_co_ci_u32_e32 v5, vcc_lo, s31, v5, vcc_lo
	s_mov_b32 s14, 0
	s_set_inst_prefetch_distance 0x1
	s_branch .LBB34_36
	.p2align	6
.LBB34_35:                              ;   in Loop: Header=BB34_36 Depth=1
	s_or_b32 exec_lo, exec_lo, s23
	v_add_nc_u32_e32 v6, 32, v6
	s_xor_b32 s23, vcc_lo, -1
	v_add_nc_u32_e32 v1, s22, v1
	s_delay_alu instid0(VALU_DEP_2) | instskip(NEXT) | instid1(VALU_DEP_1)
	v_cmp_le_i32_e64 s6, s18, v6
	s_or_b32 s6, s23, s6
	s_delay_alu instid0(SALU_CYCLE_1) | instskip(NEXT) | instid1(SALU_CYCLE_1)
	s_and_b32 s6, exec_lo, s6
	s_or_b32 s14, s6, s14
	s_delay_alu instid0(SALU_CYCLE_1)
	s_and_not1_b32 exec_lo, exec_lo, s14
	s_cbranch_execz .LBB34_38
.LBB34_36:                              ; =>This Inner Loop Header: Depth=1
	s_delay_alu instid0(VALU_DEP_3) | instskip(SKIP_1) | instid1(VALU_DEP_1)
	v_ashrrev_i32_e32 v2, 31, v1
	s_mov_b32 s23, exec_lo
	v_lshlrev_b64 v[7:8], 2, v[1:2]
	s_delay_alu instid0(VALU_DEP_1) | instskip(NEXT) | instid1(VALU_DEP_2)
	v_add_co_u32 v7, vcc_lo, v4, v7
	v_add_co_ci_u32_e32 v8, vcc_lo, v5, v8, vcc_lo
	global_load_b32 v2, v[7:8], off
	s_waitcnt vmcnt(0)
	v_cmp_ne_u32_e32 vcc_lo, s34, v2
	v_cmpx_eq_u32_e64 s34, v2
	s_cbranch_execz .LBB34_35
; %bb.37:                               ;   in Loop: Header=BB34_36 Depth=1
	v_mov_b32_e32 v3, 1
	ds_store_b32 v88, v6 offset:36
	s_branch .LBB34_35
.LBB34_38:
	s_set_inst_prefetch_distance 0x2
	s_or_b32 exec_lo, exec_lo, s14
.LBB34_39:
	s_delay_alu instid0(SALU_CYCLE_1)
	s_or_b32 exec_lo, exec_lo, s30
.LBB34_40:
	s_delay_alu instid0(SALU_CYCLE_1)
	s_or_b32 exec_lo, exec_lo, s7
	v_cmp_ne_u32_e32 vcc_lo, 0, v3
	s_load_b64 s[22:23], s[28:29], 0xc
	s_clause 0x1
	s_load_b128 s[28:31], s[0:1], 0x0
	s_load_b64 s[6:7], s[0:1], 0x18
	v_cndmask_b32_e64 v1, 0, 1, vcc_lo
	s_delay_alu instid0(VALU_DEP_1) | instskip(NEXT) | instid1(VALU_DEP_1)
	v_or_b32_dpp v1, v1, v1 row_shl:1 row_mask:0xf bank_mask:0xf bound_ctrl:1
	v_or_b32_dpp v1, v1, v1 row_shl:2 row_mask:0xf bank_mask:0xf bound_ctrl:1
	s_delay_alu instid0(VALU_DEP_1)
	v_or_b32_dpp v1, v1, v1 row_shl:4 row_mask:0xf bank_mask:0xf bound_ctrl:1
	s_waitcnt lgkmcnt(0)
	s_lshr_b32 s14, s22, 16
	s_and_b32 s0, s22, 0xffff
	s_and_b32 s18, s23, 0xffff
	s_mul_i32 s1, s14, s0
	v_or_b32_dpp v1, v1, v1 row_shl:8 row_mask:0xf bank_mask:0xf bound_ctrl:1
	s_bfe_i32 s1, s1, 0x180000
	s_delay_alu instid0(SALU_CYCLE_1) | instskip(NEXT) | instid1(SALU_CYCLE_1)
	s_mul_i32 s1, s1, s18
	s_add_i32 s1, s1, 31
	s_delay_alu instid0(VALU_DEP_1) | instskip(SKIP_1) | instid1(SALU_CYCLE_1)
	v_mov_b32_dpp v1, v1 row_share:0 row_mask:0xf bank_mask:0xf bound_ctrl:1
	s_and_not1_b32 s1, s1, 31
	s_cmp_lg_u32 s1, 32
	s_mul_hi_u32 s1, s27, s35
	s_delay_alu instid0(VALU_DEP_1) | instskip(NEXT) | instid1(VALU_DEP_1)
	v_permlanex16_b32 v2, v1, 0, 0 op_sel:[0,1]
	v_or_b32_e32 v2, v2, v1
	s_cbranch_scc0 .LBB34_49
; %bb.41:
	v_bfe_u32 v0, v0, 20, 10
	s_delay_alu instid0(VALU_DEP_1) | instskip(NEXT) | instid1(VALU_DEP_1)
	v_mad_u32_u24 v3, v0, s14, v89
	v_mad_u64_u32 v[0:1], null, v3, s0, v[80:81]
	v_mbcnt_lo_u32_b32 v1, -1, 0
	s_mov_b32 s0, exec_lo
	s_delay_alu instid0(VALU_DEP_2) | instskip(NEXT) | instid1(VALU_DEP_1)
	v_lshrrev_b32_e32 v3, 5, v0
	v_or_b32_e32 v3, v1, v3
	s_delay_alu instid0(VALU_DEP_1)
	v_cmpx_eq_u32_e32 0, v3
	s_cbranch_execz .LBB34_43
; %bb.42:
	v_mov_b32_e32 v3, 0
	ds_store_b32 v3, v2
.LBB34_43:
	s_or_b32 exec_lo, exec_lo, s0
	v_cmp_eq_u32_e32 vcc_lo, 0, v1
	v_cmp_lt_u32_e64 s0, 31, v0
	s_mov_b32 s14, 0
	s_waitcnt lgkmcnt(0)
	s_barrier
	buffer_gl0_inv
	s_and_b32 s18, s0, vcc_lo
	s_delay_alu instid0(SALU_CYCLE_1)
	s_and_saveexec_b32 s0, s18
	s_cbranch_execz .LBB34_48
; %bb.44:
	s_mov_b32 s18, exec_lo
.LBB34_45:                              ; =>This Inner Loop Header: Depth=1
	s_delay_alu instid0(SALU_CYCLE_1) | instskip(NEXT) | instid1(SALU_CYCLE_1)
	s_ctz_i32_b32 s22, s18
	v_readlane_b32 s23, v2, s22
	s_lshl_b32 s22, 1, s22
	s_delay_alu instid0(SALU_CYCLE_1) | instskip(NEXT) | instid1(VALU_DEP_1)
	s_and_not1_b32 s18, s18, s22
	s_or_b32 s14, s14, s23
	s_cmp_lg_u32 s18, 0
	s_cbranch_scc1 .LBB34_45
; %bb.46:
	v_mbcnt_lo_u32_b32 v0, exec_lo, 0
	s_mov_b32 s18, exec_lo
	s_delay_alu instid0(VALU_DEP_1)
	v_cmpx_eq_u32_e32 0, v0
	s_xor_b32 s18, exec_lo, s18
	s_cbranch_execz .LBB34_48
; %bb.47:
	v_dual_mov_b32 v0, 0 :: v_dual_mov_b32 v1, s14
	ds_or_b32 v0, v1
.LBB34_48:
	s_or_b32 exec_lo, exec_lo, s0
	v_mov_b32_e32 v0, 0
	s_waitcnt lgkmcnt(0)
	s_barrier
	buffer_gl0_inv
	ds_load_b32 v2, v0
	s_waitcnt lgkmcnt(0)
	s_barrier
	buffer_gl0_inv
.LBB34_49:
	s_ashr_i32 s0, s15, 31
	s_ashr_i32 s18, s11, 31
	s_mov_b32 s11, exec_lo
	v_cmpx_ne_u32_e32 0, v2
	s_cbranch_execz .LBB34_104
; %bb.50:
	v_lshlrev_b32_e32 v93, 5, v89
	v_and_b32_e32 v94, 15, v80
	s_mov_b32 s14, exec_lo
                                        ; implicit-def: $sgpr11
	s_delay_alu instid0(VALU_DEP_2) | instskip(NEXT) | instid1(VALU_DEP_1)
	v_add_nc_u32_e32 v95, v93, v80
	v_cmpx_le_i32_e64 s16, v95
	s_xor_b32 s14, exec_lo, s14
; %bb.51:
	v_and_b32_e32 v94, 15, v80
	s_mov_b32 s11, 0
                                        ; implicit-def: $vgpr95
; %bb.52:
	s_or_saveexec_b32 s14, s14
	v_dual_mov_b32 v15, s11 :: v_dual_mov_b32 v14, s11
	v_dual_mov_b32 v13, s11 :: v_dual_mov_b32 v12, s11
	;; [unrolled: 1-line block ×8, first 2 shown]
	s_lshl_b32 s11, s13, 5
	s_xor_b32 exec_lo, exec_lo, s14
	s_cbranch_execz .LBB34_89
; %bb.53:
	s_mul_i32 s13, s1, s33
	s_xor_b32 s18, s0, s18
	s_sub_i32 s0, s27, s13
	s_add_i32 s13, s1, 1
	s_sub_i32 s22, s0, s33
	s_cmp_ge_u32 s0, s33
	s_mul_hi_i32 s37, s25, s15
	s_cselect_b32 s1, s13, s1
	s_cselect_b32 s0, s22, s0
	s_add_i32 s13, s1, 1
	s_cmp_ge_u32 s0, s33
	s_mul_i32 s22, s11, s19
	s_cselect_b32 s0, s13, s1
	s_mul_i32 s36, s25, s15
	s_xor_b32 s1, s0, s18
	s_mul_i32 s0, s34, s8
	s_sub_i32 s1, s1, s18
	v_dual_mov_b32 v97, 0 :: v_dual_lshlrev_b32 v2, 1, v80
	s_mul_hi_i32 s35, s1, s24
	s_mul_i32 s34, s1, s24
	s_ashr_i32 s1, s0, 31
	s_lshl_b64 s[42:43], s[34:35], 2
	v_lshl_add_u32 v81, v89, 6, v2
	s_add_u32 s8, s28, s42
	s_addc_u32 s13, s29, s43
	s_lshl_b64 s[44:45], s[0:1], 2
	s_mul_hi_i32 s1, s20, s12
	s_add_u32 s8, s8, s44
	s_addc_u32 s13, s13, s45
	s_ashr_i32 s23, s22, 31
	s_mul_i32 s0, s20, s12
	s_lshl_b64 s[46:47], s[22:23], 2
	v_dual_mov_b32 v99, 0x100 :: v_dual_lshlrev_b32 v2, 2, v95
	s_add_u32 s8, s8, s46
	s_addc_u32 s13, s13, s47
	s_lshl_b64 s[22:23], s[36:37], 2
	s_lshl_b64 s[0:1], s[0:1], 3
	s_add_u32 s18, s30, s22
	s_addc_u32 s22, s31, s23
	s_add_u32 s18, s18, s0
	s_addc_u32 s22, s22, s1
	s_cmp_lt_i32 s12, s17
	s_movk_i32 s1, 0x900
	s_cselect_b32 s23, -1, 0
	s_add_i32 s0, s12, 1
	v_mad_u32_u24 v1, v89, s1, 0x100
	s_cmp_lt_i32 s0, s17
	v_mul_u32_u24_e32 v0, 0x90, v94
	s_cselect_b32 s24, -1, 0
	s_add_i32 s0, s12, 2
	v_lshl_add_u32 v96, v80, 2, v1
	s_cmp_lt_i32 s0, s17
	v_add_nc_u32_e32 v98, v1, v0
	s_cselect_b32 s25, -1, 0
	s_add_i32 s0, s12, 3
	s_lshl_b32 s27, s20, 2
	s_cmp_lt_i32 s0, s17
	v_dual_mov_b32 v0, 0 :: v_dual_mov_b32 v1, v97
	s_cselect_b32 s30, -1, 0
	s_add_i32 s0, s12, 4
	v_dual_mov_b32 v3, v97 :: v_dual_mov_b32 v8, 0
	s_cmp_lt_i32 s0, s17
	v_mov_b32_e32 v4, v97
	s_cselect_b32 s31, -1, 0
	s_add_i32 s0, s12, 5
	s_lshl_b32 s33, s20, 3
	s_cmp_lt_i32 s0, s17
	v_mov_b32_e32 v5, v97
	s_cselect_b32 s34, -1, 0
	s_add_i32 s0, s12, 6
	v_mov_b32_e32 v6, v97
	s_cmp_lt_i32 s0, s17
	v_mov_b32_e32 v7, v97
	s_cselect_b32 s35, -1, 0
	s_add_i32 s0, s12, 7
	v_mov_b32_e32 v9, v97
	;; [unrolled: 5-line block ×3, first 2 shown]
	s_cmp_lt_i32 s0, s17
	v_mov_b32_e32 v12, v97
	s_cselect_b32 s39, -1, 0
	s_add_i32 s0, s12, 9
	s_lshl_b32 s40, s20, 4
	s_cmp_lt_i32 s0, s17
	v_mov_b32_e32 v13, v97
	s_cselect_b32 s41, -1, 0
	s_add_i32 s0, s12, 10
	v_mov_b32_e32 v14, v97
	s_cmp_lt_i32 s0, s17
	s_mov_b32 s0, s19
	s_cselect_b32 s17, -1, 0
	s_ashr_i32 s1, s19, 31
	v_mov_b32_e32 v15, v97
	s_lshl_b64 s[0:1], s[0:1], 2
	s_add_u32 s42, s42, s46
	s_addc_u32 s43, s43, s47
	s_add_u32 s42, s42, s44
	s_addc_u32 s43, s43, s45
	;; [unrolled: 2-line block ×3, first 2 shown]
	v_add_co_u32 v82, s28, s28, v2
	s_delay_alu instid0(VALU_DEP_1)
	v_add_co_ci_u32_e64 v83, null, s29, 0, s28
	v_mov_b32_e32 v2, v97
	s_mul_i32 s37, s20, 6
	s_mul_i32 s38, s20, 10
	;; [unrolled: 1-line block ×6, first 2 shown]
	s_lshl_b32 s20, s20, 1
	s_lshl_b32 s44, s19, 1
	s_mul_i32 s45, s19, 3
	s_lshl_b32 s46, s19, 2
	s_mul_i32 s47, s19, 5
	s_mul_i32 s48, s19, 6
	;; [unrolled: 1-line block ×3, first 2 shown]
	s_lshl_b32 s50, s19, 3
	s_mul_i32 s51, s19, 9
	s_mul_i32 s52, s19, 10
	;; [unrolled: 1-line block ×7, first 2 shown]
	s_lshl_b32 s58, s19, 4
	s_mul_i32 s59, s19, 17
	s_mul_i32 s60, s19, 18
	;; [unrolled: 1-line block ×15, first 2 shown]
	s_mov_b32 s19, 0
	s_branch .LBB34_55
.LBB34_54:                              ;   in Loop: Header=BB34_55 Depth=1
	s_waitcnt vmcnt(0)
	v_cvt_f16_f32_e32 v84, v84
	v_cvt_f16_f32_e32 v85, v85
	v_add_nc_u32_e32 v95, 0x60, v95
	v_add_co_u32 v82, vcc_lo, 0x180, v82
	v_add_co_ci_u32_e32 v83, vcc_lo, 0, v83, vcc_lo
	s_delay_alu instid0(VALU_DEP_4)
	v_pack_b32_f16 v84, v84, v85
	v_add_nc_u32_e32 v85, 0x400, v96
	v_cmp_le_i32_e32 vcc_lo, s16, v95
	ds_store_2addr_b32 v85, v84, v97 offset0:120 offset1:156
	ds_store_2addr_b32 v85, v97, v97 offset0:192 offset1:228
	v_add_nc_u32_e32 v84, 0x800, v96
	v_add_nc_u32_e32 v81, 0xc0, v81
	s_or_b32 s19, vcc_lo, s19
	ds_store_2addr_b32 v84, v97, v97 offset0:8 offset1:44
	ds_load_b128 v[100:103], v98 offset:64
	ds_load_b128 v[104:107], v98 offset:80
	ds_load_b128 v[108:111], v98 offset:96
	ds_load_b128 v[112:115], v98 offset:112
	s_waitcnt lgkmcnt(2)
	v_wmma_f32_16x16x16_f16 v[8:15], v[56:63], v[100:107], v[8:15]
	v_wmma_f32_16x16x16_f16 v[0:7], v[72:79], v[100:107], v[0:7]
	s_waitcnt lgkmcnt(0)
	s_delay_alu instid0(VALU_DEP_2)
	v_wmma_f32_16x16x16_f16 v[8:15], v[48:55], v[108:115], v[8:15]
	ds_load_b128 v[48:51], v98 offset:128
	ds_load_b128 v[52:55], v98 offset:144
	v_wmma_f32_16x16x16_f16 v[0:7], v[64:71], v[108:115], v[0:7]
	s_waitcnt lgkmcnt(0)
	v_wmma_f32_16x16x16_f16 v[8:15], v[32:39], v[48:55], v[8:15]
	ds_load_b128 v[32:35], v98 offset:160
	ds_load_b128 v[36:39], v98 offset:176
	v_wmma_f32_16x16x16_f16 v[0:7], v[40:47], v[48:55], v[0:7]
	s_waitcnt lgkmcnt(0)
	v_wmma_f32_16x16x16_f16 v[8:15], v[16:23], v[32:39], v[8:15]
	s_delay_alu instid0(VALU_DEP_2)
	v_wmma_f32_16x16x16_f16 v[0:7], v[24:31], v[32:39], v[0:7]
	s_and_not1_b32 exec_lo, exec_lo, s19
	s_cbranch_execz .LBB34_88
.LBB34_55:                              ; =>This Inner Loop Header: Depth=1
	v_dual_mov_b32 v85, 0 :: v_dual_add_nc_u32 v16, s44, v95
	v_add_nc_u32_e32 v22, s46, v95
	v_add_nc_u32_e32 v18, s45, v95
	v_add_co_u32 v20, vcc_lo, v82, s0
	s_delay_alu instid0(VALU_DEP_4)
	v_ashrrev_i32_e32 v17, 31, v16
	v_add_co_ci_u32_e32 v21, vcc_lo, s1, v83, vcc_lo
	v_ashrrev_i32_e32 v23, 31, v22
	v_ashrrev_i32_e32 v19, 31, v18
	v_add_nc_u32_e32 v24, s47, v95
	v_lshlrev_b64 v[16:17], 2, v[16:17]
	s_clause 0x1
	global_load_b32 v38, v[82:83], off
	global_load_b32 v39, v[20:21], off
	v_lshlrev_b64 v[20:21], 2, v[22:23]
	v_add_nc_u32_e32 v22, s48, v95
	v_lshlrev_b64 v[18:19], 2, v[18:19]
	v_ashrrev_i32_e32 v25, 31, v24
	v_add_nc_u32_e32 v26, s49, v95
	v_add_co_u32 v16, vcc_lo, s8, v16
	v_ashrrev_i32_e32 v23, 31, v22
	v_add_co_ci_u32_e32 v17, vcc_lo, s13, v17, vcc_lo
	v_add_nc_u32_e32 v28, s50, v95
	v_add_co_u32 v18, vcc_lo, s8, v18
	v_lshlrev_b64 v[24:25], 2, v[24:25]
	v_ashrrev_i32_e32 v27, 31, v26
	v_add_co_ci_u32_e32 v19, vcc_lo, s13, v19, vcc_lo
	v_add_nc_u32_e32 v30, s51, v95
	v_add_co_u32 v20, vcc_lo, s8, v20
	v_lshlrev_b64 v[22:23], 2, v[22:23]
	v_ashrrev_i32_e32 v29, 31, v28
	v_add_co_ci_u32_e32 v21, vcc_lo, s13, v21, vcc_lo
	v_add_co_u32 v24, vcc_lo, s8, v24
	v_lshlrev_b64 v[26:27], 2, v[26:27]
	v_ashrrev_i32_e32 v31, 31, v30
	v_add_co_ci_u32_e32 v25, vcc_lo, s13, v25, vcc_lo
	v_add_co_u32 v22, vcc_lo, s8, v22
	v_lshlrev_b64 v[28:29], 2, v[28:29]
	v_add_co_ci_u32_e32 v23, vcc_lo, s13, v23, vcc_lo
	v_add_nc_u32_e32 v32, s52, v95
	v_add_co_u32 v26, vcc_lo, s8, v26
	v_lshlrev_b64 v[30:31], 2, v[30:31]
	v_add_co_ci_u32_e32 v27, vcc_lo, s13, v27, vcc_lo
	v_add_nc_u32_e32 v34, s53, v95
	v_add_co_u32 v28, vcc_lo, s8, v28
	v_ashrrev_i32_e32 v33, 31, v32
	v_add_co_ci_u32_e32 v29, vcc_lo, s13, v29, vcc_lo
	v_add_nc_u32_e32 v36, s54, v95
	v_add_co_u32 v30, vcc_lo, s8, v30
	v_ashrrev_i32_e32 v35, 31, v34
	v_add_co_ci_u32_e32 v31, vcc_lo, s13, v31, vcc_lo
	s_clause 0x7
	global_load_b32 v40, v[16:17], off
	global_load_b32 v41, v[18:19], off
	global_load_b32 v42, v[20:21], off
	global_load_b32 v43, v[24:25], off
	global_load_b32 v44, v[22:23], off
	global_load_b32 v45, v[26:27], off
	global_load_b32 v46, v[28:29], off
	global_load_b32 v47, v[30:31], off
	v_add_nc_u32_e32 v18, s55, v95
	v_lshlrev_b64 v[32:33], 2, v[32:33]
	v_ashrrev_i32_e32 v37, 31, v36
	v_add_nc_u32_e32 v24, s56, v95
	v_lshlrev_b64 v[16:17], 2, v[34:35]
	v_ashrrev_i32_e32 v19, 31, v18
	v_add_nc_u32_e32 v26, s57, v95
	v_add_co_u32 v20, vcc_lo, s8, v32
	v_lshlrev_b64 v[22:23], 2, v[36:37]
	v_ashrrev_i32_e32 v25, 31, v24
	v_add_co_ci_u32_e32 v21, vcc_lo, s13, v33, vcc_lo
	v_add_nc_u32_e32 v28, s58, v95
	v_add_co_u32 v16, vcc_lo, s8, v16
	v_lshlrev_b64 v[18:19], 2, v[18:19]
	v_ashrrev_i32_e32 v27, 31, v26
	v_add_co_ci_u32_e32 v17, vcc_lo, s13, v17, vcc_lo
	v_add_nc_u32_e32 v30, s59, v95
	v_add_co_u32 v22, vcc_lo, s8, v22
	v_lshlrev_b64 v[24:25], 2, v[24:25]
	v_ashrrev_i32_e32 v29, 31, v28
	v_add_co_ci_u32_e32 v23, vcc_lo, s13, v23, vcc_lo
	v_add_co_u32 v18, vcc_lo, s8, v18
	v_lshlrev_b64 v[26:27], 2, v[26:27]
	v_ashrrev_i32_e32 v31, 31, v30
	v_add_co_ci_u32_e32 v19, vcc_lo, s13, v19, vcc_lo
	v_add_co_u32 v24, vcc_lo, s8, v24
	v_lshlrev_b64 v[28:29], 2, v[28:29]
	v_add_co_ci_u32_e32 v25, vcc_lo, s13, v25, vcc_lo
	v_add_nc_u32_e32 v32, s60, v95
	v_add_co_u32 v26, vcc_lo, s8, v26
	v_lshlrev_b64 v[30:31], 2, v[30:31]
	v_add_co_ci_u32_e32 v27, vcc_lo, s13, v27, vcc_lo
	v_add_nc_u32_e32 v34, s61, v95
	v_add_co_u32 v28, vcc_lo, s8, v28
	v_ashrrev_i32_e32 v33, 31, v32
	v_add_co_ci_u32_e32 v29, vcc_lo, s13, v29, vcc_lo
	v_add_nc_u32_e32 v36, s62, v95
	v_add_co_u32 v30, vcc_lo, s8, v30
	v_ashrrev_i32_e32 v35, 31, v34
	v_add_co_ci_u32_e32 v31, vcc_lo, s13, v31, vcc_lo
	s_clause 0x7
	global_load_b32 v48, v[20:21], off
	global_load_b32 v49, v[16:17], off
	global_load_b32 v50, v[22:23], off
	global_load_b32 v51, v[18:19], off
	global_load_b32 v52, v[24:25], off
	global_load_b32 v53, v[26:27], off
	global_load_b32 v64, v[28:29], off
	global_load_b32 v65, v[30:31], off
	v_add_nc_u32_e32 v18, s63, v95
	v_lshlrev_b64 v[32:33], 2, v[32:33]
	v_ashrrev_i32_e32 v37, 31, v36
	v_add_nc_u32_e32 v24, s64, v95
	v_lshlrev_b64 v[16:17], 2, v[34:35]
	v_ashrrev_i32_e32 v19, 31, v18
	v_add_nc_u32_e32 v26, s65, v95
	v_add_co_u32 v20, vcc_lo, s8, v32
	v_lshlrev_b64 v[22:23], 2, v[36:37]
	;; [unrolled: 49-line block ×3, first 2 shown]
	v_ashrrev_i32_e32 v25, 31, v24
	v_add_co_ci_u32_e32 v21, vcc_lo, s13, v33, vcc_lo
	v_add_co_u32 v16, vcc_lo, s8, v16
	v_lshlrev_b64 v[18:19], 2, v[18:19]
	v_ashrrev_i32_e32 v27, 31, v26
	v_add_co_ci_u32_e32 v17, vcc_lo, s13, v17, vcc_lo
	v_add_co_u32 v22, vcc_lo, s8, v22
	v_lshlrev_b64 v[24:25], 2, v[24:25]
	v_add_co_ci_u32_e32 v23, vcc_lo, s13, v23, vcc_lo
	v_add_co_u32 v18, vcc_lo, s8, v18
	v_lshlrev_b64 v[26:27], 2, v[26:27]
	v_add_co_ci_u32_e32 v19, vcc_lo, s13, v19, vcc_lo
	v_add_co_u32 v24, vcc_lo, s8, v24
	v_add_co_ci_u32_e32 v25, vcc_lo, s13, v25, vcc_lo
	s_delay_alu instid0(VALU_DEP_4)
	v_add_co_u32 v26, vcc_lo, s8, v26
	v_add_co_ci_u32_e32 v27, vcc_lo, s13, v27, vcc_lo
	s_clause 0x5
	global_load_b32 v30, v[20:21], off
	global_load_b32 v31, v[16:17], off
	;; [unrolled: 1-line block ×6, first 2 shown]
	v_mov_b32_e32 v84, 0
	s_and_not1_b32 vcc_lo, exec_lo, s23
	s_waitcnt vmcnt(31)
	ds_store_b32 v96, v38 offset:64
	s_waitcnt vmcnt(30)
	ds_store_b32 v96, v39 offset:208
	;; [unrolled: 2-line block ×16, first 2 shown]
	ds_load_b128 v[56:59], v98 offset:64
	ds_load_b128 v[60:63], v98 offset:80
	ds_load_b128 v[48:51], v98 offset:96
	ds_load_b128 v[52:55], v98 offset:112
	ds_load_b128 v[32:35], v98 offset:128
	ds_load_b128 v[36:39], v98 offset:144
	ds_load_b128 v[16:19], v98 offset:160
	ds_load_b128 v[20:23], v98 offset:176
	s_waitcnt vmcnt(15)
	ds_store_b32 v96, v64 offset:64
	s_waitcnt vmcnt(14)
	ds_store_b32 v96, v65 offset:208
	;; [unrolled: 2-line block ×16, first 2 shown]
	ds_load_b128 v[72:75], v98 offset:64
	ds_load_b128 v[76:79], v98 offset:80
	;; [unrolled: 1-line block ×8, first 2 shown]
	s_cbranch_vccnz .LBB34_58
; %bb.56:                               ;   in Loop: Header=BB34_55 Depth=1
	ds_load_b32 v86, v99
	v_dual_mov_b32 v84, 0 :: v_dual_mov_b32 v85, 0
	s_waitcnt lgkmcnt(0)
	v_cmp_gt_i32_e32 vcc_lo, 0, v86
	s_cbranch_vccnz .LBB34_58
; %bb.57:                               ;   in Loop: Header=BB34_55 Depth=1
	v_mad_u64_u32 v[84:85], null, v86, s9, v[81:82]
	s_delay_alu instid0(VALU_DEP_1) | instskip(NEXT) | instid1(VALU_DEP_1)
	v_ashrrev_i32_e32 v85, 31, v84
	v_lshlrev_b64 v[84:85], 2, v[84:85]
	s_delay_alu instid0(VALU_DEP_1) | instskip(NEXT) | instid1(VALU_DEP_2)
	v_add_co_u32 v84, vcc_lo, s18, v84
	v_add_co_ci_u32_e32 v85, vcc_lo, s22, v85, vcc_lo
	global_load_b64 v[84:85], v[84:85], off
.LBB34_58:                              ;   in Loop: Header=BB34_55 Depth=1
	s_waitcnt vmcnt(0)
	v_cvt_f16_f32_e32 v84, v84
	v_cvt_f16_f32_e32 v85, v85
	v_mov_b32_e32 v87, 0
	s_and_not1_b32 vcc_lo, exec_lo, s24
	v_mov_b32_e32 v86, 0
	s_delay_alu instid0(VALU_DEP_3)
	v_pack_b32_f16 v84, v84, v85
	v_mov_b32_e32 v85, 0
	ds_store_b32 v96, v84 offset:64
	s_cbranch_vccnz .LBB34_61
; %bb.59:                               ;   in Loop: Header=BB34_55 Depth=1
	ds_load_b32 v84, v99 offset:4
	v_dual_mov_b32 v86, 0 :: v_dual_mov_b32 v87, 0
	s_waitcnt lgkmcnt(0)
	v_cmp_gt_i32_e32 vcc_lo, 0, v84
	s_cbranch_vccnz .LBB34_61
; %bb.60:                               ;   in Loop: Header=BB34_55 Depth=1
	v_mul_lo_u32 v84, v84, s9
	s_delay_alu instid0(VALU_DEP_1) | instskip(NEXT) | instid1(VALU_DEP_1)
	v_add3_u32 v86, v84, s20, v81
	v_ashrrev_i32_e32 v87, 31, v86
	s_delay_alu instid0(VALU_DEP_1) | instskip(NEXT) | instid1(VALU_DEP_1)
	v_lshlrev_b64 v[86:87], 2, v[86:87]
	v_add_co_u32 v86, vcc_lo, s18, v86
	s_delay_alu instid0(VALU_DEP_2)
	v_add_co_ci_u32_e32 v87, vcc_lo, s22, v87, vcc_lo
	global_load_b64 v[86:87], v[86:87], off
.LBB34_61:                              ;   in Loop: Header=BB34_55 Depth=1
	s_waitcnt vmcnt(0)
	v_cvt_f16_f32_e32 v84, v86
	v_cvt_f16_f32_e32 v86, v87
	s_and_not1_b32 vcc_lo, exec_lo, s25
	s_delay_alu instid0(VALU_DEP_1)
	v_pack_b32_f16 v86, v84, v86
	v_mov_b32_e32 v84, 0
	ds_store_b32 v96, v86 offset:208
	s_cbranch_vccnz .LBB34_64
; %bb.62:                               ;   in Loop: Header=BB34_55 Depth=1
	ds_load_b32 v86, v99 offset:8
	v_dual_mov_b32 v84, 0 :: v_dual_mov_b32 v85, 0
	s_waitcnt lgkmcnt(0)
	v_cmp_gt_i32_e32 vcc_lo, 0, v86
	s_cbranch_vccnz .LBB34_64
; %bb.63:                               ;   in Loop: Header=BB34_55 Depth=1
	v_mul_lo_u32 v84, v86, s9
	s_delay_alu instid0(VALU_DEP_1) | instskip(NEXT) | instid1(VALU_DEP_1)
	v_add3_u32 v84, v84, s27, v81
	v_ashrrev_i32_e32 v85, 31, v84
	s_delay_alu instid0(VALU_DEP_1) | instskip(NEXT) | instid1(VALU_DEP_1)
	v_lshlrev_b64 v[84:85], 2, v[84:85]
	v_add_co_u32 v84, vcc_lo, s18, v84
	s_delay_alu instid0(VALU_DEP_2)
	v_add_co_ci_u32_e32 v85, vcc_lo, s22, v85, vcc_lo
	global_load_b64 v[84:85], v[84:85], off
.LBB34_64:                              ;   in Loop: Header=BB34_55 Depth=1
	s_waitcnt vmcnt(0)
	v_cvt_f16_f32_e32 v84, v84
	v_cvt_f16_f32_e32 v85, v85
	v_mov_b32_e32 v87, 0
	s_and_not1_b32 vcc_lo, exec_lo, s30
	v_mov_b32_e32 v86, 0
	s_delay_alu instid0(VALU_DEP_3)
	v_pack_b32_f16 v84, v84, v85
	v_mov_b32_e32 v85, 0
	ds_store_b32 v96, v84 offset:352
	s_cbranch_vccnz .LBB34_67
; %bb.65:                               ;   in Loop: Header=BB34_55 Depth=1
	ds_load_b32 v84, v99 offset:12
	v_dual_mov_b32 v86, 0 :: v_dual_mov_b32 v87, 0
	s_waitcnt lgkmcnt(0)
	v_cmp_gt_i32_e32 vcc_lo, 0, v84
	s_cbranch_vccnz .LBB34_67
; %bb.66:                               ;   in Loop: Header=BB34_55 Depth=1
	v_mul_lo_u32 v84, v84, s9
	s_delay_alu instid0(VALU_DEP_1) | instskip(NEXT) | instid1(VALU_DEP_1)
	v_add3_u32 v86, v84, s37, v81
	v_ashrrev_i32_e32 v87, 31, v86
	s_delay_alu instid0(VALU_DEP_1) | instskip(NEXT) | instid1(VALU_DEP_1)
	v_lshlrev_b64 v[86:87], 2, v[86:87]
	v_add_co_u32 v86, vcc_lo, s18, v86
	s_delay_alu instid0(VALU_DEP_2)
	v_add_co_ci_u32_e32 v87, vcc_lo, s22, v87, vcc_lo
	global_load_b64 v[86:87], v[86:87], off
.LBB34_67:                              ;   in Loop: Header=BB34_55 Depth=1
	s_waitcnt vmcnt(0)
	v_cvt_f16_f32_e32 v84, v86
	v_cvt_f16_f32_e32 v86, v87
	s_and_not1_b32 vcc_lo, exec_lo, s31
	s_delay_alu instid0(VALU_DEP_1)
	v_pack_b32_f16 v86, v84, v86
	v_mov_b32_e32 v84, 0
	ds_store_b32 v96, v86 offset:496
	s_cbranch_vccnz .LBB34_70
; %bb.68:                               ;   in Loop: Header=BB34_55 Depth=1
	ds_load_b32 v86, v99 offset:16
	v_dual_mov_b32 v84, 0 :: v_dual_mov_b32 v85, 0
	s_waitcnt lgkmcnt(0)
	v_cmp_gt_i32_e32 vcc_lo, 0, v86
	s_cbranch_vccnz .LBB34_70
; %bb.69:                               ;   in Loop: Header=BB34_55 Depth=1
	v_mul_lo_u32 v84, v86, s9
	s_delay_alu instid0(VALU_DEP_1) | instskip(NEXT) | instid1(VALU_DEP_1)
	v_add3_u32 v84, v84, s33, v81
	v_ashrrev_i32_e32 v85, 31, v84
	s_delay_alu instid0(VALU_DEP_1) | instskip(NEXT) | instid1(VALU_DEP_1)
	v_lshlrev_b64 v[84:85], 2, v[84:85]
	v_add_co_u32 v84, vcc_lo, s18, v84
	s_delay_alu instid0(VALU_DEP_2)
	v_add_co_ci_u32_e32 v85, vcc_lo, s22, v85, vcc_lo
	global_load_b64 v[84:85], v[84:85], off
.LBB34_70:                              ;   in Loop: Header=BB34_55 Depth=1
	;; [unrolled: 56-line block ×4, first 2 shown]
	s_waitcnt vmcnt(0)
	v_cvt_f16_f32_e32 v84, v84
	v_cvt_f16_f32_e32 v85, v85
	v_mov_b32_e32 v87, 0
	s_and_not1_b32 vcc_lo, exec_lo, s41
	v_mov_b32_e32 v86, 0
	s_delay_alu instid0(VALU_DEP_3)
	v_pack_b32_f16 v84, v84, v85
	v_mov_b32_e32 v85, 0
	ds_store_b32 v96, v84 offset:1216
	s_cbranch_vccnz .LBB34_85
; %bb.83:                               ;   in Loop: Header=BB34_55 Depth=1
	ds_load_b32 v84, v99 offset:36
	v_dual_mov_b32 v86, 0 :: v_dual_mov_b32 v87, 0
	s_waitcnt lgkmcnt(0)
	v_cmp_gt_i32_e32 vcc_lo, 0, v84
	s_cbranch_vccnz .LBB34_85
; %bb.84:                               ;   in Loop: Header=BB34_55 Depth=1
	v_mul_lo_u32 v84, v84, s9
	s_delay_alu instid0(VALU_DEP_1) | instskip(NEXT) | instid1(VALU_DEP_1)
	v_add3_u32 v86, v84, s29, v81
	v_ashrrev_i32_e32 v87, 31, v86
	s_delay_alu instid0(VALU_DEP_1) | instskip(NEXT) | instid1(VALU_DEP_1)
	v_lshlrev_b64 v[86:87], 2, v[86:87]
	v_add_co_u32 v86, vcc_lo, s18, v86
	s_delay_alu instid0(VALU_DEP_2)
	v_add_co_ci_u32_e32 v87, vcc_lo, s22, v87, vcc_lo
	global_load_b64 v[86:87], v[86:87], off
.LBB34_85:                              ;   in Loop: Header=BB34_55 Depth=1
	s_waitcnt vmcnt(0)
	v_cvt_f16_f32_e32 v84, v86
	v_cvt_f16_f32_e32 v86, v87
	s_and_not1_b32 vcc_lo, exec_lo, s17
	s_delay_alu instid0(VALU_DEP_1)
	v_pack_b32_f16 v86, v84, v86
	v_mov_b32_e32 v84, 0
	ds_store_b32 v96, v86 offset:1360
	s_cbranch_vccnz .LBB34_54
; %bb.86:                               ;   in Loop: Header=BB34_55 Depth=1
	ds_load_b32 v86, v99 offset:40
	v_dual_mov_b32 v84, 0 :: v_dual_mov_b32 v85, 0
	s_waitcnt lgkmcnt(0)
	v_cmp_gt_i32_e32 vcc_lo, 0, v86
	s_cbranch_vccnz .LBB34_54
; %bb.87:                               ;   in Loop: Header=BB34_55 Depth=1
	v_mul_lo_u32 v84, v86, s9
	s_delay_alu instid0(VALU_DEP_1) | instskip(NEXT) | instid1(VALU_DEP_1)
	v_add3_u32 v84, v84, s28, v81
	v_ashrrev_i32_e32 v85, 31, v84
	s_delay_alu instid0(VALU_DEP_1) | instskip(NEXT) | instid1(VALU_DEP_1)
	v_lshlrev_b64 v[84:85], 2, v[84:85]
	v_add_co_u32 v84, vcc_lo, s18, v84
	s_delay_alu instid0(VALU_DEP_2)
	v_add_co_ci_u32_e32 v85, vcc_lo, s22, v85, vcc_lo
	global_load_b64 v[84:85], v[84:85], off
	s_branch .LBB34_54
.LBB34_88:
	s_or_b32 exec_lo, exec_lo, s19
.LBB34_89:
	s_delay_alu instid0(SALU_CYCLE_1) | instskip(SKIP_4) | instid1(VALU_DEP_3)
	s_or_b32 exec_lo, exec_lo, s14
	v_lshrrev_b32_e32 v16, 2, v80
	s_movk_i32 s0, 0x190
	v_lshlrev_b32_e32 v17, 2, v93
	v_mad_u32_u24 v18, v94, s0, 0x100
	v_and_b32_e32 v16, 0xfc, v16
	s_barrier
	buffer_gl0_inv
	s_mov_b32 s0, exec_lo
	v_add3_u32 v17, v18, v16, v17
	v_lshl_add_u32 v16, v80, 2, 0x100
	ds_store_2addr_b32 v17, v8, v9 offset0:16 offset1:18
	ds_store_2addr_b32 v17, v10, v11 offset0:20 offset1:22
	;; [unrolled: 1-line block ×7, first 2 shown]
	v_mov_b32_e32 v5, -1
	v_mad_u32_u24 v2, 0x190, v89, v16
	ds_store_2addr_b32 v17, v6, v7 offset0:44 offset1:46
	s_waitcnt lgkmcnt(0)
	s_barrier
	buffer_gl0_inv
	ds_load_2addr_b32 v[0:1], v2 offset0:16 offset1:48
	ds_load_b32 v3, v2 offset:320
	v_cmpx_gt_u32_e32 11, v89
	s_cbranch_execz .LBB34_91
; %bb.90:
	ds_load_b32 v5, v88
.LBB34_91:
	s_or_b32 exec_lo, exec_lo, s0
	s_mul_hi_i32 s1, s26, s15
	s_mul_i32 s0, s26, s15
	s_mul_hi_i32 s9, s12, s21
	s_lshl_b64 s[0:1], s[0:1], 2
	s_mul_i32 s8, s12, s21
	s_waitcnt lgkmcnt(0)
	v_cmp_lt_i32_e32 vcc_lo, -1, v5
	s_add_u32 s6, s6, s0
	v_mul_u32_u24_e32 v4, 0x190, v89
	s_addc_u32 s7, s7, s1
	s_lshl_b64 s[0:1], s[8:9], 2
	v_add_nc_u32_e32 v2, s11, v80
	s_add_u32 s0, s6, s0
	s_addc_u32 s1, s7, s1
	s_and_b32 s6, vcc_lo, s2
	s_delay_alu instid0(SALU_CYCLE_1)
	s_and_saveexec_b32 s2, s6
	s_cbranch_execz .LBB34_93
; %bb.92:
	v_mul_lo_u32 v5, v5, s10
	v_mul_lo_u32 v7, v89, s21
	v_add_f32_e32 v0, 0, v0
	v_mov_b32_e32 v6, 0
	s_delay_alu instid0(VALU_DEP_3) | instskip(NEXT) | instid1(VALU_DEP_3)
	v_add3_u32 v5, v2, v7, v5
	v_add_f32_e32 v7, v0, v1
	s_delay_alu instid0(VALU_DEP_2) | instskip(NEXT) | instid1(VALU_DEP_2)
	v_lshlrev_b64 v[0:1], 2, v[5:6]
	v_add_f32_e32 v3, v7, v3
	s_delay_alu instid0(VALU_DEP_2) | instskip(NEXT) | instid1(VALU_DEP_3)
	v_add_co_u32 v0, vcc_lo, s0, v0
	v_add_co_ci_u32_e32 v1, vcc_lo, s1, v1, vcc_lo
	global_store_b32 v[0:1], v3, off
.LBB34_93:
	s_or_b32 exec_lo, exec_lo, s2
	v_add_nc_u32_e32 v3, v4, v16
	s_mov_b32 s2, exec_lo
	s_delay_alu instid0(VALU_DEP_1)
	v_dual_mov_b32 v5, -1 :: v_dual_add_nc_u32 v0, 0x400, v3
	ds_load_2addr_b32 v[0:1], v0 offset0:60 offset1:92
	ds_load_b32 v4, v3 offset:1520
	v_cmpx_gt_u32_e32 8, v89
	s_cbranch_execz .LBB34_95
; %bb.94:
	ds_load_b32 v5, v88 offset:12
.LBB34_95:
	s_or_b32 exec_lo, exec_lo, s2
	s_waitcnt lgkmcnt(0)
	v_cmp_lt_i32_e32 vcc_lo, -1, v5
	s_and_b32 s3, vcc_lo, s3
	s_delay_alu instid0(SALU_CYCLE_1)
	s_and_saveexec_b32 s2, s3
	s_cbranch_execz .LBB34_97
; %bb.96:
	v_mul_lo_u32 v5, v5, s10
	v_mul_lo_u32 v7, v90, s21
	v_add_f32_e32 v0, 0, v0
	v_mov_b32_e32 v6, 0
	s_delay_alu instid0(VALU_DEP_3) | instskip(NEXT) | instid1(VALU_DEP_3)
	v_add3_u32 v5, v2, v7, v5
	v_add_f32_e32 v7, v0, v1
	s_delay_alu instid0(VALU_DEP_2) | instskip(NEXT) | instid1(VALU_DEP_2)
	v_lshlrev_b64 v[0:1], 2, v[5:6]
	v_add_f32_e32 v4, v7, v4
	s_delay_alu instid0(VALU_DEP_2) | instskip(NEXT) | instid1(VALU_DEP_3)
	v_add_co_u32 v0, vcc_lo, s0, v0
	v_add_co_ci_u32_e32 v1, vcc_lo, s1, v1, vcc_lo
	global_store_b32 v[0:1], v4, off
.LBB34_97:
	s_or_b32 exec_lo, exec_lo, s2
	v_dual_mov_b32 v5, -1 :: v_dual_add_nc_u32 v0, 0x800, v3
	s_mov_b32 s2, exec_lo
	ds_load_2addr_b32 v[0:1], v0 offset0:104 offset1:136
	ds_load_b32 v4, v3 offset:2720
	v_cmpx_gt_u32_e32 5, v89
	s_cbranch_execz .LBB34_99
; %bb.98:
	ds_load_b32 v5, v88 offset:24
.LBB34_99:
	s_or_b32 exec_lo, exec_lo, s2
	s_waitcnt lgkmcnt(0)
	v_cmp_lt_i32_e32 vcc_lo, -1, v5
	s_and_b32 s3, vcc_lo, s4
	s_delay_alu instid0(SALU_CYCLE_1)
	s_and_saveexec_b32 s2, s3
	s_cbranch_execz .LBB34_101
; %bb.100:
	v_mul_lo_u32 v5, v5, s10
	v_mul_lo_u32 v7, v91, s21
	v_add_f32_e32 v0, 0, v0
	v_mov_b32_e32 v6, 0
	s_delay_alu instid0(VALU_DEP_3) | instskip(NEXT) | instid1(VALU_DEP_3)
	v_add3_u32 v5, v2, v7, v5
	v_add_f32_e32 v7, v0, v1
	s_delay_alu instid0(VALU_DEP_2) | instskip(NEXT) | instid1(VALU_DEP_2)
	v_lshlrev_b64 v[0:1], 2, v[5:6]
	v_add_f32_e32 v4, v7, v4
	s_delay_alu instid0(VALU_DEP_2) | instskip(NEXT) | instid1(VALU_DEP_3)
	v_add_co_u32 v0, vcc_lo, s0, v0
	v_add_co_ci_u32_e32 v1, vcc_lo, s1, v1, vcc_lo
	global_store_b32 v[0:1], v4, off
.LBB34_101:
	s_or_b32 exec_lo, exec_lo, s2
	v_cmp_gt_u32_e32 vcc_lo, 2, v89
	s_and_b32 exec_lo, exec_lo, vcc_lo
	s_cbranch_execz .LBB34_104
; %bb.102:
	ds_load_b32 v0, v88 offset:36
	s_waitcnt lgkmcnt(0)
	v_cmp_lt_i32_e32 vcc_lo, -1, v0
	s_and_b32 s2, vcc_lo, s5
	s_delay_alu instid0(SALU_CYCLE_1)
	s_and_b32 exec_lo, exec_lo, s2
	s_cbranch_execz .LBB34_104
; %bb.103:
	v_add_nc_u32_e32 v1, 0xc00, v3
	v_mul_lo_u32 v0, v0, s10
	v_mul_lo_u32 v6, v92, s21
	ds_load_2addr_b32 v[4:5], v1 offset0:148 offset1:180
	ds_load_b32 v3, v3 offset:3920
	v_add3_u32 v0, v2, v6, v0
	s_waitcnt lgkmcnt(1)
	v_dual_add_f32 v4, 0, v4 :: v_dual_mov_b32 v1, 0
	s_delay_alu instid0(VALU_DEP_1) | instskip(NEXT) | instid1(VALU_DEP_2)
	v_add_f32_e32 v2, v4, v5
	v_lshlrev_b64 v[0:1], 2, v[0:1]
	s_waitcnt lgkmcnt(0)
	s_delay_alu instid0(VALU_DEP_2) | instskip(NEXT) | instid1(VALU_DEP_2)
	v_add_f32_e32 v2, v2, v3
	v_add_co_u32 v0, vcc_lo, s0, v0
	s_delay_alu instid0(VALU_DEP_3)
	v_add_co_ci_u32_e32 v1, vcc_lo, s1, v1, vcc_lo
	global_store_b32 v[0:1], v2, off
.LBB34_104:
	s_nop 0
	s_sendmsg sendmsg(MSG_DEALLOC_VGPRS)
	s_endpgm
	.section	.rodata,"a",@progbits
	.p2align	6, 0x0
	.amdhsa_kernel _ZL9mul_mat_fI7__half2Li32ELi11ELi3ELb1EEvPKT_PKfPKiPfiiiiiiiiiiiiiiii
		.amdhsa_group_segment_fixed_size 256
		.amdhsa_private_segment_fixed_size 0
		.amdhsa_kernarg_size 352
		.amdhsa_user_sgpr_count 13
		.amdhsa_user_sgpr_dispatch_ptr 0
		.amdhsa_user_sgpr_queue_ptr 0
		.amdhsa_user_sgpr_kernarg_segment_ptr 1
		.amdhsa_user_sgpr_dispatch_id 0
		.amdhsa_user_sgpr_private_segment_size 0
		.amdhsa_wavefront_size32 1
		.amdhsa_uses_dynamic_stack 0
		.amdhsa_enable_private_segment 0
		.amdhsa_system_sgpr_workgroup_id_x 1
		.amdhsa_system_sgpr_workgroup_id_y 1
		.amdhsa_system_sgpr_workgroup_id_z 1
		.amdhsa_system_sgpr_workgroup_info 0
		.amdhsa_system_vgpr_workitem_id 2
		.amdhsa_next_free_vgpr 116
		.amdhsa_next_free_sgpr 74
		.amdhsa_reserve_vcc 1
		.amdhsa_float_round_mode_32 0
		.amdhsa_float_round_mode_16_64 0
		.amdhsa_float_denorm_mode_32 3
		.amdhsa_float_denorm_mode_16_64 3
		.amdhsa_dx10_clamp 1
		.amdhsa_ieee_mode 1
		.amdhsa_fp16_overflow 0
		.amdhsa_workgroup_processor_mode 1
		.amdhsa_memory_ordered 1
		.amdhsa_forward_progress 0
		.amdhsa_shared_vgpr_count 0
		.amdhsa_exception_fp_ieee_invalid_op 0
		.amdhsa_exception_fp_denorm_src 0
		.amdhsa_exception_fp_ieee_div_zero 0
		.amdhsa_exception_fp_ieee_overflow 0
		.amdhsa_exception_fp_ieee_underflow 0
		.amdhsa_exception_fp_ieee_inexact 0
		.amdhsa_exception_int_div_zero 0
	.end_amdhsa_kernel
	.section	.text._ZL9mul_mat_fI7__half2Li32ELi11ELi3ELb1EEvPKT_PKfPKiPfiiiiiiiiiiiiiiii,"axG",@progbits,_ZL9mul_mat_fI7__half2Li32ELi11ELi3ELb1EEvPKT_PKfPKiPfiiiiiiiiiiiiiiii,comdat
.Lfunc_end34:
	.size	_ZL9mul_mat_fI7__half2Li32ELi11ELi3ELb1EEvPKT_PKfPKiPfiiiiiiiiiiiiiiii, .Lfunc_end34-_ZL9mul_mat_fI7__half2Li32ELi11ELi3ELb1EEvPKT_PKfPKiPfiiiiiiiiiiiiiiii
                                        ; -- End function
	.section	.AMDGPU.csdata,"",@progbits
; Kernel info:
; codeLenInByte = 7092
; NumSgprs: 76
; NumVgprs: 116
; ScratchSize: 0
; MemoryBound: 0
; FloatMode: 240
; IeeeMode: 1
; LDSByteSize: 256 bytes/workgroup (compile time only)
; SGPRBlocks: 9
; VGPRBlocks: 14
; NumSGPRsForWavesPerEU: 76
; NumVGPRsForWavesPerEU: 116
; Occupancy: 12
; WaveLimiterHint : 0
; COMPUTE_PGM_RSRC2:SCRATCH_EN: 0
; COMPUTE_PGM_RSRC2:USER_SGPR: 13
; COMPUTE_PGM_RSRC2:TRAP_HANDLER: 0
; COMPUTE_PGM_RSRC2:TGID_X_EN: 1
; COMPUTE_PGM_RSRC2:TGID_Y_EN: 1
; COMPUTE_PGM_RSRC2:TGID_Z_EN: 1
; COMPUTE_PGM_RSRC2:TIDIG_COMP_CNT: 2
	.section	.text._ZL9mul_mat_fI7__half2Li32ELi11ELi3ELb0EEvPKT_PKfPKiPfiiiiiiiiiiiiiiii,"axG",@progbits,_ZL9mul_mat_fI7__half2Li32ELi11ELi3ELb0EEvPKT_PKfPKiPfiiiiiiiiiiiiiiii,comdat
	.globl	_ZL9mul_mat_fI7__half2Li32ELi11ELi3ELb0EEvPKT_PKfPKiPfiiiiiiiiiiiiiiii ; -- Begin function _ZL9mul_mat_fI7__half2Li32ELi11ELi3ELb0EEvPKT_PKfPKiPfiiiiiiiiiiiiiiii
	.p2align	8
	.type	_ZL9mul_mat_fI7__half2Li32ELi11ELi3ELb0EEvPKT_PKfPKiPfiiiiiiiiiiiiiiii,@function
_ZL9mul_mat_fI7__half2Li32ELi11ELi3ELb0EEvPKT_PKfPKiPfiiiiiiiiiiiiiiii: ; @_ZL9mul_mat_fI7__half2Li32ELi11ELi3ELb0EEvPKT_PKfPKiPfiiiiiiiiiiiiiiii
; %bb.0:
	s_clause 0x2
	s_load_b256 s[4:11], s[0:1], 0x40
	s_load_b32 s22, s[0:1], 0x20
	s_load_b128 s[16:19], s[0:1], 0x2c
	v_bfe_u32 v72, v0, 10, 10
	v_and_b32_e32 v73, 0x3ff, v0
	s_mov_b32 s12, 0
	s_ashr_i32 s24, s15, 31
	s_waitcnt lgkmcnt(0)
	s_mov_b32 s19, exec_lo
	v_and_b32_e32 v75, 15, v73
	s_abs_i32 s2, s4
	s_abs_i32 s23, s8
	v_cvt_f32_u32_e32 v1, s2
	v_cvt_f32_u32_e32 v2, s23
	s_delay_alu instid0(VALU_DEP_2) | instskip(NEXT) | instid1(VALU_DEP_1)
	v_rcp_iflag_f32_e32 v1, v1
	v_rcp_iflag_f32_e32 v2, v2
	v_lshlrev_b32_e32 v74, 5, v72
	s_waitcnt_depctr 0xfff
	v_dual_mul_f32 v0, 0x4f7ffffe, v1 :: v_dual_mul_f32 v1, 0x4f7ffffe, v2
	v_add_nc_u32_e32 v76, v74, v73
	s_delay_alu instid0(VALU_DEP_2) | instskip(NEXT) | instid1(VALU_DEP_3)
	v_cvt_u32_f32_e32 v0, v0
	v_cvt_u32_f32_e32 v1, v1
	s_delay_alu instid0(VALU_DEP_2) | instskip(NEXT) | instid1(VALU_DEP_2)
	v_readfirstlane_b32 s25, v0
	v_readfirstlane_b32 s3, v1
	v_cmpx_le_i32_e64 s22, v76
	s_xor_b32 s19, exec_lo, s19
; %bb.1:
	v_and_b32_e32 v75, 15, v73
                                        ; implicit-def: $vgpr76
; %bb.2:
	s_or_saveexec_b32 s19, s19
	s_load_b64 s[20:21], s[0:1], 0x18
	v_dual_mov_b32 v15, s12 :: v_dual_mov_b32 v14, s12
	v_dual_mov_b32 v13, s12 :: v_dual_mov_b32 v12, s12
	;; [unrolled: 1-line block ×8, first 2 shown]
	s_lshl_b32 s12, s13, 5
	s_xor_b32 exec_lo, exec_lo, s19
	s_cbranch_execz .LBB35_6
; %bb.3:
	s_sub_i32 s13, 0, s2
	s_sub_i32 s26, 0, s23
	s_mul_i32 s13, s13, s25
	s_mul_i32 s26, s26, s3
	s_mul_hi_u32 s13, s25, s13
	s_mul_hi_u32 s26, s3, s26
	s_abs_i32 s27, s14
	s_add_i32 s25, s25, s13
	s_add_i32 s26, s3, s26
	s_mul_hi_u32 s3, s27, s25
	s_ashr_i32 s25, s14, 31
	s_ashr_i32 s4, s4, 31
	s_mul_i32 s28, s3, s2
	s_xor_b32 s4, s25, s4
	s_sub_i32 s25, s27, s28
	s_abs_i32 s13, s15
	s_ashr_i32 s8, s8, 31
	s_add_i32 s27, s3, 1
	s_sub_i32 s28, s25, s2
	s_cmp_ge_u32 s25, s2
	s_mul_hi_u32 s26, s13, s26
	s_cselect_b32 s3, s27, s3
	s_cselect_b32 s25, s28, s25
	s_add_i32 s27, s3, 1
	s_cmp_ge_u32 s25, s2
	s_mul_i32 s28, s14, s6
	s_cselect_b32 s25, s27, s3
	s_load_b128 s[0:3], s[0:1], 0x0
	s_xor_b32 s25, s25, s4
	s_xor_b32 s8, s24, s8
	s_sub_i32 s4, s25, s4
	s_mul_i32 s25, s26, s23
	s_add_i32 s24, s26, 1
	s_sub_i32 s13, s13, s25
	s_mul_i32 s4, s4, s5
	s_sub_i32 s25, s13, s23
	s_cmp_ge_u32 s13, s23
	s_mul_hi_i32 s27, s10, s15
	s_cselect_b32 s24, s24, s26
	s_cselect_b32 s13, s25, s13
	s_add_i32 s25, s24, 1
	s_cmp_ge_u32 s13, s23
	s_mul_i32 s26, s10, s15
	s_cselect_b32 s13, s25, s24
	s_ashr_i32 s5, s4, 31
	s_xor_b32 s13, s13, s8
	v_lshlrev_b32_e32 v3, 7, v72
	s_sub_i32 s8, s13, s8
	v_mad_u32_u24 v1, 0x900, v72, 0
	s_mul_hi_i32 s25, s8, s9
	s_mul_i32 s24, s8, s9
	s_mul_i32 s8, s12, s16
	s_lshl_b64 s[24:25], s[24:25], 2
	v_dual_mov_b32 v79, 0 :: v_dual_lshlrev_b32 v0, 2, v73
	s_waitcnt lgkmcnt(0)
	s_add_u32 s13, s0, s24
	s_addc_u32 s23, s1, s25
	s_ashr_i32 s9, s8, 31
	s_lshl_b64 s[4:5], s[4:5], 2
	s_lshl_b64 s[8:9], s[8:9], 2
	v_lshlrev_b32_e32 v5, 8, v72
	s_add_u32 s30, s4, s8
	s_addc_u32 s31, s5, s9
	s_add_u32 s6, s30, s13
	s_addc_u32 s8, s31, s23
	s_ashr_i32 s29, s28, 31
	s_lshl_b64 s[4:5], s[26:27], 2
	s_lshl_b64 s[26:27], s[28:29], 2
	v_add_nc_u32_e32 v77, v1, v0
	s_add_u32 s13, s2, s26
	s_addc_u32 s23, s3, s27
	s_add_u32 s9, s13, s4
	s_addc_u32 s10, s23, s5
	s_ashr_i32 s3, s16, 31
	s_mov_b32 s2, s16
	s_ashr_i32 s27, s17, 31
	s_lshl_b64 s[2:3], s[2:3], 2
	s_add_u32 s24, s30, s24
	s_addc_u32 s25, s31, s25
	v_add_co_u32 v3, s24, s24, v3
	s_delay_alu instid0(VALU_DEP_1) | instskip(SKIP_1) | instid1(VALU_DEP_3)
	v_add_co_ci_u32_e64 v4, null, s25, 0, s24
	v_lshlrev_b32_e32 v6, 3, v73
	v_add_co_u32 v0, vcc_lo, v3, v0
	s_delay_alu instid0(VALU_DEP_3) | instskip(SKIP_1) | instid1(VALU_DEP_3)
	v_add_co_ci_u32_e32 v3, vcc_lo, 0, v4, vcc_lo
	v_add_co_u32 v4, s4, s4, v5
	v_add_co_u32 v16, vcc_lo, s0, v0
	v_add_co_ci_u32_e64 v5, null, s5, 0, s4
	s_delay_alu instid0(VALU_DEP_4) | instskip(NEXT) | instid1(VALU_DEP_4)
	v_add_co_ci_u32_e32 v17, vcc_lo, s1, v3, vcc_lo
	v_add_co_u32 v0, vcc_lo, v4, v6
	s_delay_alu instid0(VALU_DEP_3) | instskip(SKIP_1) | instid1(VALU_DEP_3)
	v_add_co_ci_u32_e32 v3, vcc_lo, 0, v5, vcc_lo
	v_mul_u32_u24_e32 v2, 0x90, v75
	v_add_co_u32 v18, vcc_lo, s13, v0
	v_mov_b32_e32 v0, 0
	s_delay_alu instid0(VALU_DEP_4) | instskip(NEXT) | instid1(VALU_DEP_4)
	v_add_co_ci_u32_e32 v19, vcc_lo, s23, v3, vcc_lo
	v_add_nc_u32_e32 v78, v1, v2
	s_mov_b32 s26, s17
	s_delay_alu instid0(VALU_DEP_3)
	v_mov_b32_e32 v3, v0
	v_mov_b32_e32 v1, v0
	;; [unrolled: 1-line block ×15, first 2 shown]
	s_lshl_b64 s[4:5], s[26:27], 3
	s_mul_i32 s1, s16, 31
	s_lshl_b32 s13, s17, 1
	s_mul_i32 s23, s17, 3
	s_lshl_b32 s24, s17, 2
	s_mul_i32 s25, s17, 5
	s_mul_i32 s26, s17, 6
	;; [unrolled: 1-line block ×3, first 2 shown]
	s_lshl_b32 s28, s17, 3
	s_mul_i32 s29, s17, 9
	s_mul_i32 s17, s17, 10
	s_lshl_b32 s30, s16, 1
	s_mul_i32 s31, s16, 3
	s_lshl_b32 s33, s16, 2
	s_mul_i32 s34, s16, 5
	s_mul_i32 s35, s16, 6
	;; [unrolled: 1-line block ×3, first 2 shown]
	s_lshl_b32 s37, s16, 3
	s_mul_i32 s38, s16, 9
	s_mul_i32 s39, s16, 10
	;; [unrolled: 1-line block ×7, first 2 shown]
	s_lshl_b32 s45, s16, 4
	s_mul_i32 s46, s16, 17
	s_mul_i32 s47, s16, 18
	;; [unrolled: 1-line block ×14, first 2 shown]
	s_mov_b32 s16, 0
.LBB35_4:                               ; =>This Inner Loop Header: Depth=1
	v_add_nc_u32_e32 v20, s30, v76
	v_add_nc_u32_e32 v22, s31, v76
	v_add_nc_u32_e32 v24, s33, v76
	v_add_nc_u32_e32 v26, s34, v76
	v_add_co_u32 v106, vcc_lo, v16, s2
	v_ashrrev_i32_e32 v21, 31, v20
	v_ashrrev_i32_e32 v23, 31, v22
	;; [unrolled: 1-line block ×3, first 2 shown]
	v_add_nc_u32_e32 v28, s35, v76
	v_add_co_ci_u32_e32 v107, vcc_lo, s3, v17, vcc_lo
	v_lshlrev_b64 v[20:21], 2, v[20:21]
	v_add_co_u32 v110, vcc_lo, v18, s4
	v_lshlrev_b64 v[22:23], 2, v[22:23]
	v_ashrrev_i32_e32 v27, 31, v26
	v_add_nc_u32_e32 v30, s36, v76
	v_add_co_ci_u32_e32 v111, vcc_lo, s5, v19, vcc_lo
	v_lshlrev_b64 v[24:25], 2, v[24:25]
	v_add_co_u32 v20, vcc_lo, s6, v20
	v_ashrrev_i32_e32 v29, 31, v28
	v_add_nc_u32_e32 v32, s37, v76
	v_add_co_ci_u32_e32 v21, vcc_lo, s8, v21, vcc_lo
	v_lshlrev_b64 v[26:27], 2, v[26:27]
	v_add_co_u32 v22, vcc_lo, s6, v22
	v_ashrrev_i32_e32 v31, 31, v30
	v_add_nc_u32_e32 v34, s38, v76
	v_add_co_ci_u32_e32 v23, vcc_lo, s8, v23, vcc_lo
	v_lshlrev_b64 v[28:29], 2, v[28:29]
	v_add_co_u32 v24, vcc_lo, s6, v24
	v_ashrrev_i32_e32 v33, 31, v32
	v_add_nc_u32_e32 v36, s39, v76
	v_add_co_ci_u32_e32 v25, vcc_lo, s8, v25, vcc_lo
	v_lshlrev_b64 v[30:31], 2, v[30:31]
	v_add_co_u32 v26, vcc_lo, s6, v26
	v_ashrrev_i32_e32 v35, 31, v34
	v_add_nc_u32_e32 v38, s40, v76
	v_add_co_ci_u32_e32 v27, vcc_lo, s8, v27, vcc_lo
	v_lshlrev_b64 v[32:33], 2, v[32:33]
	v_add_co_u32 v28, vcc_lo, s6, v28
	v_ashrrev_i32_e32 v37, 31, v36
	v_add_nc_u32_e32 v40, s41, v76
	v_add_co_ci_u32_e32 v29, vcc_lo, s8, v29, vcc_lo
	v_lshlrev_b64 v[34:35], 2, v[34:35]
	v_add_co_u32 v30, vcc_lo, s6, v30
	v_ashrrev_i32_e32 v39, 31, v38
	v_add_nc_u32_e32 v42, s42, v76
	v_add_co_ci_u32_e32 v31, vcc_lo, s8, v31, vcc_lo
	v_lshlrev_b64 v[36:37], 2, v[36:37]
	v_add_co_u32 v32, vcc_lo, s6, v32
	v_ashrrev_i32_e32 v41, 31, v40
	v_add_nc_u32_e32 v44, s43, v76
	v_add_co_ci_u32_e32 v33, vcc_lo, s8, v33, vcc_lo
	v_lshlrev_b64 v[38:39], 2, v[38:39]
	v_add_co_u32 v34, vcc_lo, s6, v34
	v_ashrrev_i32_e32 v43, 31, v42
	v_add_nc_u32_e32 v46, s44, v76
	v_add_co_ci_u32_e32 v35, vcc_lo, s8, v35, vcc_lo
	v_lshlrev_b64 v[40:41], 2, v[40:41]
	v_add_co_u32 v36, vcc_lo, s6, v36
	v_ashrrev_i32_e32 v45, 31, v44
	v_add_nc_u32_e32 v48, s45, v76
	v_add_co_ci_u32_e32 v37, vcc_lo, s8, v37, vcc_lo
	v_lshlrev_b64 v[42:43], 2, v[42:43]
	v_add_co_u32 v38, vcc_lo, s6, v38
	v_ashrrev_i32_e32 v47, 31, v46
	v_add_nc_u32_e32 v50, s46, v76
	v_add_co_ci_u32_e32 v39, vcc_lo, s8, v39, vcc_lo
	v_lshlrev_b64 v[44:45], 2, v[44:45]
	v_add_co_u32 v40, vcc_lo, s6, v40
	v_ashrrev_i32_e32 v49, 31, v48
	v_add_nc_u32_e32 v52, s47, v76
	v_add_co_ci_u32_e32 v41, vcc_lo, s8, v41, vcc_lo
	v_lshlrev_b64 v[46:47], 2, v[46:47]
	v_add_co_u32 v42, vcc_lo, s6, v42
	v_ashrrev_i32_e32 v51, 31, v50
	v_add_nc_u32_e32 v54, s48, v76
	v_add_co_ci_u32_e32 v43, vcc_lo, s8, v43, vcc_lo
	v_lshlrev_b64 v[48:49], 2, v[48:49]
	v_add_co_u32 v44, vcc_lo, s6, v44
	v_ashrrev_i32_e32 v53, 31, v52
	v_add_nc_u32_e32 v56, s49, v76
	v_add_co_ci_u32_e32 v45, vcc_lo, s8, v45, vcc_lo
	v_lshlrev_b64 v[50:51], 2, v[50:51]
	v_add_co_u32 v46, vcc_lo, s6, v46
	v_ashrrev_i32_e32 v55, 31, v54
	v_add_nc_u32_e32 v58, s50, v76
	v_add_co_ci_u32_e32 v47, vcc_lo, s8, v47, vcc_lo
	v_lshlrev_b64 v[52:53], 2, v[52:53]
	v_add_co_u32 v48, vcc_lo, s6, v48
	v_ashrrev_i32_e32 v57, 31, v56
	v_add_nc_u32_e32 v60, s51, v76
	v_add_co_ci_u32_e32 v49, vcc_lo, s8, v49, vcc_lo
	v_lshlrev_b64 v[54:55], 2, v[54:55]
	v_add_co_u32 v50, vcc_lo, s6, v50
	v_ashrrev_i32_e32 v59, 31, v58
	v_add_nc_u32_e32 v62, s52, v76
	v_add_co_ci_u32_e32 v51, vcc_lo, s8, v51, vcc_lo
	v_lshlrev_b64 v[56:57], 2, v[56:57]
	v_add_co_u32 v52, vcc_lo, s6, v52
	v_ashrrev_i32_e32 v61, 31, v60
	v_add_nc_u32_e32 v64, s53, v76
	v_add_co_ci_u32_e32 v53, vcc_lo, s8, v53, vcc_lo
	v_lshlrev_b64 v[58:59], 2, v[58:59]
	v_add_co_u32 v54, vcc_lo, s6, v54
	v_ashrrev_i32_e32 v63, 31, v62
	v_add_nc_u32_e32 v66, s54, v76
	v_add_co_ci_u32_e32 v55, vcc_lo, s8, v55, vcc_lo
	v_lshlrev_b64 v[60:61], 2, v[60:61]
	v_add_co_u32 v56, vcc_lo, s6, v56
	v_ashrrev_i32_e32 v65, 31, v64
	v_add_nc_u32_e32 v68, s55, v76
	v_add_co_ci_u32_e32 v57, vcc_lo, s8, v57, vcc_lo
	v_lshlrev_b64 v[62:63], 2, v[62:63]
	v_add_co_u32 v58, vcc_lo, s6, v58
	v_ashrrev_i32_e32 v67, 31, v66
	v_add_nc_u32_e32 v70, s56, v76
	v_add_co_ci_u32_e32 v59, vcc_lo, s8, v59, vcc_lo
	v_lshlrev_b64 v[64:65], 2, v[64:65]
	v_add_co_u32 v60, vcc_lo, s6, v60
	v_ashrrev_i32_e32 v69, 31, v68
	v_add_nc_u32_e32 v80, s57, v76
	v_add_co_ci_u32_e32 v61, vcc_lo, s8, v61, vcc_lo
	v_lshlrev_b64 v[66:67], 2, v[66:67]
	v_add_co_u32 v62, vcc_lo, s6, v62
	v_ashrrev_i32_e32 v71, 31, v70
	v_add_nc_u32_e32 v82, s58, v76
	v_add_co_ci_u32_e32 v63, vcc_lo, s8, v63, vcc_lo
	v_lshlrev_b64 v[68:69], 2, v[68:69]
	v_add_co_u32 v64, vcc_lo, s6, v64
	v_ashrrev_i32_e32 v81, 31, v80
	v_add_nc_u32_e32 v84, s59, v76
	v_add_co_ci_u32_e32 v65, vcc_lo, s8, v65, vcc_lo
	v_lshlrev_b64 v[70:71], 2, v[70:71]
	v_add_co_u32 v66, vcc_lo, s6, v66
	v_ashrrev_i32_e32 v83, 31, v82
	v_add_nc_u32_e32 v86, s1, v76
	v_add_co_ci_u32_e32 v67, vcc_lo, s8, v67, vcc_lo
	v_lshlrev_b64 v[80:81], 2, v[80:81]
	v_add_co_u32 v68, vcc_lo, s6, v68
	v_ashrrev_i32_e32 v85, 31, v84
	v_add_nc_u32_e32 v88, s13, v76
	v_add_co_ci_u32_e32 v69, vcc_lo, s8, v69, vcc_lo
	v_lshlrev_b64 v[82:83], 2, v[82:83]
	v_add_co_u32 v70, vcc_lo, s6, v70
	v_ashrrev_i32_e32 v87, 31, v86
	v_add_nc_u32_e32 v90, s23, v76
	v_add_co_ci_u32_e32 v71, vcc_lo, s8, v71, vcc_lo
	v_lshlrev_b64 v[84:85], 2, v[84:85]
	v_add_co_u32 v80, vcc_lo, s6, v80
	v_ashrrev_i32_e32 v89, 31, v88
	v_add_nc_u32_e32 v92, s24, v76
	v_add_co_ci_u32_e32 v81, vcc_lo, s8, v81, vcc_lo
	v_lshlrev_b64 v[86:87], 2, v[86:87]
	v_add_co_u32 v82, vcc_lo, s6, v82
	v_ashrrev_i32_e32 v91, 31, v90
	v_add_nc_u32_e32 v94, s25, v76
	v_add_co_ci_u32_e32 v83, vcc_lo, s8, v83, vcc_lo
	v_lshlrev_b64 v[88:89], 3, v[88:89]
	v_add_co_u32 v84, vcc_lo, s6, v84
	v_ashrrev_i32_e32 v93, 31, v92
	v_add_nc_u32_e32 v96, s26, v76
	v_add_co_ci_u32_e32 v85, vcc_lo, s8, v85, vcc_lo
	v_lshlrev_b64 v[90:91], 3, v[90:91]
	v_add_co_u32 v86, vcc_lo, s6, v86
	v_ashrrev_i32_e32 v95, 31, v94
	v_add_nc_u32_e32 v98, s27, v76
	v_add_co_ci_u32_e32 v87, vcc_lo, s8, v87, vcc_lo
	v_lshlrev_b64 v[92:93], 3, v[92:93]
	v_add_co_u32 v88, vcc_lo, s9, v88
	v_ashrrev_i32_e32 v97, 31, v96
	v_add_nc_u32_e32 v100, s28, v76
	v_add_co_ci_u32_e32 v89, vcc_lo, s10, v89, vcc_lo
	v_lshlrev_b64 v[94:95], 3, v[94:95]
	v_add_co_u32 v90, vcc_lo, s9, v90
	v_ashrrev_i32_e32 v99, 31, v98
	v_add_nc_u32_e32 v102, s29, v76
	v_add_co_ci_u32_e32 v91, vcc_lo, s10, v91, vcc_lo
	v_lshlrev_b64 v[96:97], 3, v[96:97]
	v_add_co_u32 v92, vcc_lo, s9, v92
	v_ashrrev_i32_e32 v101, 31, v100
	v_add_nc_u32_e32 v104, s17, v76
	v_add_co_ci_u32_e32 v93, vcc_lo, s10, v93, vcc_lo
	v_lshlrev_b64 v[98:99], 3, v[98:99]
	v_add_co_u32 v94, vcc_lo, s9, v94
	v_ashrrev_i32_e32 v103, 31, v102
	v_add_co_ci_u32_e32 v95, vcc_lo, s10, v95, vcc_lo
	v_lshlrev_b64 v[100:101], 3, v[100:101]
	v_add_co_u32 v96, vcc_lo, s9, v96
	v_ashrrev_i32_e32 v105, 31, v104
	v_add_co_ci_u32_e32 v97, vcc_lo, s10, v97, vcc_lo
	v_lshlrev_b64 v[102:103], 3, v[102:103]
	v_add_co_u32 v98, vcc_lo, s9, v98
	v_add_co_ci_u32_e32 v99, vcc_lo, s10, v99, vcc_lo
	global_load_b64 v[108:109], v[18:19], off
	global_load_b32 v112, v[16:17], off
	v_lshlrev_b64 v[104:105], 3, v[104:105]
	v_add_co_u32 v100, vcc_lo, s9, v100
	v_add_co_ci_u32_e32 v101, vcc_lo, s10, v101, vcc_lo
	global_load_b32 v113, v[106:107], off
	global_load_b64 v[106:107], v[110:111], off
	v_add_co_u32 v102, vcc_lo, s9, v102
	v_add_co_ci_u32_e32 v103, vcc_lo, s10, v103, vcc_lo
	v_add_co_u32 v104, vcc_lo, s9, v104
	v_add_co_ci_u32_e32 v105, vcc_lo, s10, v105, vcc_lo
	s_clause 0xd
	global_load_b32 v110, v[20:21], off
	global_load_b32 v111, v[22:23], off
	global_load_b32 v114, v[24:25], off
	global_load_b32 v115, v[26:27], off
	global_load_b32 v116, v[28:29], off
	global_load_b32 v117, v[30:31], off
	global_load_b32 v118, v[32:33], off
	global_load_b32 v119, v[34:35], off
	global_load_b32 v120, v[36:37], off
	global_load_b32 v38, v[38:39], off
	global_load_b32 v39, v[40:41], off
	global_load_b32 v40, v[42:43], off
	global_load_b32 v41, v[44:45], off
	global_load_b32 v42, v[46:47], off
	s_clause 0x8
	global_load_b64 v[20:21], v[88:89], off
	global_load_b64 v[22:23], v[90:91], off
	;; [unrolled: 1-line block ×9, first 2 shown]
	s_clause 0xf
	global_load_b32 v88, v[48:49], off
	global_load_b32 v89, v[50:51], off
	;; [unrolled: 1-line block ×16, first 2 shown]
	v_add_nc_u32_e32 v76, 0x60, v76
	v_add_co_u32 v16, vcc_lo, 0x180, v16
	v_add_co_ci_u32_e32 v17, vcc_lo, 0, v17, vcc_lo
	v_add_co_u32 v18, vcc_lo, 0x300, v18
	s_delay_alu instid0(VALU_DEP_4) | instskip(SKIP_1) | instid1(VALU_DEP_2)
	v_cmp_le_i32_e64 s0, s22, v76
	v_add_co_ci_u32_e32 v19, vcc_lo, 0, v19, vcc_lo
	s_or_b32 s16, s0, s16
	s_waitcnt vmcnt(24)
	v_cvt_f16_f32_e32 v70, v20
	v_cvt_f16_f32_e32 v71, v21
	s_waitcnt vmcnt(23)
	v_cvt_f16_f32_e32 v96, v22
	v_cvt_f16_f32_e32 v97, v23
	;; [unrolled: 3-line block ×4, first 2 shown]
	v_cvt_f16_f32_e32 v43, v108
	v_cvt_f16_f32_e32 v44, v109
	ds_store_b32 v77, v112
	s_waitcnt vmcnt(20)
	v_cvt_f16_f32_e32 v102, v28
	v_cvt_f16_f32_e32 v103, v29
	s_waitcnt vmcnt(19)
	v_cvt_f16_f32_e32 v104, v30
	ds_store_b32 v77, v113 offset:144
	v_cvt_f16_f32_e32 v45, v106
	v_cvt_f16_f32_e32 v46, v107
	v_pack_b32_f16 v68, v43, v44
	ds_store_b32 v77, v110 offset:288
	ds_store_b32 v77, v111 offset:432
	;; [unrolled: 1-line block ×14, first 2 shown]
	v_cvt_f16_f32_e32 v105, v31
	s_waitcnt vmcnt(18)
	v_cvt_f16_f32_e32 v106, v32
	v_pack_b32_f16 v69, v45, v46
	v_cvt_f16_f32_e32 v107, v33
	s_waitcnt vmcnt(17)
	v_cvt_f16_f32_e32 v108, v34
	v_cvt_f16_f32_e32 v109, v35
	s_waitcnt vmcnt(16)
	v_cvt_f16_f32_e32 v110, v36
	v_cvt_f16_f32_e32 v111, v37
	ds_load_b128 v[20:23], v78
	ds_load_b128 v[24:27], v78 offset:16
	ds_load_b128 v[28:31], v78 offset:32
	;; [unrolled: 1-line block ×7, first 2 shown]
	s_waitcnt vmcnt(15)
	ds_store_b32 v77, v88
	s_waitcnt vmcnt(14)
	ds_store_b32 v77, v89 offset:144
	s_waitcnt vmcnt(13)
	ds_store_b32 v77, v52 offset:288
	;; [unrolled: 2-line block ×15, first 2 shown]
	ds_load_b128 v[52:55], v78
	ds_load_b128 v[56:59], v78 offset:16
	ds_load_b128 v[60:63], v78 offset:32
	ds_load_b128 v[64:67], v78 offset:48
	ds_load_b128 v[80:83], v78 offset:64
	ds_load_b128 v[84:87], v78 offset:80
	ds_load_b128 v[88:91], v78 offset:96
	ds_load_b128 v[92:95], v78 offset:112
	ds_store_b32 v77, v68
	v_pack_b32_f16 v68, v70, v71
	v_pack_b32_f16 v70, v96, v97
	;; [unrolled: 1-line block ×9, first 2 shown]
	ds_store_b32 v77, v69 offset:144
	ds_store_b32 v77, v68 offset:288
	;; [unrolled: 1-line block ×15, first 2 shown]
	ds_load_b128 v[96:99], v78
	ds_load_b128 v[100:103], v78 offset:16
	ds_load_b128 v[104:107], v78 offset:32
	;; [unrolled: 1-line block ×5, first 2 shown]
	s_waitcnt lgkmcnt(4)
	v_wmma_f32_16x16x16_f16 v[8:15], v[20:27], v[96:103], v[8:15]
	ds_load_b128 v[20:23], v78 offset:96
	ds_load_b128 v[24:27], v78 offset:112
	v_wmma_f32_16x16x16_f16 v[0:7], v[52:59], v[96:103], v[0:7]
	s_waitcnt lgkmcnt(4)
	v_wmma_f32_16x16x16_f16 v[8:15], v[28:35], v[104:111], v[8:15]
	s_delay_alu instid0(VALU_DEP_2) | instskip(SKIP_1) | instid1(VALU_DEP_2)
	v_wmma_f32_16x16x16_f16 v[0:7], v[60:67], v[104:111], v[0:7]
	s_waitcnt lgkmcnt(2)
	v_wmma_f32_16x16x16_f16 v[8:15], v[36:43], v[112:119], v[8:15]
	s_delay_alu instid0(VALU_DEP_2) | instskip(SKIP_1) | instid1(VALU_DEP_2)
	v_wmma_f32_16x16x16_f16 v[0:7], v[80:87], v[112:119], v[0:7]
	s_waitcnt lgkmcnt(0)
	v_wmma_f32_16x16x16_f16 v[8:15], v[44:51], v[20:27], v[8:15]
	s_delay_alu instid0(VALU_DEP_2)
	v_wmma_f32_16x16x16_f16 v[0:7], v[88:95], v[20:27], v[0:7]
	s_and_not1_b32 exec_lo, exec_lo, s16
	s_cbranch_execnz .LBB35_4
; %bb.5:
	s_or_b32 exec_lo, exec_lo, s16
.LBB35_6:
	s_delay_alu instid0(SALU_CYCLE_1)
	s_or_b32 exec_lo, exec_lo, s19
	v_lshrrev_b32_e32 v16, 2, v73
	v_mad_u32_u24 v17, 0x190, v75, 0
	v_lshlrev_b32_e32 v18, 2, v74
	s_waitcnt lgkmcnt(0)
	s_barrier
	v_and_b32_e32 v16, 0xfc, v16
	buffer_gl0_inv
	s_mul_hi_i32 s1, s11, s15
	s_mul_i32 s0, s11, s15
	s_mul_i32 s2, s14, s7
	v_add3_u32 v17, v17, v16, v18
	v_lshl_add_u32 v16, v73, 2, 0
	s_lshl_b64 s[0:1], s[0:1], 2
	ds_store_2addr_b32 v17, v8, v9 offset1:2
	ds_store_2addr_b32 v17, v10, v11 offset0:4 offset1:6
	ds_store_2addr_b32 v17, v12, v13 offset0:8 offset1:10
	;; [unrolled: 1-line block ×6, first 2 shown]
	v_mad_u32_u24 v11, 0x190, v72, v16
	ds_store_2addr_b32 v17, v6, v7 offset0:28 offset1:30
	s_waitcnt lgkmcnt(0)
	s_barrier
	buffer_gl0_inv
	ds_load_2addr_b32 v[1:2], v11 offset1:32
	v_add_nc_u32_e32 v0, 0x100, v11
	v_add_nc_u32_e32 v7, 0x800, v11
	v_mul_lo_u32 v9, v72, s18
	s_add_u32 s4, s20, s0
	s_addc_u32 s5, s21, s1
	ds_load_2addr_b32 v[3:4], v0 offset1:236
	v_add_nc_u32_e32 v0, 0x400, v11
	s_ashr_i32 s3, s2, 31
	ds_load_b32 v11, v11 offset:2656
	s_lshl_b64 s[0:1], s[2:3], 2
	s_mul_i32 s2, s18, 3
	ds_load_2addr_b32 v[5:6], v0 offset0:76 offset1:108
	v_add3_u32 v0, s12, v73, v9
	s_add_u32 s0, s4, s0
	s_addc_u32 s1, s5, s1
	s_mov_b32 s3, exec_lo
	s_waitcnt lgkmcnt(3)
	v_add_f32_e32 v10, 0, v1
	ds_load_2addr_b32 v[7:8], v7 offset0:88 offset1:120
	v_dual_mov_b32 v1, 0 :: v_dual_add_f32 v2, v10, v2
	s_waitcnt lgkmcnt(3)
	v_add_f32_e32 v4, 0, v4
	s_delay_alu instid0(VALU_DEP_2) | instskip(SKIP_1) | instid1(VALU_DEP_2)
	v_lshlrev_b64 v[9:10], 2, v[0:1]
	s_waitcnt lgkmcnt(1)
	v_dual_add_f32 v13, v4, v5 :: v_dual_add_nc_u32 v0, s2, v0
	s_delay_alu instid0(VALU_DEP_2) | instskip(NEXT) | instid1(VALU_DEP_3)
	v_add_co_u32 v4, vcc_lo, s0, v9
	v_add_co_ci_u32_e32 v5, vcc_lo, s1, v10, vcc_lo
	s_delay_alu instid0(VALU_DEP_3)
	v_add_f32_e32 v9, v13, v6
	s_waitcnt lgkmcnt(0)
	v_add_f32_e32 v7, 0, v7
	v_add_f32_e32 v12, v2, v3
	v_lshlrev_b64 v[2:3], 2, v[0:1]
	v_add_nc_u32_e32 v0, s2, v0
	s_delay_alu instid0(VALU_DEP_4) | instskip(NEXT) | instid1(VALU_DEP_2)
	v_add_f32_e32 v8, v7, v8
	v_lshlrev_b64 v[6:7], 2, v[0:1]
	s_delay_alu instid0(VALU_DEP_4) | instskip(SKIP_1) | instid1(VALU_DEP_4)
	v_add_co_u32 v2, vcc_lo, s0, v2
	v_add_co_ci_u32_e32 v3, vcc_lo, s1, v3, vcc_lo
	v_add_f32_e32 v8, v8, v11
	s_delay_alu instid0(VALU_DEP_4)
	v_add_co_u32 v6, vcc_lo, s0, v6
	v_add_co_ci_u32_e32 v7, vcc_lo, s1, v7, vcc_lo
	s_clause 0x2
	global_store_b32 v[4:5], v12, off
	global_store_b32 v[2:3], v9, off
	;; [unrolled: 1-line block ×3, first 2 shown]
	v_cmpx_gt_u32_e32 2, v72
	s_cbranch_execz .LBB35_8
; %bb.7:
	v_mul_u32_u24_e32 v2, 0x190, v72
	v_add_nc_u32_e32 v0, s2, v0
	s_delay_alu instid0(VALU_DEP_2) | instskip(NEXT) | instid1(VALU_DEP_2)
	v_add_nc_u32_e32 v4, v16, v2
	v_lshlrev_b64 v[0:1], 2, v[0:1]
	s_delay_alu instid0(VALU_DEP_2)
	v_add_nc_u32_e32 v2, 0xc00, v4
	ds_load_2addr_b32 v[2:3], v2 offset0:132 offset1:164
	ds_load_b32 v4, v4 offset:3856
	v_add_co_u32 v0, vcc_lo, s0, v0
	v_add_co_ci_u32_e32 v1, vcc_lo, s1, v1, vcc_lo
	s_waitcnt lgkmcnt(1)
	v_add_f32_e32 v2, 0, v2
	s_delay_alu instid0(VALU_DEP_1) | instskip(SKIP_1) | instid1(VALU_DEP_1)
	v_add_f32_e32 v2, v2, v3
	s_waitcnt lgkmcnt(0)
	v_add_f32_e32 v2, v2, v4
	global_store_b32 v[0:1], v2, off
.LBB35_8:
	s_nop 0
	s_sendmsg sendmsg(MSG_DEALLOC_VGPRS)
	s_endpgm
	.section	.rodata,"a",@progbits
	.p2align	6, 0x0
	.amdhsa_kernel _ZL9mul_mat_fI7__half2Li32ELi11ELi3ELb0EEvPKT_PKfPKiPfiiiiiiiiiiiiiiii
		.amdhsa_group_segment_fixed_size 0
		.amdhsa_private_segment_fixed_size 0
		.amdhsa_kernarg_size 96
		.amdhsa_user_sgpr_count 13
		.amdhsa_user_sgpr_dispatch_ptr 0
		.amdhsa_user_sgpr_queue_ptr 0
		.amdhsa_user_sgpr_kernarg_segment_ptr 1
		.amdhsa_user_sgpr_dispatch_id 0
		.amdhsa_user_sgpr_private_segment_size 0
		.amdhsa_wavefront_size32 1
		.amdhsa_uses_dynamic_stack 0
		.amdhsa_enable_private_segment 0
		.amdhsa_system_sgpr_workgroup_id_x 1
		.amdhsa_system_sgpr_workgroup_id_y 1
		.amdhsa_system_sgpr_workgroup_id_z 1
		.amdhsa_system_sgpr_workgroup_info 0
		.amdhsa_system_vgpr_workitem_id 1
		.amdhsa_next_free_vgpr 121
		.amdhsa_next_free_sgpr 60
		.amdhsa_reserve_vcc 1
		.amdhsa_float_round_mode_32 0
		.amdhsa_float_round_mode_16_64 0
		.amdhsa_float_denorm_mode_32 3
		.amdhsa_float_denorm_mode_16_64 3
		.amdhsa_dx10_clamp 1
		.amdhsa_ieee_mode 1
		.amdhsa_fp16_overflow 0
		.amdhsa_workgroup_processor_mode 1
		.amdhsa_memory_ordered 1
		.amdhsa_forward_progress 0
		.amdhsa_shared_vgpr_count 0
		.amdhsa_exception_fp_ieee_invalid_op 0
		.amdhsa_exception_fp_denorm_src 0
		.amdhsa_exception_fp_ieee_div_zero 0
		.amdhsa_exception_fp_ieee_overflow 0
		.amdhsa_exception_fp_ieee_underflow 0
		.amdhsa_exception_fp_ieee_inexact 0
		.amdhsa_exception_int_div_zero 0
	.end_amdhsa_kernel
	.section	.text._ZL9mul_mat_fI7__half2Li32ELi11ELi3ELb0EEvPKT_PKfPKiPfiiiiiiiiiiiiiiii,"axG",@progbits,_ZL9mul_mat_fI7__half2Li32ELi11ELi3ELb0EEvPKT_PKfPKiPfiiiiiiiiiiiiiiii,comdat
.Lfunc_end35:
	.size	_ZL9mul_mat_fI7__half2Li32ELi11ELi3ELb0EEvPKT_PKfPKiPfiiiiiiiiiiiiiiii, .Lfunc_end35-_ZL9mul_mat_fI7__half2Li32ELi11ELi3ELb0EEvPKT_PKfPKiPfiiiiiiiiiiiiiiii
                                        ; -- End function
	.section	.AMDGPU.csdata,"",@progbits
; Kernel info:
; codeLenInByte = 3996
; NumSgprs: 62
; NumVgprs: 121
; ScratchSize: 0
; MemoryBound: 0
; FloatMode: 240
; IeeeMode: 1
; LDSByteSize: 0 bytes/workgroup (compile time only)
; SGPRBlocks: 7
; VGPRBlocks: 15
; NumSGPRsForWavesPerEU: 62
; NumVGPRsForWavesPerEU: 121
; Occupancy: 10
; WaveLimiterHint : 0
; COMPUTE_PGM_RSRC2:SCRATCH_EN: 0
; COMPUTE_PGM_RSRC2:USER_SGPR: 13
; COMPUTE_PGM_RSRC2:TRAP_HANDLER: 0
; COMPUTE_PGM_RSRC2:TGID_X_EN: 1
; COMPUTE_PGM_RSRC2:TGID_Y_EN: 1
; COMPUTE_PGM_RSRC2:TGID_Z_EN: 1
; COMPUTE_PGM_RSRC2:TIDIG_COMP_CNT: 1
	.section	.text._ZL13mul_mat_f_idsI7__half2Li32ELi11ELi4EEvPKT_PKfPKiS7_S7_Pfiiiiiiiiiiiiii15HIP_vector_typeIjLj3EESA_,"axG",@progbits,_ZL13mul_mat_f_idsI7__half2Li32ELi11ELi4EEvPKT_PKfPKiS7_S7_Pfiiiiiiiiiiiiii15HIP_vector_typeIjLj3EESA_,comdat
	.globl	_ZL13mul_mat_f_idsI7__half2Li32ELi11ELi4EEvPKT_PKfPKiS7_S7_Pfiiiiiiiiiiiiii15HIP_vector_typeIjLj3EESA_ ; -- Begin function _ZL13mul_mat_f_idsI7__half2Li32ELi11ELi4EEvPKT_PKfPKiS7_S7_Pfiiiiiiiiiiiiii15HIP_vector_typeIjLj3EESA_
	.p2align	8
	.type	_ZL13mul_mat_f_idsI7__half2Li32ELi11ELi4EEvPKT_PKfPKiS7_S7_Pfiiiiiiiiiiiiii15HIP_vector_typeIjLj3EESA_,@function
_ZL13mul_mat_f_idsI7__half2Li32ELi11ELi4EEvPKT_PKfPKiS7_S7_Pfiiiiiiiiiiiiii15HIP_vector_typeIjLj3EESA_: ; @_ZL13mul_mat_f_idsI7__half2Li32ELi11ELi4EEvPKT_PKfPKiS7_S7_Pfiiiiiiiiiiiiii15HIP_vector_typeIjLj3EESA_
; %bb.0:
	s_load_b64 s[4:5], s[0:1], 0x20
	s_mov_b32 s2, s15
	s_ashr_i32 s15, s14, 31
	s_delay_alu instid0(SALU_CYCLE_1)
	s_lshl_b64 s[6:7], s[14:15], 2
	s_waitcnt lgkmcnt(0)
	s_add_u32 s4, s4, s6
	s_addc_u32 s5, s5, s7
	s_load_b64 s[30:31], s[4:5], 0x0
	s_waitcnt lgkmcnt(0)
	s_sub_i32 s33, s31, s30
	s_delay_alu instid0(SALU_CYCLE_1) | instskip(NEXT) | instid1(SALU_CYCLE_1)
	s_add_i32 s3, s33, 10
	s_mul_hi_i32 s3, s3, 0x2e8ba2e9
	s_delay_alu instid0(SALU_CYCLE_1) | instskip(SKIP_1) | instid1(SALU_CYCLE_1)
	s_lshr_b32 s4, s3, 31
	s_ashr_i32 s3, s3, 1
	s_add_i32 s3, s3, s4
	s_delay_alu instid0(SALU_CYCLE_1)
	s_cmp_ge_i32 s2, s3
	s_cbranch_scc1 .LBB36_50
; %bb.1:
	s_clause 0x4
	s_load_b128 s[8:11], s[0:1], 0x30
	s_load_b64 s[24:25], s[0:1], 0x40
	s_load_b128 s[4:7], s[0:1], 0x4c
	s_load_b128 s[16:19], s[0:1], 0x68
	s_load_b64 s[26:27], s[0:1], 0x78
	v_bfe_u32 v105, v0, 10, 10
	v_and_b32_e32 v106, 0x3ff, v0
	s_ashr_i32 s31, s30, 31
	s_waitcnt lgkmcnt(0)
	s_mov_b32 s7, exec_lo
                                        ; implicit-def: $sgpr3
	v_lshlrev_b32_e32 v107, 5, v105
	v_and_b32_e32 v108, 15, v106
	s_delay_alu instid0(VALU_DEP_2) | instskip(NEXT) | instid1(VALU_DEP_1)
	v_add_nc_u32_e32 v80, v107, v106
	v_cmpx_le_i32_e64 s8, v80
	s_xor_b32 s7, exec_lo, s7
; %bb.2:
	v_and_b32_e32 v108, 15, v106
	s_mov_b32 s3, 0
                                        ; implicit-def: $vgpr80
; %bb.3:
	s_or_saveexec_b32 s36, s7
	s_clause 0x1
	s_load_b64 s[34:35], s[0:1], 0x18
	s_load_b64 s[28:29], s[0:1], 0x28
	v_dual_mov_b32 v7, s3 :: v_dual_mov_b32 v6, s3
	v_dual_mov_b32 v5, s3 :: v_dual_mov_b32 v4, s3
	;; [unrolled: 1-line block ×8, first 2 shown]
	s_lshl_b32 s7, s13, 5
	s_mul_i32 s2, s2, 11
	s_xor_b32 exec_lo, exec_lo, s36
	s_cbranch_execz .LBB36_40
; %bb.4:
	s_clause 0x1
	s_load_b128 s[20:23], s[0:1], 0x0
	s_load_b64 s[12:13], s[0:1], 0x10
	s_mul_i32 s0, s7, s11
	s_mul_i32 s14, s14, s4
	s_ashr_i32 s1, s0, 31
	s_ashr_i32 s15, s14, 31
	s_lshl_b64 s[0:1], s[0:1], 2
	s_lshl_b64 s[14:15], s[14:15], 2
	v_dual_mov_b32 v8, 0 :: v_dual_lshlrev_b32 v3, 7, v105
	s_add_u32 s0, s14, s0
	s_addc_u32 s47, s15, s1
	v_mad_u32_u24 v0, 0x900, v105, 0
	v_dual_mov_b32 v110, 0 :: v_dual_lshlrev_b32 v1, 2, v106
	v_mul_u32_u24_e32 v2, 0x90, v108
	s_mov_b32 s41, 0
	s_mul_i32 s45, s11, 3
	s_delay_alu instid0(VALU_DEP_2)
	v_dual_mov_b32 v10, v110 :: v_dual_add_nc_u32 v109, v0, v1
	s_waitcnt lgkmcnt(0)
	s_add_u32 s1, s0, s20
	s_addc_u32 s4, s47, s21
	s_lshl_b64 s[14:15], s[30:31], 2
	v_add_co_u32 v3, s0, s0, v3
	s_add_u32 s14, s12, s14
	s_addc_u32 s15, s13, s15
	s_cmp_lt_i32 s2, s33
	v_add_co_ci_u32_e64 v4, null, s47, 0, s0
	s_cselect_b32 s37, -1, 0
	s_ashr_i32 s3, s2, 31
	v_add_co_u32 v1, vcc_lo, v3, v1
	s_lshl_b64 s[12:13], s[2:3], 2
	v_add_co_ci_u32_e32 v3, vcc_lo, 0, v4, vcc_lo
	s_add_u32 s12, s14, s12
	s_addc_u32 s13, s15, s13
	s_add_i32 s3, s2, 1
	v_add_co_u32 v81, vcc_lo, s20, v1
	s_cmp_lt_i32 s3, s33
	v_add_co_ci_u32_e32 v82, vcc_lo, s21, v3, vcc_lo
	s_cselect_b32 s3, -1, 0
	s_add_i32 s14, s2, 2
	v_dual_mov_b32 v12, v110 :: v_dual_add_nc_u32 v111, v0, v2
	s_cmp_lt_i32 s14, s33
	v_dual_mov_b32 v9, v110 :: v_dual_mov_b32 v0, 0
	s_cselect_b32 s38, -1, 0
	s_add_i32 s14, s2, 3
	v_mov_b32_e32 v11, v110
	s_cmp_lt_i32 s14, s33
	v_mov_b32_e32 v13, v110
	s_cselect_b32 s39, -1, 0
	s_add_i32 s14, s2, 4
	v_mov_b32_e32 v14, v110
	s_cmp_lt_i32 s14, s33
	v_mov_b32_e32 v15, v110
	;; [unrolled: 5-line block ×5, first 2 shown]
	s_cselect_b32 s44, -1, 0
	s_add_i32 s15, s2, 8
	v_mov_b32_e32 v7, v110
	s_cmp_lt_i32 s15, s33
	s_mov_b32 s14, s11
	s_cselect_b32 s46, -1, 0
	s_add_i32 s15, s2, 9
	s_mul_i32 s49, s11, 5
	s_cmp_lt_i32 s15, s33
	s_mul_i32 s50, s11, 6
	s_cselect_b32 s47, -1, 0
	s_add_i32 s0, s2, 10
	s_mul_i32 s51, s11, 7
	s_cmp_lt_i32 s0, s33
	s_mul_i32 s53, s11, 9
	s_cselect_b32 s20, -1, 0
	s_ashr_i32 s15, s11, 31
	s_lshl_b32 s21, s11, 1
	s_lshl_b32 s48, s11, 2
	s_lshl_b64 s[14:15], s[14:15], 2
	s_lshl_b32 s52, s11, 3
	s_mul_i32 s54, s11, 10
	s_mul_i32 s55, s11, 11
	;; [unrolled: 1-line block ×6, first 2 shown]
	s_lshl_b32 s60, s11, 4
	s_mul_i32 s61, s11, 17
	s_mul_i32 s62, s11, 18
	;; [unrolled: 1-line block ×15, first 2 shown]
	s_branch .LBB36_6
.LBB36_5:                               ;   in Loop: Header=BB36_6 Depth=1
	s_waitcnt vmcnt(0)
	v_cvt_f16_f32_e32 v83, v83
	v_cvt_f16_f32_e32 v84, v84
	;; [unrolled: 1-line block ×8, first 2 shown]
	v_pack_b32_f16 v83, v83, v84
	v_pack_b32_f16 v84, v87, v88
	v_cvt_f16_f32_e32 v87, v89
	v_cvt_f16_f32_e32 v88, v90
	v_pack_b32_f16 v85, v85, v86
	v_pack_b32_f16 v86, v91, v92
	v_cvt_f16_f32_e32 v89, v95
	v_cvt_f16_f32_e32 v90, v96
	;; [unrolled: 1-line block ×4, first 2 shown]
	ds_store_2addr_b32 v109, v83, v84 offset1:36
	ds_store_2addr_b32 v109, v85, v86 offset0:72 offset1:108
	v_pack_b32_f16 v83, v87, v88
	v_cvt_f16_f32_e32 v86, v99
	v_cvt_f16_f32_e32 v87, v100
	v_pack_b32_f16 v84, v89, v90
	v_pack_b32_f16 v85, v91, v92
	v_cvt_f16_f32_e32 v88, v97
	v_cvt_f16_f32_e32 v89, v98
	;; [unrolled: 1-line block ×6, first 2 shown]
	v_pack_b32_f16 v86, v86, v87
	v_pack_b32_f16 v87, v88, v89
	;; [unrolled: 1-line block ×3, first 2 shown]
	v_add_nc_u32_e32 v89, 0x400, v109
	v_pack_b32_f16 v90, v92, v93
	ds_store_2addr_b32 v109, v83, v84 offset0:144 offset1:180
	v_add_nc_u32_e32 v83, 0x600, v109
	ds_store_2addr_b32 v109, v85, v86 offset0:216 offset1:252
	ds_store_2addr_b32 v89, v87, v88 offset0:32 offset1:68
	;; [unrolled: 1-line block ×5, first 2 shown]
	ds_load_b128 v[83:86], v111
	ds_load_b128 v[87:90], v111 offset:16
	ds_load_b128 v[91:94], v111 offset:32
	;; [unrolled: 1-line block ×5, first 2 shown]
	v_add_nc_u32_e32 v80, 0x80, v80
	v_add_co_u32 v81, s0, 0x200, v81
	s_delay_alu instid0(VALU_DEP_1) | instskip(NEXT) | instid1(VALU_DEP_3)
	v_add_co_ci_u32_e64 v82, s0, 0, v82, s0
	v_cmp_le_i32_e32 vcc_lo, s8, v80
	s_or_b32 s41, vcc_lo, s41
	s_waitcnt lgkmcnt(4)
	v_wmma_f32_16x16x16_f16 v[8:15], v[48:55], v[83:90], v[8:15]
	ds_load_b128 v[48:51], v111 offset:96
	ds_load_b128 v[52:55], v111 offset:112
	v_wmma_f32_16x16x16_f16 v[0:7], v[72:79], v[83:90], v[0:7]
	s_waitcnt lgkmcnt(4)
	v_wmma_f32_16x16x16_f16 v[8:15], v[32:39], v[91:98], v[8:15]
	s_delay_alu instid0(VALU_DEP_2) | instskip(SKIP_1) | instid1(VALU_DEP_2)
	v_wmma_f32_16x16x16_f16 v[0:7], v[64:71], v[91:98], v[0:7]
	s_waitcnt lgkmcnt(2)
	v_wmma_f32_16x16x16_f16 v[8:15], v[24:31], v[112:119], v[8:15]
	s_delay_alu instid0(VALU_DEP_2) | instskip(SKIP_1) | instid1(VALU_DEP_2)
	v_wmma_f32_16x16x16_f16 v[0:7], v[56:63], v[112:119], v[0:7]
	s_waitcnt lgkmcnt(0)
	v_wmma_f32_16x16x16_f16 v[8:15], v[16:23], v[48:55], v[8:15]
	s_delay_alu instid0(VALU_DEP_2)
	v_wmma_f32_16x16x16_f16 v[0:7], v[40:47], v[48:55], v[0:7]
	s_and_not1_b32 exec_lo, exec_lo, s41
	s_cbranch_execz .LBB36_39
.LBB36_6:                               ; =>This Inner Loop Header: Depth=1
	v_dual_mov_b32 v83, 0 :: v_dual_add_nc_u32 v16, s21, v80
	v_add_nc_u32_e32 v22, s48, v80
	v_add_nc_u32_e32 v18, s45, v80
	v_add_co_u32 v20, vcc_lo, v81, s14
	s_delay_alu instid0(VALU_DEP_4)
	v_ashrrev_i32_e32 v17, 31, v16
	v_add_co_ci_u32_e32 v21, vcc_lo, s15, v82, vcc_lo
	v_ashrrev_i32_e32 v23, 31, v22
	v_ashrrev_i32_e32 v19, 31, v18
	v_add_nc_u32_e32 v24, s49, v80
	v_lshlrev_b64 v[16:17], 2, v[16:17]
	s_clause 0x1
	global_load_b32 v38, v[81:82], off
	global_load_b32 v39, v[20:21], off
	v_lshlrev_b64 v[20:21], 2, v[22:23]
	v_add_nc_u32_e32 v22, s50, v80
	v_lshlrev_b64 v[18:19], 2, v[18:19]
	v_ashrrev_i32_e32 v25, 31, v24
	v_add_nc_u32_e32 v26, s51, v80
	v_add_co_u32 v16, vcc_lo, s1, v16
	v_ashrrev_i32_e32 v23, 31, v22
	v_add_co_ci_u32_e32 v17, vcc_lo, s4, v17, vcc_lo
	v_add_nc_u32_e32 v28, s52, v80
	v_add_co_u32 v18, vcc_lo, s1, v18
	v_lshlrev_b64 v[24:25], 2, v[24:25]
	v_ashrrev_i32_e32 v27, 31, v26
	v_add_co_ci_u32_e32 v19, vcc_lo, s4, v19, vcc_lo
	v_add_nc_u32_e32 v30, s53, v80
	v_add_co_u32 v20, vcc_lo, s1, v20
	v_lshlrev_b64 v[22:23], 2, v[22:23]
	v_ashrrev_i32_e32 v29, 31, v28
	v_add_co_ci_u32_e32 v21, vcc_lo, s4, v21, vcc_lo
	v_add_co_u32 v24, vcc_lo, s1, v24
	v_lshlrev_b64 v[26:27], 2, v[26:27]
	v_ashrrev_i32_e32 v31, 31, v30
	v_add_co_ci_u32_e32 v25, vcc_lo, s4, v25, vcc_lo
	v_add_co_u32 v22, vcc_lo, s1, v22
	v_lshlrev_b64 v[28:29], 2, v[28:29]
	v_add_co_ci_u32_e32 v23, vcc_lo, s4, v23, vcc_lo
	v_add_nc_u32_e32 v32, s54, v80
	v_add_co_u32 v26, vcc_lo, s1, v26
	v_lshlrev_b64 v[30:31], 2, v[30:31]
	v_add_co_ci_u32_e32 v27, vcc_lo, s4, v27, vcc_lo
	v_add_nc_u32_e32 v34, s55, v80
	v_add_co_u32 v28, vcc_lo, s1, v28
	v_ashrrev_i32_e32 v33, 31, v32
	v_add_co_ci_u32_e32 v29, vcc_lo, s4, v29, vcc_lo
	v_add_nc_u32_e32 v36, s56, v80
	v_add_co_u32 v30, vcc_lo, s1, v30
	v_ashrrev_i32_e32 v35, 31, v34
	v_add_co_ci_u32_e32 v31, vcc_lo, s4, v31, vcc_lo
	s_clause 0x7
	global_load_b32 v40, v[16:17], off
	global_load_b32 v41, v[18:19], off
	global_load_b32 v42, v[20:21], off
	global_load_b32 v43, v[24:25], off
	global_load_b32 v44, v[22:23], off
	global_load_b32 v45, v[26:27], off
	global_load_b32 v46, v[28:29], off
	global_load_b32 v47, v[30:31], off
	v_add_nc_u32_e32 v18, s57, v80
	v_lshlrev_b64 v[32:33], 2, v[32:33]
	v_ashrrev_i32_e32 v37, 31, v36
	v_add_nc_u32_e32 v24, s58, v80
	v_lshlrev_b64 v[16:17], 2, v[34:35]
	v_ashrrev_i32_e32 v19, 31, v18
	v_add_nc_u32_e32 v26, s59, v80
	v_add_co_u32 v20, vcc_lo, s1, v32
	v_lshlrev_b64 v[22:23], 2, v[36:37]
	v_ashrrev_i32_e32 v25, 31, v24
	v_add_co_ci_u32_e32 v21, vcc_lo, s4, v33, vcc_lo
	v_add_nc_u32_e32 v28, s60, v80
	v_add_co_u32 v16, vcc_lo, s1, v16
	v_lshlrev_b64 v[18:19], 2, v[18:19]
	v_ashrrev_i32_e32 v27, 31, v26
	v_add_co_ci_u32_e32 v17, vcc_lo, s4, v17, vcc_lo
	v_add_nc_u32_e32 v30, s61, v80
	v_add_co_u32 v22, vcc_lo, s1, v22
	v_lshlrev_b64 v[24:25], 2, v[24:25]
	v_ashrrev_i32_e32 v29, 31, v28
	v_add_co_ci_u32_e32 v23, vcc_lo, s4, v23, vcc_lo
	v_add_co_u32 v18, vcc_lo, s1, v18
	v_lshlrev_b64 v[26:27], 2, v[26:27]
	v_ashrrev_i32_e32 v31, 31, v30
	v_add_co_ci_u32_e32 v19, vcc_lo, s4, v19, vcc_lo
	v_add_co_u32 v24, vcc_lo, s1, v24
	v_lshlrev_b64 v[28:29], 2, v[28:29]
	v_add_co_ci_u32_e32 v25, vcc_lo, s4, v25, vcc_lo
	v_add_nc_u32_e32 v32, s62, v80
	v_add_co_u32 v26, vcc_lo, s1, v26
	v_lshlrev_b64 v[30:31], 2, v[30:31]
	v_add_co_ci_u32_e32 v27, vcc_lo, s4, v27, vcc_lo
	v_add_nc_u32_e32 v34, s63, v80
	v_add_co_u32 v28, vcc_lo, s1, v28
	v_ashrrev_i32_e32 v33, 31, v32
	v_add_co_ci_u32_e32 v29, vcc_lo, s4, v29, vcc_lo
	v_add_nc_u32_e32 v36, s64, v80
	v_add_co_u32 v30, vcc_lo, s1, v30
	v_ashrrev_i32_e32 v35, 31, v34
	v_add_co_ci_u32_e32 v31, vcc_lo, s4, v31, vcc_lo
	s_clause 0x7
	global_load_b32 v48, v[20:21], off
	global_load_b32 v49, v[16:17], off
	global_load_b32 v50, v[22:23], off
	global_load_b32 v51, v[18:19], off
	global_load_b32 v52, v[24:25], off
	global_load_b32 v53, v[26:27], off
	global_load_b32 v56, v[28:29], off
	global_load_b32 v57, v[30:31], off
	v_add_nc_u32_e32 v18, s65, v80
	v_lshlrev_b64 v[32:33], 2, v[32:33]
	v_ashrrev_i32_e32 v37, 31, v36
	v_add_nc_u32_e32 v24, s66, v80
	v_lshlrev_b64 v[16:17], 2, v[34:35]
	v_ashrrev_i32_e32 v19, 31, v18
	v_add_nc_u32_e32 v26, s67, v80
	v_add_co_u32 v20, vcc_lo, s1, v32
	v_lshlrev_b64 v[22:23], 2, v[36:37]
	v_ashrrev_i32_e32 v25, 31, v24
	v_add_co_ci_u32_e32 v21, vcc_lo, s4, v33, vcc_lo
	v_add_nc_u32_e32 v28, s68, v80
	v_add_co_u32 v16, vcc_lo, s1, v16
	v_lshlrev_b64 v[18:19], 2, v[18:19]
	v_ashrrev_i32_e32 v27, 31, v26
	v_add_co_ci_u32_e32 v17, vcc_lo, s4, v17, vcc_lo
	v_add_nc_u32_e32 v30, s69, v80
	v_add_co_u32 v22, vcc_lo, s1, v22
	v_lshlrev_b64 v[24:25], 2, v[24:25]
	v_ashrrev_i32_e32 v29, 31, v28
	v_add_co_ci_u32_e32 v23, vcc_lo, s4, v23, vcc_lo
	v_add_co_u32 v18, vcc_lo, s1, v18
	v_lshlrev_b64 v[26:27], 2, v[26:27]
	v_ashrrev_i32_e32 v31, 31, v30
	v_add_co_ci_u32_e32 v19, vcc_lo, s4, v19, vcc_lo
	v_add_co_u32 v24, vcc_lo, s1, v24
	v_lshlrev_b64 v[28:29], 2, v[28:29]
	v_add_co_ci_u32_e32 v25, vcc_lo, s4, v25, vcc_lo
	v_add_nc_u32_e32 v32, s70, v80
	v_add_co_u32 v26, vcc_lo, s1, v26
	v_lshlrev_b64 v[30:31], 2, v[30:31]
	v_add_co_ci_u32_e32 v27, vcc_lo, s4, v27, vcc_lo
	v_add_nc_u32_e32 v34, s71, v80
	v_add_co_u32 v28, vcc_lo, s1, v28
	v_ashrrev_i32_e32 v33, 31, v32
	v_add_co_ci_u32_e32 v29, vcc_lo, s4, v29, vcc_lo
	v_add_nc_u32_e32 v36, s72, v80
	v_add_co_u32 v30, vcc_lo, s1, v30
	v_ashrrev_i32_e32 v35, 31, v34
	v_add_co_ci_u32_e32 v31, vcc_lo, s4, v31, vcc_lo
	s_clause 0x7
	global_load_b32 v58, v[20:21], off
	global_load_b32 v59, v[16:17], off
	global_load_b32 v60, v[22:23], off
	global_load_b32 v61, v[18:19], off
	global_load_b32 v62, v[24:25], off
	global_load_b32 v63, v[26:27], off
	global_load_b32 v64, v[28:29], off
	global_load_b32 v65, v[30:31], off
	v_add_nc_u32_e32 v18, s73, v80
	v_lshlrev_b64 v[32:33], 2, v[32:33]
	v_ashrrev_i32_e32 v37, 31, v36
	v_add_nc_u32_e32 v24, s74, v80
	v_lshlrev_b64 v[16:17], 2, v[34:35]
	v_ashrrev_i32_e32 v19, 31, v18
	v_add_nc_u32_e32 v26, s11, v80
	v_add_co_u32 v20, vcc_lo, s1, v32
	v_lshlrev_b64 v[22:23], 2, v[36:37]
	v_ashrrev_i32_e32 v25, 31, v24
	v_add_co_ci_u32_e32 v21, vcc_lo, s4, v33, vcc_lo
	v_add_co_u32 v16, vcc_lo, s1, v16
	v_lshlrev_b64 v[18:19], 2, v[18:19]
	v_ashrrev_i32_e32 v27, 31, v26
	v_add_co_ci_u32_e32 v17, vcc_lo, s4, v17, vcc_lo
	v_add_co_u32 v22, vcc_lo, s1, v22
	v_lshlrev_b64 v[24:25], 2, v[24:25]
	v_add_co_ci_u32_e32 v23, vcc_lo, s4, v23, vcc_lo
	v_add_co_u32 v18, vcc_lo, s1, v18
	v_lshlrev_b64 v[26:27], 2, v[26:27]
	v_add_co_ci_u32_e32 v19, vcc_lo, s4, v19, vcc_lo
	v_add_co_u32 v24, vcc_lo, s1, v24
	v_add_co_ci_u32_e32 v25, vcc_lo, s4, v25, vcc_lo
	s_delay_alu instid0(VALU_DEP_4)
	v_add_co_u32 v26, vcc_lo, s1, v26
	v_add_co_ci_u32_e32 v27, vcc_lo, s4, v27, vcc_lo
	s_clause 0x5
	global_load_b32 v66, v[20:21], off
	global_load_b32 v67, v[16:17], off
	;; [unrolled: 1-line block ×6, first 2 shown]
	v_mov_b32_e32 v84, 0
	s_and_not1_b32 vcc_lo, exec_lo, s37
	s_waitcnt vmcnt(31)
	ds_store_b32 v109, v38
	s_waitcnt vmcnt(30)
	ds_store_b32 v109, v39 offset:144
	s_waitcnt vmcnt(29)
	ds_store_b32 v109, v40 offset:288
	s_waitcnt vmcnt(28)
	ds_store_b32 v109, v41 offset:432
	s_waitcnt vmcnt(27)
	ds_store_b32 v109, v42 offset:576
	s_waitcnt vmcnt(26)
	ds_store_b32 v109, v43 offset:720
	s_waitcnt vmcnt(25)
	ds_store_b32 v109, v44 offset:864
	s_waitcnt vmcnt(24)
	ds_store_b32 v109, v45 offset:1008
	s_waitcnt vmcnt(23)
	ds_store_b32 v109, v46 offset:1152
	s_waitcnt vmcnt(22)
	ds_store_b32 v109, v47 offset:1296
	s_waitcnt vmcnt(21)
	ds_store_b32 v109, v48 offset:1440
	s_waitcnt vmcnt(20)
	ds_store_b32 v109, v49 offset:1584
	s_waitcnt vmcnt(19)
	ds_store_b32 v109, v50 offset:1728
	s_waitcnt vmcnt(18)
	ds_store_b32 v109, v51 offset:1872
	s_waitcnt vmcnt(17)
	ds_store_b32 v109, v52 offset:2016
	s_waitcnt vmcnt(16)
	ds_store_b32 v109, v53 offset:2160
	ds_load_b128 v[48:51], v111
	ds_load_b128 v[52:55], v111 offset:16
	ds_load_b128 v[32:35], v111 offset:32
	;; [unrolled: 1-line block ×7, first 2 shown]
	s_waitcnt vmcnt(15)
	ds_store_b32 v109, v56
	s_waitcnt vmcnt(14)
	ds_store_b32 v109, v57 offset:144
	s_waitcnt vmcnt(13)
	ds_store_b32 v109, v58 offset:288
	;; [unrolled: 2-line block ×15, first 2 shown]
	ds_load_b128 v[72:75], v111
	ds_load_b128 v[76:79], v111 offset:16
	ds_load_b128 v[64:67], v111 offset:32
	;; [unrolled: 1-line block ×7, first 2 shown]
	s_cbranch_vccnz .LBB36_9
; %bb.7:                                ;   in Loop: Header=BB36_6 Depth=1
	s_load_b32 s0, s[12:13], 0x0
	v_dual_mov_b32 v84, 0 :: v_dual_mov_b32 v83, 0
	s_waitcnt lgkmcnt(0)
	s_mul_hi_u32 s75, s0, s16
	s_delay_alu instid0(SALU_CYCLE_1) | instskip(NEXT) | instid1(SALU_CYCLE_1)
	s_add_i32 s75, s0, s75
	s_lshr_b32 s75, s75, s17
	s_delay_alu instid0(SALU_CYCLE_1)
	s_cmp_ge_i32 s75, s9
	s_cbranch_scc1 .LBB36_9
; %bb.8:                                ;   in Loop: Header=BB36_6 Depth=1
	v_mad_u64_u32 v[83:84], null, s75, s24, v[80:81]
	s_mul_i32 s75, s75, s18
	s_delay_alu instid0(SALU_CYCLE_1) | instskip(NEXT) | instid1(SALU_CYCLE_1)
	s_sub_i32 s0, s0, s75
	s_mul_i32 s0, s0, s5
	s_delay_alu instid0(VALU_DEP_1) | instid1(SALU_CYCLE_1)
	v_lshl_add_u32 v83, v83, 1, s0
	s_delay_alu instid0(VALU_DEP_1) | instskip(NEXT) | instid1(VALU_DEP_1)
	v_ashrrev_i32_e32 v84, 31, v83
	v_lshlrev_b64 v[83:84], 2, v[83:84]
	s_delay_alu instid0(VALU_DEP_1) | instskip(NEXT) | instid1(VALU_DEP_2)
	v_add_co_u32 v83, vcc_lo, s22, v83
	v_add_co_ci_u32_e32 v84, vcc_lo, s23, v84, vcc_lo
	global_load_b64 v[83:84], v[83:84], off
.LBB36_9:                               ;   in Loop: Header=BB36_6 Depth=1
	v_dual_mov_b32 v85, 0 :: v_dual_mov_b32 v88, 0
	v_mov_b32_e32 v87, 0
	s_and_not1_b32 vcc_lo, exec_lo, s3
	s_cbranch_vccnz .LBB36_12
; %bb.10:                               ;   in Loop: Header=BB36_6 Depth=1
	s_load_b32 s0, s[12:13], 0x4
	v_dual_mov_b32 v88, 0 :: v_dual_mov_b32 v87, 0
	s_waitcnt lgkmcnt(0)
	s_mul_hi_u32 s75, s0, s16
	s_delay_alu instid0(SALU_CYCLE_1) | instskip(NEXT) | instid1(SALU_CYCLE_1)
	s_add_i32 s75, s0, s75
	s_lshr_b32 s75, s75, s17
	s_delay_alu instid0(SALU_CYCLE_1)
	s_cmp_ge_i32 s75, s9
	s_cbranch_scc1 .LBB36_12
; %bb.11:                               ;   in Loop: Header=BB36_6 Depth=1
	v_mad_u64_u32 v[86:87], null, s75, s24, v[80:81]
	s_mul_i32 s75, s75, s18
	s_delay_alu instid0(SALU_CYCLE_1) | instskip(NEXT) | instid1(SALU_CYCLE_1)
	s_sub_i32 s0, s0, s75
	s_mul_i32 s0, s0, s5
	s_delay_alu instid0(VALU_DEP_1) | instid1(SALU_CYCLE_1)
	v_lshl_add_u32 v86, v86, 1, s0
	s_delay_alu instid0(VALU_DEP_1) | instskip(NEXT) | instid1(VALU_DEP_1)
	v_ashrrev_i32_e32 v87, 31, v86
	v_lshlrev_b64 v[86:87], 2, v[86:87]
	s_delay_alu instid0(VALU_DEP_1) | instskip(NEXT) | instid1(VALU_DEP_2)
	v_add_co_u32 v86, vcc_lo, s22, v86
	v_add_co_ci_u32_e32 v87, vcc_lo, s23, v87, vcc_lo
	global_load_b64 v[87:88], v[86:87], off
.LBB36_12:                              ;   in Loop: Header=BB36_6 Depth=1
	v_mov_b32_e32 v86, 0
	s_and_not1_b32 vcc_lo, exec_lo, s38
	s_cbranch_vccnz .LBB36_15
; %bb.13:                               ;   in Loop: Header=BB36_6 Depth=1
	s_load_b32 s0, s[12:13], 0x8
	v_dual_mov_b32 v86, 0 :: v_dual_mov_b32 v85, 0
	s_waitcnt lgkmcnt(0)
	s_mul_hi_u32 s75, s0, s16
	s_delay_alu instid0(SALU_CYCLE_1) | instskip(NEXT) | instid1(SALU_CYCLE_1)
	s_add_i32 s75, s0, s75
	s_lshr_b32 s75, s75, s17
	s_delay_alu instid0(SALU_CYCLE_1)
	s_cmp_ge_i32 s75, s9
	s_cbranch_scc1 .LBB36_15
; %bb.14:                               ;   in Loop: Header=BB36_6 Depth=1
	v_mad_u64_u32 v[85:86], null, s75, s24, v[80:81]
	s_mul_i32 s75, s75, s18
	s_delay_alu instid0(SALU_CYCLE_1) | instskip(NEXT) | instid1(SALU_CYCLE_1)
	s_sub_i32 s0, s0, s75
	s_mul_i32 s0, s0, s5
	s_delay_alu instid0(VALU_DEP_1) | instid1(SALU_CYCLE_1)
	v_lshl_add_u32 v85, v85, 1, s0
	s_delay_alu instid0(VALU_DEP_1) | instskip(NEXT) | instid1(VALU_DEP_1)
	v_ashrrev_i32_e32 v86, 31, v85
	v_lshlrev_b64 v[85:86], 2, v[85:86]
	s_delay_alu instid0(VALU_DEP_1) | instskip(NEXT) | instid1(VALU_DEP_2)
	v_add_co_u32 v85, vcc_lo, s22, v85
	v_add_co_ci_u32_e32 v86, vcc_lo, s23, v86, vcc_lo
	global_load_b64 v[85:86], v[85:86], off
.LBB36_15:                              ;   in Loop: Header=BB36_6 Depth=1
	v_dual_mov_b32 v89, 0 :: v_dual_mov_b32 v92, 0
	v_mov_b32_e32 v91, 0
	s_and_not1_b32 vcc_lo, exec_lo, s39
	s_cbranch_vccnz .LBB36_18
; %bb.16:                               ;   in Loop: Header=BB36_6 Depth=1
	s_load_b32 s0, s[12:13], 0xc
	v_dual_mov_b32 v92, 0 :: v_dual_mov_b32 v91, 0
	s_waitcnt lgkmcnt(0)
	s_mul_hi_u32 s75, s0, s16
	s_delay_alu instid0(SALU_CYCLE_1) | instskip(NEXT) | instid1(SALU_CYCLE_1)
	s_add_i32 s75, s0, s75
	s_lshr_b32 s75, s75, s17
	s_delay_alu instid0(SALU_CYCLE_1)
	s_cmp_ge_i32 s75, s9
	s_cbranch_scc1 .LBB36_18
; %bb.17:                               ;   in Loop: Header=BB36_6 Depth=1
	v_mad_u64_u32 v[90:91], null, s75, s24, v[80:81]
	s_mul_i32 s75, s75, s18
	s_delay_alu instid0(SALU_CYCLE_1) | instskip(NEXT) | instid1(SALU_CYCLE_1)
	s_sub_i32 s0, s0, s75
	s_mul_i32 s0, s0, s5
	s_delay_alu instid0(VALU_DEP_1) | instid1(SALU_CYCLE_1)
	v_lshl_add_u32 v90, v90, 1, s0
	s_delay_alu instid0(VALU_DEP_1) | instskip(NEXT) | instid1(VALU_DEP_1)
	v_ashrrev_i32_e32 v91, 31, v90
	v_lshlrev_b64 v[90:91], 2, v[90:91]
	s_delay_alu instid0(VALU_DEP_1) | instskip(NEXT) | instid1(VALU_DEP_2)
	v_add_co_u32 v90, vcc_lo, s22, v90
	v_add_co_ci_u32_e32 v91, vcc_lo, s23, v91, vcc_lo
	global_load_b64 v[91:92], v[90:91], off
.LBB36_18:                              ;   in Loop: Header=BB36_6 Depth=1
	v_mov_b32_e32 v90, 0
	s_and_not1_b32 vcc_lo, exec_lo, s40
	s_cbranch_vccnz .LBB36_21
; %bb.19:                               ;   in Loop: Header=BB36_6 Depth=1
	s_load_b32 s0, s[12:13], 0x10
	v_dual_mov_b32 v90, 0 :: v_dual_mov_b32 v89, 0
	s_waitcnt lgkmcnt(0)
	s_mul_hi_u32 s75, s0, s16
	s_delay_alu instid0(SALU_CYCLE_1) | instskip(NEXT) | instid1(SALU_CYCLE_1)
	s_add_i32 s75, s0, s75
	s_lshr_b32 s75, s75, s17
	s_delay_alu instid0(SALU_CYCLE_1)
	s_cmp_ge_i32 s75, s9
	s_cbranch_scc1 .LBB36_21
; %bb.20:                               ;   in Loop: Header=BB36_6 Depth=1
	v_mad_u64_u32 v[89:90], null, s75, s24, v[80:81]
	s_mul_i32 s75, s75, s18
	s_delay_alu instid0(SALU_CYCLE_1) | instskip(NEXT) | instid1(SALU_CYCLE_1)
	s_sub_i32 s0, s0, s75
	s_mul_i32 s0, s0, s5
	s_delay_alu instid0(VALU_DEP_1) | instid1(SALU_CYCLE_1)
	v_lshl_add_u32 v89, v89, 1, s0
	s_delay_alu instid0(VALU_DEP_1) | instskip(NEXT) | instid1(VALU_DEP_1)
	v_ashrrev_i32_e32 v90, 31, v89
	v_lshlrev_b64 v[89:90], 2, v[89:90]
	s_delay_alu instid0(VALU_DEP_1) | instskip(NEXT) | instid1(VALU_DEP_2)
	v_add_co_u32 v89, vcc_lo, s22, v89
	v_add_co_ci_u32_e32 v90, vcc_lo, s23, v90, vcc_lo
	global_load_b64 v[89:90], v[89:90], off
.LBB36_21:                              ;   in Loop: Header=BB36_6 Depth=1
	;; [unrolled: 61-line block ×4, first 2 shown]
	v_dual_mov_b32 v101, 0 :: v_dual_mov_b32 v104, 0
	v_mov_b32_e32 v103, 0
	s_and_not1_b32 vcc_lo, exec_lo, s47
	s_cbranch_vccnz .LBB36_36
; %bb.34:                               ;   in Loop: Header=BB36_6 Depth=1
	s_load_b32 s0, s[12:13], 0x24
	v_dual_mov_b32 v104, 0 :: v_dual_mov_b32 v103, 0
	s_waitcnt lgkmcnt(0)
	s_mul_hi_u32 s75, s0, s16
	s_delay_alu instid0(SALU_CYCLE_1) | instskip(NEXT) | instid1(SALU_CYCLE_1)
	s_add_i32 s75, s0, s75
	s_lshr_b32 s75, s75, s17
	s_delay_alu instid0(SALU_CYCLE_1)
	s_cmp_ge_i32 s75, s9
	s_cbranch_scc1 .LBB36_36
; %bb.35:                               ;   in Loop: Header=BB36_6 Depth=1
	v_mad_u64_u32 v[102:103], null, s75, s24, v[80:81]
	s_mul_i32 s75, s75, s18
	s_delay_alu instid0(SALU_CYCLE_1) | instskip(NEXT) | instid1(SALU_CYCLE_1)
	s_sub_i32 s0, s0, s75
	s_mul_i32 s0, s0, s5
	s_delay_alu instid0(VALU_DEP_1) | instid1(SALU_CYCLE_1)
	v_lshl_add_u32 v102, v102, 1, s0
	s_delay_alu instid0(VALU_DEP_1) | instskip(NEXT) | instid1(VALU_DEP_1)
	v_ashrrev_i32_e32 v103, 31, v102
	v_lshlrev_b64 v[102:103], 2, v[102:103]
	s_delay_alu instid0(VALU_DEP_1) | instskip(NEXT) | instid1(VALU_DEP_2)
	v_add_co_u32 v102, vcc_lo, s22, v102
	v_add_co_ci_u32_e32 v103, vcc_lo, s23, v103, vcc_lo
	global_load_b64 v[103:104], v[102:103], off
.LBB36_36:                              ;   in Loop: Header=BB36_6 Depth=1
	v_mov_b32_e32 v102, 0
	s_and_not1_b32 vcc_lo, exec_lo, s20
	s_cbranch_vccnz .LBB36_5
; %bb.37:                               ;   in Loop: Header=BB36_6 Depth=1
	s_load_b32 s0, s[12:13], 0x28
	v_dual_mov_b32 v102, 0 :: v_dual_mov_b32 v101, 0
	s_waitcnt lgkmcnt(0)
	s_mul_hi_u32 s75, s0, s16
	s_delay_alu instid0(SALU_CYCLE_1) | instskip(NEXT) | instid1(SALU_CYCLE_1)
	s_add_i32 s75, s0, s75
	s_lshr_b32 s75, s75, s17
	s_delay_alu instid0(SALU_CYCLE_1)
	s_cmp_ge_i32 s75, s9
	s_cbranch_scc1 .LBB36_5
; %bb.38:                               ;   in Loop: Header=BB36_6 Depth=1
	v_mad_u64_u32 v[101:102], null, s75, s24, v[80:81]
	s_mul_i32 s75, s75, s18
	s_delay_alu instid0(SALU_CYCLE_1) | instskip(NEXT) | instid1(SALU_CYCLE_1)
	s_sub_i32 s0, s0, s75
	s_mul_i32 s0, s0, s5
	s_delay_alu instid0(VALU_DEP_1) | instid1(SALU_CYCLE_1)
	v_lshl_add_u32 v101, v101, 1, s0
	s_delay_alu instid0(VALU_DEP_1) | instskip(NEXT) | instid1(VALU_DEP_1)
	v_ashrrev_i32_e32 v102, 31, v101
	v_lshlrev_b64 v[101:102], 2, v[101:102]
	s_delay_alu instid0(VALU_DEP_1) | instskip(NEXT) | instid1(VALU_DEP_2)
	v_add_co_u32 v101, vcc_lo, s22, v101
	v_add_co_ci_u32_e32 v102, vcc_lo, s23, v102, vcc_lo
	global_load_b64 v[101:102], v[101:102], off
	s_branch .LBB36_5
.LBB36_39:
	s_or_b32 exec_lo, exec_lo, s41
.LBB36_40:
	s_delay_alu instid0(SALU_CYCLE_1)
	s_or_b32 exec_lo, exec_lo, s36
	v_lshrrev_b32_e32 v16, 2, v106
	v_mad_u32_u24 v17, 0x210, v108, 0
	v_lshlrev_b32_e32 v18, 2, v107
	s_waitcnt lgkmcnt(0)
	s_barrier
	v_and_b32_e32 v16, 0xfc, v16
	buffer_gl0_inv
	s_lshl_b64 s[4:5], s[30:31], 2
	v_cmp_gt_u32_e64 s0, 11, v105
	s_add_u32 s1, s34, s4
	v_add3_u32 v16, v17, v16, v18
	s_addc_u32 s3, s35, s5
	s_cmp_gt_i32 s10, 0
	ds_store_2addr_b32 v16, v8, v9 offset1:2
	ds_store_2addr_b32 v16, v10, v11 offset0:4 offset1:6
	ds_store_2addr_b32 v16, v12, v13 offset0:8 offset1:10
	ds_store_2addr_b32 v16, v14, v15 offset0:12 offset1:14
	ds_store_2addr_b32 v16, v0, v1 offset0:16 offset1:18
	ds_store_2addr_b32 v16, v2, v3 offset0:20 offset1:22
	ds_store_2addr_b32 v16, v4, v5 offset0:24 offset1:26
	v_add_nc_u32_e32 v0, s2, v105
	s_cselect_b32 s4, -1, 0
	v_lshl_add_u32 v3, v106, 2, 0
	v_add_nc_u32_e32 v2, s7, v106
	v_mul_u32_u24_e32 v4, 0x210, v105
	v_cmp_gt_i32_e32 vcc_lo, s33, v0
	ds_store_2addr_b32 v16, v6, v7 offset0:28 offset1:30
	s_waitcnt lgkmcnt(0)
	s_barrier
	buffer_gl0_inv
	s_and_b32 s5, s4, vcc_lo
	s_delay_alu instid0(SALU_CYCLE_1) | instskip(NEXT) | instid1(SALU_CYCLE_1)
	s_and_b32 s5, s0, s5
	s_and_saveexec_b32 s0, s5
	s_cbranch_execz .LBB36_43
; %bb.41:
	v_ashrrev_i32_e32 v1, 31, v0
	s_delay_alu instid0(VALU_DEP_1) | instskip(NEXT) | instid1(VALU_DEP_1)
	v_lshlrev_b64 v[5:6], 2, v[0:1]
	v_add_co_u32 v5, vcc_lo, s1, v5
	s_delay_alu instid0(VALU_DEP_2) | instskip(SKIP_3) | instid1(VALU_DEP_1)
	v_add_co_ci_u32_e32 v6, vcc_lo, s3, v6, vcc_lo
	global_load_b32 v1, v[5:6], off
	s_waitcnt vmcnt(0)
	v_mul_hi_u32 v5, v1, s19
	v_add_nc_u32_e32 v5, v1, v5
	s_delay_alu instid0(VALU_DEP_1) | instskip(NEXT) | instid1(VALU_DEP_1)
	v_lshrrev_b32_e32 v5, s26, v5
	v_cmp_gt_i32_e32 vcc_lo, s9, v5
	s_and_b32 exec_lo, exec_lo, vcc_lo
	s_cbranch_execz .LBB36_43
; %bb.42:
	v_add_nc_u32_e32 v8, v3, v4
	v_mul_lo_u32 v10, v5, s27
	v_mul_lo_u32 v5, v5, s25
	ds_load_2addr_b32 v[6:7], v8 offset1:32
	v_sub_nc_u32_e32 v1, v1, v10
	s_delay_alu instid0(VALU_DEP_1) | instskip(NEXT) | instid1(VALU_DEP_1)
	v_mul_lo_u32 v1, v1, s6
	v_add3_u32 v5, v2, v5, v1
	s_waitcnt lgkmcnt(0)
	v_add_f32_e32 v10, 0, v6
	s_delay_alu instid0(VALU_DEP_1) | instskip(SKIP_3) | instid1(VALU_DEP_1)
	v_add_f32_e32 v7, v10, v7
	ds_load_2addr_b32 v[8:9], v8 offset0:64 offset1:96
	s_waitcnt lgkmcnt(0)
	v_dual_add_f32 v1, v7, v8 :: v_dual_mov_b32 v6, 0
	v_add_f32_e32 v1, v1, v9
	s_delay_alu instid0(VALU_DEP_2) | instskip(NEXT) | instid1(VALU_DEP_1)
	v_lshlrev_b64 v[5:6], 2, v[5:6]
	v_add_co_u32 v5, vcc_lo, s28, v5
	s_delay_alu instid0(VALU_DEP_2)
	v_add_co_ci_u32_e32 v6, vcc_lo, s29, v6, vcc_lo
	global_store_b32 v[5:6], v1, off
.LBB36_43:
	s_or_b32 exec_lo, exec_lo, s0
	v_add_nc_u32_e32 v0, 4, v0
	v_cmp_gt_u32_e64 s0, 7, v105
	s_delay_alu instid0(VALU_DEP_2)
	v_cmp_gt_i32_e32 vcc_lo, s33, v0
	s_and_b32 s5, s4, vcc_lo
	s_delay_alu instid0(VALU_DEP_2) | instid1(SALU_CYCLE_1)
	s_and_b32 s5, s0, s5
	s_delay_alu instid0(SALU_CYCLE_1)
	s_and_saveexec_b32 s0, s5
	s_cbranch_execz .LBB36_46
; %bb.44:
	s_ashr_i32 s5, s2, 31
	v_add_co_u32 v0, s7, v105, s2
	s_delay_alu instid0(VALU_DEP_1) | instskip(NEXT) | instid1(VALU_DEP_1)
	v_add_co_ci_u32_e64 v1, null, 0, s5, s7
	v_lshlrev_b64 v[0:1], 2, v[0:1]
	s_delay_alu instid0(VALU_DEP_1) | instskip(NEXT) | instid1(VALU_DEP_2)
	v_add_co_u32 v0, vcc_lo, s1, v0
	v_add_co_ci_u32_e32 v1, vcc_lo, s3, v1, vcc_lo
	global_load_b32 v0, v[0:1], off offset:16
	s_waitcnt vmcnt(0)
	v_mul_hi_u32 v1, v0, s19
	s_delay_alu instid0(VALU_DEP_1) | instskip(NEXT) | instid1(VALU_DEP_1)
	v_add_nc_u32_e32 v1, v0, v1
	v_lshrrev_b32_e32 v5, s26, v1
	v_mov_b32_e32 v1, 0
	s_delay_alu instid0(VALU_DEP_2)
	v_cmp_gt_i32_e32 vcc_lo, s9, v5
	s_and_b32 exec_lo, exec_lo, vcc_lo
	s_cbranch_execz .LBB36_46
; %bb.45:
	v_add_nc_u32_e32 v4, v4, v3
	v_mul_lo_u32 v10, v5, s27
	s_delay_alu instid0(VALU_DEP_2) | instskip(NEXT) | instid1(VALU_DEP_2)
	v_add_nc_u32_e32 v4, 0x800, v4
	v_sub_nc_u32_e32 v0, v0, v10
	ds_load_2addr_b32 v[6:7], v4 offset0:16 offset1:48
	ds_load_2addr_b32 v[8:9], v4 offset0:80 offset1:112
	v_mul_lo_u32 v4, v5, s25
	v_mul_lo_u32 v0, v0, s6
	s_delay_alu instid0(VALU_DEP_1) | instskip(NEXT) | instid1(VALU_DEP_1)
	v_add3_u32 v0, v2, v4, v0
	v_lshlrev_b64 v[0:1], 2, v[0:1]
	s_waitcnt lgkmcnt(1)
	v_add_f32_e32 v5, 0, v6
	s_delay_alu instid0(VALU_DEP_2) | instskip(NEXT) | instid1(VALU_DEP_2)
	v_add_co_u32 v0, vcc_lo, s28, v0
	v_add_f32_e32 v5, v5, v7
	s_delay_alu instid0(VALU_DEP_4) | instskip(SKIP_1) | instid1(VALU_DEP_2)
	v_add_co_ci_u32_e32 v1, vcc_lo, s29, v1, vcc_lo
	s_waitcnt lgkmcnt(0)
	v_add_f32_e32 v4, v5, v8
	s_delay_alu instid0(VALU_DEP_1)
	v_add_f32_e32 v4, v4, v9
	global_store_b32 v[0:1], v4, off
.LBB36_46:
	s_or_b32 exec_lo, exec_lo, s0
	s_delay_alu instid0(SALU_CYCLE_1)
	s_mov_b32 s0, exec_lo
	v_cmpx_gt_u32_e32 3, v105
	s_cbranch_execz .LBB36_50
; %bb.47:
	v_or_b32_e32 v0, 8, v105
	s_delay_alu instid0(VALU_DEP_1) | instskip(NEXT) | instid1(VALU_DEP_1)
	v_add_nc_u32_e32 v1, s2, v0
	v_cmp_gt_i32_e32 vcc_lo, s33, v1
	s_and_b32 s0, s4, vcc_lo
	s_delay_alu instid0(SALU_CYCLE_1)
	s_and_b32 exec_lo, exec_lo, s0
	s_cbranch_execz .LBB36_50
; %bb.48:
	s_ashr_i32 s0, s2, 31
	v_add_co_u32 v4, s2, v105, s2
	s_delay_alu instid0(VALU_DEP_1) | instskip(NEXT) | instid1(VALU_DEP_1)
	v_add_co_ci_u32_e64 v5, null, 0, s0, s2
	v_lshlrev_b64 v[4:5], 2, v[4:5]
	s_delay_alu instid0(VALU_DEP_1) | instskip(NEXT) | instid1(VALU_DEP_2)
	v_add_co_u32 v4, vcc_lo, s1, v4
	v_add_co_ci_u32_e32 v5, vcc_lo, s3, v5, vcc_lo
	global_load_b32 v4, v[4:5], off offset:32
	s_waitcnt vmcnt(0)
	v_mul_hi_u32 v1, v4, s19
	s_delay_alu instid0(VALU_DEP_1) | instskip(NEXT) | instid1(VALU_DEP_1)
	v_add_nc_u32_e32 v1, v4, v1
	v_lshrrev_b32_e32 v5, s26, v1
	v_mov_b32_e32 v1, 0
	s_delay_alu instid0(VALU_DEP_2)
	v_cmp_gt_i32_e32 vcc_lo, s9, v5
	s_and_b32 exec_lo, exec_lo, vcc_lo
	s_cbranch_execz .LBB36_50
; %bb.49:
	v_mad_u32_u24 v0, 0x210, v0, v3
	v_mul_lo_u32 v3, v5, s27
	ds_load_2addr_b32 v[6:7], v0 offset1:32
	ds_load_2addr_b32 v[8:9], v0 offset0:64 offset1:96
	v_sub_nc_u32_e32 v0, v4, v3
	v_mul_lo_u32 v3, v5, s25
	s_delay_alu instid0(VALU_DEP_2) | instskip(NEXT) | instid1(VALU_DEP_1)
	v_mul_lo_u32 v0, v0, s6
	v_add3_u32 v0, v2, v3, v0
	s_waitcnt lgkmcnt(1)
	v_add_f32_e32 v4, 0, v6
	s_delay_alu instid0(VALU_DEP_2) | instskip(NEXT) | instid1(VALU_DEP_2)
	v_lshlrev_b64 v[0:1], 2, v[0:1]
	v_add_f32_e32 v4, v4, v7
	s_delay_alu instid0(VALU_DEP_2) | instskip(SKIP_1) | instid1(VALU_DEP_2)
	v_add_co_u32 v0, vcc_lo, s28, v0
	s_waitcnt lgkmcnt(0)
	v_add_f32_e32 v2, v4, v8
	s_delay_alu instid0(VALU_DEP_4) | instskip(NEXT) | instid1(VALU_DEP_2)
	v_add_co_ci_u32_e32 v1, vcc_lo, s29, v1, vcc_lo
	v_add_f32_e32 v2, v2, v9
	global_store_b32 v[0:1], v2, off
.LBB36_50:
	s_nop 0
	s_sendmsg sendmsg(MSG_DEALLOC_VGPRS)
	s_endpgm
	.section	.rodata,"a",@progbits
	.p2align	6, 0x0
	.amdhsa_kernel _ZL13mul_mat_f_idsI7__half2Li32ELi11ELi4EEvPKT_PKfPKiS7_S7_Pfiiiiiiiiiiiiii15HIP_vector_typeIjLj3EESA_
		.amdhsa_group_segment_fixed_size 0
		.amdhsa_private_segment_fixed_size 0
		.amdhsa_kernarg_size 128
		.amdhsa_user_sgpr_count 13
		.amdhsa_user_sgpr_dispatch_ptr 0
		.amdhsa_user_sgpr_queue_ptr 0
		.amdhsa_user_sgpr_kernarg_segment_ptr 1
		.amdhsa_user_sgpr_dispatch_id 0
		.amdhsa_user_sgpr_private_segment_size 0
		.amdhsa_wavefront_size32 1
		.amdhsa_uses_dynamic_stack 0
		.amdhsa_enable_private_segment 0
		.amdhsa_system_sgpr_workgroup_id_x 1
		.amdhsa_system_sgpr_workgroup_id_y 1
		.amdhsa_system_sgpr_workgroup_id_z 1
		.amdhsa_system_sgpr_workgroup_info 0
		.amdhsa_system_vgpr_workitem_id 1
		.amdhsa_next_free_vgpr 120
		.amdhsa_next_free_sgpr 76
		.amdhsa_reserve_vcc 1
		.amdhsa_float_round_mode_32 0
		.amdhsa_float_round_mode_16_64 0
		.amdhsa_float_denorm_mode_32 3
		.amdhsa_float_denorm_mode_16_64 3
		.amdhsa_dx10_clamp 1
		.amdhsa_ieee_mode 1
		.amdhsa_fp16_overflow 0
		.amdhsa_workgroup_processor_mode 1
		.amdhsa_memory_ordered 1
		.amdhsa_forward_progress 0
		.amdhsa_shared_vgpr_count 0
		.amdhsa_exception_fp_ieee_invalid_op 0
		.amdhsa_exception_fp_denorm_src 0
		.amdhsa_exception_fp_ieee_div_zero 0
		.amdhsa_exception_fp_ieee_overflow 0
		.amdhsa_exception_fp_ieee_underflow 0
		.amdhsa_exception_fp_ieee_inexact 0
		.amdhsa_exception_int_div_zero 0
	.end_amdhsa_kernel
	.section	.text._ZL13mul_mat_f_idsI7__half2Li32ELi11ELi4EEvPKT_PKfPKiS7_S7_Pfiiiiiiiiiiiiii15HIP_vector_typeIjLj3EESA_,"axG",@progbits,_ZL13mul_mat_f_idsI7__half2Li32ELi11ELi4EEvPKT_PKfPKiS7_S7_Pfiiiiiiiiiiiiii15HIP_vector_typeIjLj3EESA_,comdat
.Lfunc_end36:
	.size	_ZL13mul_mat_f_idsI7__half2Li32ELi11ELi4EEvPKT_PKfPKiS7_S7_Pfiiiiiiiiiiiiii15HIP_vector_typeIjLj3EESA_, .Lfunc_end36-_ZL13mul_mat_f_idsI7__half2Li32ELi11ELi4EEvPKT_PKfPKiS7_S7_Pfiiiiiiiiiiiiii15HIP_vector_typeIjLj3EESA_
                                        ; -- End function
	.section	.AMDGPU.csdata,"",@progbits
; Kernel info:
; codeLenInByte = 5476
; NumSgprs: 78
; NumVgprs: 120
; ScratchSize: 0
; MemoryBound: 0
; FloatMode: 240
; IeeeMode: 1
; LDSByteSize: 0 bytes/workgroup (compile time only)
; SGPRBlocks: 9
; VGPRBlocks: 14
; NumSGPRsForWavesPerEU: 78
; NumVGPRsForWavesPerEU: 120
; Occupancy: 12
; WaveLimiterHint : 1
; COMPUTE_PGM_RSRC2:SCRATCH_EN: 0
; COMPUTE_PGM_RSRC2:USER_SGPR: 13
; COMPUTE_PGM_RSRC2:TRAP_HANDLER: 0
; COMPUTE_PGM_RSRC2:TGID_X_EN: 1
; COMPUTE_PGM_RSRC2:TGID_Y_EN: 1
; COMPUTE_PGM_RSRC2:TGID_Z_EN: 1
; COMPUTE_PGM_RSRC2:TIDIG_COMP_CNT: 1
	.section	.text._ZL9mul_mat_fI7__half2Li32ELi11ELi4ELb1EEvPKT_PKfPKiPfiiiiiiiiiiiiiiii,"axG",@progbits,_ZL9mul_mat_fI7__half2Li32ELi11ELi4ELb1EEvPKT_PKfPKiPfiiiiiiiiiiiiiiii,comdat
	.globl	_ZL9mul_mat_fI7__half2Li32ELi11ELi4ELb1EEvPKT_PKfPKiPfiiiiiiiiiiiiiiii ; -- Begin function _ZL9mul_mat_fI7__half2Li32ELi11ELi4ELb1EEvPKT_PKfPKiPfiiiiiiiiiiiiiiii
	.p2align	8
	.type	_ZL9mul_mat_fI7__half2Li32ELi11ELi4ELb1EEvPKT_PKfPKiPfiiiiiiiiiiiiiiii,@function
_ZL9mul_mat_fI7__half2Li32ELi11ELi4ELb1EEvPKT_PKfPKiPfiiiiiiiiiiiiiiii: ; @_ZL9mul_mat_fI7__half2Li32ELi11ELi4ELb1EEvPKT_PKfPKiPfiiiiiiiiiiiiiiii
; %bb.0:
	s_clause 0x1
	s_load_b256 s[16:23], s[0:1], 0x20
	s_load_b128 s[8:11], s[0:1], 0x44
	v_and_b32_e32 v80, 0x3ff, v0
	v_bfe_u32 v89, v0, 10, 10
	s_delay_alu instid0(VALU_DEP_2) | instskip(NEXT) | instid1(VALU_DEP_2)
	v_cmp_eq_u32_e32 vcc_lo, 0, v80
	v_lshl_add_u32 v88, v89, 2, 0x100
	s_waitcnt lgkmcnt(0)
	s_add_i32 s2, s17, 10
	s_delay_alu instid0(SALU_CYCLE_1) | instskip(NEXT) | instid1(SALU_CYCLE_1)
	s_mul_hi_i32 s2, s2, 0x2e8ba2e9
	s_lshr_b32 s3, s2, 31
	s_ashr_i32 s2, s2, 1
	s_delay_alu instid0(SALU_CYCLE_1)
	s_add_i32 s2, s2, s3
	s_load_b32 s3, s[0:1], 0x64
	v_cvt_f32_u32_e32 v1, s2
	s_add_u32 s28, s0, 0x60
	s_addc_u32 s29, s1, 0
	s_sub_i32 s5, 0, s2
	s_delay_alu instid0(VALU_DEP_1) | instskip(SKIP_2) | instid1(VALU_DEP_1)
	v_rcp_iflag_f32_e32 v1, v1
	s_waitcnt_depctr 0xfff
	v_mul_f32_e32 v1, 0x4f7ffffe, v1
	v_cvt_u32_f32_e32 v1, v1
	s_delay_alu instid0(VALU_DEP_1) | instskip(NEXT) | instid1(VALU_DEP_1)
	v_readfirstlane_b32 s4, v1
	s_mul_i32 s5, s5, s4
	s_delay_alu instid0(SALU_CYCLE_1) | instskip(NEXT) | instid1(SALU_CYCLE_1)
	s_mul_hi_u32 s5, s4, s5
	s_add_i32 s4, s4, s5
	s_waitcnt lgkmcnt(0)
	s_mul_hi_u32 s4, s3, s4
	s_delay_alu instid0(SALU_CYCLE_1) | instskip(NEXT) | instid1(SALU_CYCLE_1)
	s_mul_i32 s5, s4, s2
	s_sub_i32 s3, s3, s5
	s_add_i32 s5, s4, 1
	s_sub_i32 s6, s3, s2
	s_cmp_ge_u32 s3, s2
	s_cselect_b32 s4, s5, s4
	s_cselect_b32 s3, s6, s3
	s_add_i32 s5, s4, 1
	s_cmp_ge_u32 s3, s2
	s_load_b64 s[6:7], s[0:1], 0x10
	s_cselect_b32 s2, s5, s4
	s_abs_i32 s12, s11
	v_cvt_f32_u32_e32 v1, s2
	v_cvt_f32_u32_e32 v2, s12
	s_sub_i32 s4, 0, s2
	s_delay_alu instid0(VALU_DEP_2) | instskip(NEXT) | instid1(VALU_DEP_1)
	v_rcp_iflag_f32_e32 v1, v1
	v_rcp_iflag_f32_e32 v2, v2
	s_waitcnt_depctr 0xfff
	v_dual_mul_f32 v1, 0x4f7ffffe, v1 :: v_dual_mul_f32 v2, 0x4f7ffffe, v2
	s_delay_alu instid0(VALU_DEP_1) | instskip(NEXT) | instid1(VALU_DEP_1)
	v_cvt_u32_f32_e32 v1, v1
	v_readfirstlane_b32 s3, v1
	s_delay_alu instid0(VALU_DEP_3) | instskip(NEXT) | instid1(VALU_DEP_2)
	v_cvt_u32_f32_e32 v1, v2
	s_mul_i32 s4, s4, s3
	s_delay_alu instid0(VALU_DEP_1) | instskip(SKIP_1) | instid1(SALU_CYCLE_1)
	v_readfirstlane_b32 s30, v1
	s_mul_hi_u32 s4, s3, s4
	s_add_i32 s3, s3, s4
	s_delay_alu instid0(SALU_CYCLE_1)
	s_mul_hi_u32 s3, s14, s3
	s_and_saveexec_b32 s4, vcc_lo
	s_cbranch_execz .LBB37_2
; %bb.1:
	v_mov_b32_e32 v1, -1
	ds_store_b32 v88, v1
.LBB37_2:
	s_or_b32 exec_lo, exec_lo, s4
	s_mul_i32 s4, s3, s2
	s_add_i32 s5, s3, 1
	s_sub_i32 s4, s14, s4
	v_mov_b32_e32 v3, 0
	s_sub_i32 s24, s4, s2
	s_cmp_ge_u32 s4, s2
	s_cselect_b32 s3, s5, s3
	s_cselect_b32 s4, s24, s4
	s_add_i32 s5, s3, 1
	s_cmp_ge_u32 s4, s2
	s_cselect_b32 s3, s5, s3
	v_cmp_gt_i32_e64 s5, s18, v80
	s_mul_i32 s33, s3, 11
	s_mul_i32 s3, s3, s2
	v_add_nc_u32_e32 v1, s33, v89
	s_mul_hi_i32 s25, s33, s23
	s_mul_i32 s24, s33, s23
	s_sub_i32 s14, s14, s3
	s_lshl_b64 s[24:25], s[24:25], 2
	v_cmp_gt_i32_e64 s2, s17, v1
	s_waitcnt lgkmcnt(0)
	s_add_u32 s31, s6, s24
	s_addc_u32 s7, s7, s25
	s_delay_alu instid0(VALU_DEP_1)
	s_and_saveexec_b32 s6, s2
	s_cbranch_execz .LBB37_10
; %bb.3:
	v_mov_b32_e32 v3, 0
	s_and_saveexec_b32 s24, s5
	s_cbranch_execz .LBB37_9
; %bb.4:
	v_mul_lo_u32 v1, v89, s23
	v_dual_mov_b32 v3, 0 :: v_dual_mov_b32 v6, v80
	s_lshl_b32 s26, s22, 5
	s_mov_b32 s25, 0
	s_delay_alu instid0(VALU_DEP_2) | instskip(NEXT) | instid1(VALU_DEP_1)
	v_ashrrev_i32_e32 v2, 31, v1
	v_lshlrev_b64 v[4:5], 2, v[1:2]
	v_mul_lo_u32 v1, v80, s22
	s_delay_alu instid0(VALU_DEP_2) | instskip(NEXT) | instid1(VALU_DEP_1)
	v_add_co_u32 v4, s3, s31, v4
	v_add_co_ci_u32_e64 v5, s3, s7, v5, s3
	s_set_inst_prefetch_distance 0x1
	s_branch .LBB37_6
	.p2align	6
.LBB37_5:                               ;   in Loop: Header=BB37_6 Depth=1
	s_or_b32 exec_lo, exec_lo, s27
	v_add_nc_u32_e32 v6, 32, v6
	s_xor_b32 s3, s3, -1
	v_add_nc_u32_e32 v1, s26, v1
	s_delay_alu instid0(VALU_DEP_2) | instskip(NEXT) | instid1(VALU_DEP_1)
	v_cmp_le_i32_e64 s4, s18, v6
	s_or_b32 s3, s3, s4
	s_delay_alu instid0(SALU_CYCLE_1) | instskip(NEXT) | instid1(SALU_CYCLE_1)
	s_and_b32 s3, exec_lo, s3
	s_or_b32 s25, s3, s25
	s_delay_alu instid0(SALU_CYCLE_1)
	s_and_not1_b32 exec_lo, exec_lo, s25
	s_cbranch_execz .LBB37_8
.LBB37_6:                               ; =>This Inner Loop Header: Depth=1
	s_delay_alu instid0(VALU_DEP_3) | instskip(SKIP_1) | instid1(VALU_DEP_1)
	v_ashrrev_i32_e32 v2, 31, v1
	s_mov_b32 s27, exec_lo
	v_lshlrev_b64 v[7:8], 2, v[1:2]
	s_delay_alu instid0(VALU_DEP_1) | instskip(NEXT) | instid1(VALU_DEP_1)
	v_add_co_u32 v7, s3, v4, v7
	v_add_co_ci_u32_e64 v8, s3, v5, v8, s3
	global_load_b32 v2, v[7:8], off
	s_waitcnt vmcnt(0)
	v_cmp_ne_u32_e64 s3, s14, v2
	v_cmpx_eq_u32_e64 s14, v2
	s_cbranch_execz .LBB37_5
; %bb.7:                                ;   in Loop: Header=BB37_6 Depth=1
	v_mov_b32_e32 v3, 1
	ds_store_b32 v88, v6
	s_branch .LBB37_5
.LBB37_8:
	s_set_inst_prefetch_distance 0x2
	s_or_b32 exec_lo, exec_lo, s25
.LBB37_9:
	s_delay_alu instid0(SALU_CYCLE_1)
	s_or_b32 exec_lo, exec_lo, s24
.LBB37_10:
	s_delay_alu instid0(SALU_CYCLE_1)
	s_or_b32 exec_lo, exec_lo, s6
	s_sub_i32 s24, 0, s12
	s_and_saveexec_b32 s3, vcc_lo
	s_cbranch_execz .LBB37_12
; %bb.11:
	v_mov_b32_e32 v1, -1
	ds_store_b32 v88, v1 offset:16
.LBB37_12:
	s_or_b32 exec_lo, exec_lo, s3
	v_add_nc_u32_e32 v90, 4, v89
	s_mul_i32 s24, s24, s30
	s_delay_alu instid0(VALU_DEP_1) | instskip(NEXT) | instid1(VALU_DEP_1)
	v_add_nc_u32_e32 v1, s33, v90
	v_cmp_gt_i32_e64 s3, s17, v1
	s_delay_alu instid0(VALU_DEP_1)
	s_and_saveexec_b32 s25, s3
	s_cbranch_execz .LBB37_20
; %bb.13:
	s_and_saveexec_b32 s26, s5
	s_cbranch_execz .LBB37_19
; %bb.14:
	v_mul_lo_u32 v1, v90, s23
	v_mov_b32_e32 v6, v80
	s_lshl_b32 s34, s22, 5
	s_mov_b32 s27, 0
	s_delay_alu instid0(VALU_DEP_2) | instskip(NEXT) | instid1(VALU_DEP_1)
	v_ashrrev_i32_e32 v2, 31, v1
	v_lshlrev_b64 v[4:5], 2, v[1:2]
	v_mul_lo_u32 v1, v80, s22
	s_delay_alu instid0(VALU_DEP_2) | instskip(NEXT) | instid1(VALU_DEP_1)
	v_add_co_u32 v4, s4, s31, v4
	v_add_co_ci_u32_e64 v5, s4, s7, v5, s4
	s_set_inst_prefetch_distance 0x1
	s_branch .LBB37_16
	.p2align	6
.LBB37_15:                              ;   in Loop: Header=BB37_16 Depth=1
	s_or_b32 exec_lo, exec_lo, s35
	v_add_nc_u32_e32 v6, 32, v6
	s_xor_b32 s4, s4, -1
	v_add_nc_u32_e32 v1, s34, v1
	s_delay_alu instid0(VALU_DEP_2) | instskip(NEXT) | instid1(VALU_DEP_1)
	v_cmp_le_i32_e64 s6, s18, v6
	s_or_b32 s4, s4, s6
	s_delay_alu instid0(SALU_CYCLE_1) | instskip(NEXT) | instid1(SALU_CYCLE_1)
	s_and_b32 s4, exec_lo, s4
	s_or_b32 s27, s4, s27
	s_delay_alu instid0(SALU_CYCLE_1)
	s_and_not1_b32 exec_lo, exec_lo, s27
	s_cbranch_execz .LBB37_18
.LBB37_16:                              ; =>This Inner Loop Header: Depth=1
	s_delay_alu instid0(VALU_DEP_3) | instskip(SKIP_1) | instid1(VALU_DEP_1)
	v_ashrrev_i32_e32 v2, 31, v1
	s_mov_b32 s35, exec_lo
	v_lshlrev_b64 v[7:8], 2, v[1:2]
	s_delay_alu instid0(VALU_DEP_1) | instskip(NEXT) | instid1(VALU_DEP_1)
	v_add_co_u32 v7, s4, v4, v7
	v_add_co_ci_u32_e64 v8, s4, v5, v8, s4
	global_load_b32 v2, v[7:8], off
	s_waitcnt vmcnt(0)
	v_cmp_ne_u32_e64 s4, s14, v2
	v_cmpx_eq_u32_e64 s14, v2
	s_cbranch_execz .LBB37_15
; %bb.17:                               ;   in Loop: Header=BB37_16 Depth=1
	v_mov_b32_e32 v3, 1
	ds_store_b32 v88, v6 offset:16
	s_branch .LBB37_15
.LBB37_18:
	s_set_inst_prefetch_distance 0x2
	s_or_b32 exec_lo, exec_lo, s27
.LBB37_19:
	s_delay_alu instid0(SALU_CYCLE_1)
	s_or_b32 exec_lo, exec_lo, s26
.LBB37_20:
	s_delay_alu instid0(SALU_CYCLE_1)
	s_or_b32 exec_lo, exec_lo, s25
	s_mul_hi_u32 s6, s30, s24
	s_and_saveexec_b32 s4, vcc_lo
	s_cbranch_execz .LBB37_22
; %bb.21:
	v_mov_b32_e32 v1, -1
	ds_store_b32 v88, v1 offset:32
.LBB37_22:
	s_or_b32 exec_lo, exec_lo, s4
	s_load_b128 s[24:27], s[0:1], 0x54
	v_add_nc_u32_e32 v91, 8, v89
	s_waitcnt lgkmcnt(0)
	s_abs_i32 s27, s15
	s_add_i32 s34, s30, s6
	s_delay_alu instid0(VALU_DEP_1) | instskip(NEXT) | instid1(VALU_DEP_1)
	v_add_nc_u32_e32 v1, s33, v91
	v_cmp_gt_i32_e64 s4, s17, v1
	s_delay_alu instid0(VALU_DEP_1)
	s_and_saveexec_b32 s6, s4
	s_cbranch_execz .LBB37_30
; %bb.23:
	s_and_saveexec_b32 s30, s5
	s_cbranch_execz .LBB37_29
; %bb.24:
	v_mul_lo_u32 v1, v91, s23
	v_mov_b32_e32 v6, v80
	s_delay_alu instid0(VALU_DEP_2) | instskip(NEXT) | instid1(VALU_DEP_1)
	v_ashrrev_i32_e32 v2, 31, v1
	v_lshlrev_b64 v[4:5], 2, v[1:2]
	v_mul_lo_u32 v1, v80, s22
	s_lshl_b32 s22, s22, 5
	s_delay_alu instid0(VALU_DEP_2) | instskip(NEXT) | instid1(VALU_DEP_3)
	v_add_co_u32 v4, vcc_lo, s31, v4
	v_add_co_ci_u32_e32 v5, vcc_lo, s7, v5, vcc_lo
	s_mov_b32 s7, 0
	s_set_inst_prefetch_distance 0x1
	s_branch .LBB37_26
	.p2align	6
.LBB37_25:                              ;   in Loop: Header=BB37_26 Depth=1
	s_or_b32 exec_lo, exec_lo, s23
	v_add_nc_u32_e32 v6, 32, v6
	s_xor_b32 s23, vcc_lo, -1
	v_add_nc_u32_e32 v1, s22, v1
	s_delay_alu instid0(VALU_DEP_2) | instskip(NEXT) | instid1(VALU_DEP_1)
	v_cmp_le_i32_e64 s5, s18, v6
	s_or_b32 s5, s23, s5
	s_delay_alu instid0(SALU_CYCLE_1) | instskip(NEXT) | instid1(SALU_CYCLE_1)
	s_and_b32 s5, exec_lo, s5
	s_or_b32 s7, s5, s7
	s_delay_alu instid0(SALU_CYCLE_1)
	s_and_not1_b32 exec_lo, exec_lo, s7
	s_cbranch_execz .LBB37_28
.LBB37_26:                              ; =>This Inner Loop Header: Depth=1
	s_delay_alu instid0(VALU_DEP_3) | instskip(SKIP_1) | instid1(VALU_DEP_1)
	v_ashrrev_i32_e32 v2, 31, v1
	s_mov_b32 s23, exec_lo
	v_lshlrev_b64 v[7:8], 2, v[1:2]
	s_delay_alu instid0(VALU_DEP_1) | instskip(NEXT) | instid1(VALU_DEP_2)
	v_add_co_u32 v7, vcc_lo, v4, v7
	v_add_co_ci_u32_e32 v8, vcc_lo, v5, v8, vcc_lo
	global_load_b32 v2, v[7:8], off
	s_waitcnt vmcnt(0)
	v_cmp_ne_u32_e32 vcc_lo, s14, v2
	v_cmpx_eq_u32_e64 s14, v2
	s_cbranch_execz .LBB37_25
; %bb.27:                               ;   in Loop: Header=BB37_26 Depth=1
	v_mov_b32_e32 v3, 1
	ds_store_b32 v88, v6 offset:32
	s_branch .LBB37_25
.LBB37_28:
	s_set_inst_prefetch_distance 0x2
	s_or_b32 exec_lo, exec_lo, s7
.LBB37_29:
	s_delay_alu instid0(SALU_CYCLE_1)
	s_or_b32 exec_lo, exec_lo, s30
.LBB37_30:
	s_delay_alu instid0(SALU_CYCLE_1)
	s_or_b32 exec_lo, exec_lo, s6
	v_cmp_ne_u32_e32 vcc_lo, 0, v3
	s_load_b64 s[22:23], s[28:29], 0xc
	s_clause 0x1
	s_load_b128 s[28:31], s[0:1], 0x0
	s_load_b64 s[6:7], s[0:1], 0x18
	v_cndmask_b32_e64 v1, 0, 1, vcc_lo
	s_delay_alu instid0(VALU_DEP_1) | instskip(NEXT) | instid1(VALU_DEP_1)
	v_or_b32_dpp v1, v1, v1 row_shl:1 row_mask:0xf bank_mask:0xf bound_ctrl:1
	v_or_b32_dpp v1, v1, v1 row_shl:2 row_mask:0xf bank_mask:0xf bound_ctrl:1
	s_delay_alu instid0(VALU_DEP_1)
	v_or_b32_dpp v1, v1, v1 row_shl:4 row_mask:0xf bank_mask:0xf bound_ctrl:1
	s_waitcnt lgkmcnt(0)
	s_lshr_b32 s1, s22, 16
	s_and_b32 s0, s22, 0xffff
	s_and_b32 s18, s23, 0xffff
	s_mul_i32 s5, s1, s0
	v_or_b32_dpp v1, v1, v1 row_shl:8 row_mask:0xf bank_mask:0xf bound_ctrl:1
	s_bfe_i32 s5, s5, 0x180000
	s_delay_alu instid0(SALU_CYCLE_1) | instskip(SKIP_1) | instid1(VALU_DEP_1)
	s_mul_i32 s5, s5, s18
	s_mul_hi_u32 s18, s27, s34
	v_mov_b32_dpp v1, v1 row_share:0 row_mask:0xf bank_mask:0xf bound_ctrl:1
	s_add_i32 s5, s5, 31
	s_delay_alu instid0(SALU_CYCLE_1) | instskip(NEXT) | instid1(SALU_CYCLE_1)
	s_and_not1_b32 s5, s5, 31
	s_cmp_lg_u32 s5, 32
	s_delay_alu instid0(VALU_DEP_1) | instskip(NEXT) | instid1(VALU_DEP_1)
	v_permlanex16_b32 v2, v1, 0, 0 op_sel:[0,1]
	v_or_b32_e32 v2, v2, v1
	s_cbranch_scc0 .LBB37_39
; %bb.31:
	v_bfe_u32 v0, v0, 20, 10
	s_delay_alu instid0(VALU_DEP_1) | instskip(NEXT) | instid1(VALU_DEP_1)
	v_mad_u32_u24 v3, v0, s1, v89
	v_mad_u64_u32 v[0:1], null, v3, s0, v[80:81]
	v_mbcnt_lo_u32_b32 v1, -1, 0
	s_mov_b32 s0, exec_lo
	s_delay_alu instid0(VALU_DEP_2) | instskip(NEXT) | instid1(VALU_DEP_1)
	v_lshrrev_b32_e32 v3, 5, v0
	v_or_b32_e32 v3, v1, v3
	s_delay_alu instid0(VALU_DEP_1)
	v_cmpx_eq_u32_e32 0, v3
	s_cbranch_execz .LBB37_33
; %bb.32:
	v_mov_b32_e32 v3, 0
	ds_store_b32 v3, v2
.LBB37_33:
	s_or_b32 exec_lo, exec_lo, s0
	v_cmp_eq_u32_e32 vcc_lo, 0, v1
	v_cmp_lt_u32_e64 s0, 31, v0
	s_mov_b32 s1, 0
	s_waitcnt lgkmcnt(0)
	s_barrier
	buffer_gl0_inv
	s_and_b32 s5, s0, vcc_lo
	s_delay_alu instid0(SALU_CYCLE_1)
	s_and_saveexec_b32 s0, s5
	s_cbranch_execz .LBB37_38
; %bb.34:
	s_mov_b32 s5, exec_lo
.LBB37_35:                              ; =>This Inner Loop Header: Depth=1
	s_delay_alu instid0(SALU_CYCLE_1) | instskip(NEXT) | instid1(SALU_CYCLE_1)
	s_ctz_i32_b32 s22, s5
	v_readlane_b32 s23, v2, s22
	s_lshl_b32 s22, 1, s22
	s_delay_alu instid0(SALU_CYCLE_1) | instskip(NEXT) | instid1(VALU_DEP_1)
	s_and_not1_b32 s5, s5, s22
	s_or_b32 s1, s1, s23
	s_cmp_lg_u32 s5, 0
	s_cbranch_scc1 .LBB37_35
; %bb.36:
	v_mbcnt_lo_u32_b32 v0, exec_lo, 0
	s_mov_b32 s5, exec_lo
	s_delay_alu instid0(VALU_DEP_1)
	v_cmpx_eq_u32_e32 0, v0
	s_xor_b32 s5, exec_lo, s5
	s_cbranch_execz .LBB37_38
; %bb.37:
	v_dual_mov_b32 v0, 0 :: v_dual_mov_b32 v1, s1
	ds_or_b32 v0, v1
.LBB37_38:
	s_or_b32 exec_lo, exec_lo, s0
	v_mov_b32_e32 v0, 0
	s_waitcnt lgkmcnt(0)
	s_barrier
	buffer_gl0_inv
	ds_load_b32 v2, v0
	s_waitcnt lgkmcnt(0)
	s_barrier
	buffer_gl0_inv
.LBB37_39:
	s_ashr_i32 s0, s15, 31
	s_ashr_i32 s11, s11, 31
	s_mov_b32 s1, exec_lo
	v_cmpx_ne_u32_e32 0, v2
	s_cbranch_execz .LBB37_90
; %bb.40:
	v_lshlrev_b32_e32 v92, 5, v89
	v_and_b32_e32 v93, 15, v80
	s_mov_b32 s5, exec_lo
                                        ; implicit-def: $sgpr1
	s_delay_alu instid0(VALU_DEP_2) | instskip(NEXT) | instid1(VALU_DEP_1)
	v_add_nc_u32_e32 v94, v92, v80
	v_cmpx_le_i32_e64 s16, v94
	s_xor_b32 s5, exec_lo, s5
; %bb.41:
	v_and_b32_e32 v93, 15, v80
	s_mov_b32 s1, 0
                                        ; implicit-def: $vgpr94
; %bb.42:
	s_or_saveexec_b32 s5, s5
	v_dual_mov_b32 v15, s1 :: v_dual_mov_b32 v14, s1
	v_dual_mov_b32 v13, s1 :: v_dual_mov_b32 v12, s1
	;; [unrolled: 1-line block ×8, first 2 shown]
	s_lshl_b32 s1, s13, 5
	s_xor_b32 exec_lo, exec_lo, s5
	s_cbranch_execz .LBB37_79
; %bb.43:
	s_mul_i32 s13, s18, s12
	s_xor_b32 s0, s0, s11
	s_sub_i32 s11, s27, s13
	s_add_i32 s13, s18, 1
	s_sub_i32 s22, s11, s12
	s_cmp_ge_u32 s11, s12
	s_mul_hi_i32 s37, s25, s15
	s_cselect_b32 s13, s13, s18
	s_cselect_b32 s11, s22, s11
	s_add_i32 s18, s13, 1
	s_cmp_ge_u32 s11, s12
	s_mul_i32 s12, s14, s8
	s_cselect_b32 s11, s18, s13
	s_ashr_i32 s13, s12, 31
	s_xor_b32 s11, s11, s0
	s_mul_i32 s22, s1, s19
	s_sub_i32 s0, s11, s0
	s_mul_i32 s36, s25, s15
	s_mul_hi_i32 s35, s0, s24
	s_mul_i32 s34, s0, s24
	v_mul_u32_u24_e32 v0, 0x90, v93
	s_lshl_b64 s[42:43], s[34:35], 2
	s_mul_i32 s38, s20, 10
	s_add_u32 s0, s28, s42
	s_addc_u32 s8, s29, s43
	s_lshl_b64 s[44:45], s[12:13], 2
	s_mul_hi_i32 s13, s20, s33
	s_add_u32 s0, s0, s44
	s_addc_u32 s11, s8, s45
	s_ashr_i32 s23, s22, 31
	s_mul_i32 s12, s20, s33
	s_lshl_b64 s[46:47], s[22:23], 2
	s_mul_i32 s48, s19, 6
	s_add_u32 s8, s0, s46
	s_addc_u32 s11, s11, s47
	s_lshl_b64 s[22:23], s[36:37], 2
	s_lshl_b64 s[12:13], s[12:13], 3
	s_add_u32 s0, s30, s22
	s_addc_u32 s18, s31, s23
	s_add_u32 s14, s0, s12
	s_addc_u32 s18, s18, s13
	s_cmp_lt_i32 s33, s17
	s_movk_i32 s12, 0x900
	s_cselect_b32 s22, -1, 0
	s_add_i32 s0, s33, 1
	v_mad_u32_u24 v1, v89, s12, 0x100
	s_cmp_lt_i32 s0, s17
	v_mov_b32_e32 v96, 0
	s_cselect_b32 s23, -1, 0
	s_add_i32 s0, s33, 2
	v_add_nc_u32_e32 v97, v1, v0
	s_cmp_lt_i32 s0, s17
	v_lshlrev_b32_e32 v2, 1, v80
	s_cselect_b32 s24, -1, 0
	s_add_i32 s0, s33, 3
	s_lshl_b32 s25, s20, 2
	s_cmp_lt_i32 s0, s17
	s_mov_b32 s12, s19
	s_cselect_b32 s27, -1, 0
	s_add_i32 s0, s33, 4
	v_lshl_add_u32 v95, v80, 2, v1
	v_mov_b32_e32 v1, v96
	s_cmp_lt_i32 s0, s17
	v_lshl_add_u32 v81, v89, 6, v2
	s_cselect_b32 s30, -1, 0
	s_add_i32 s0, s33, 5
	s_lshl_b32 s31, s20, 3
	s_cmp_lt_i32 s0, s17
	v_dual_mov_b32 v3, v96 :: v_dual_lshlrev_b32 v2, 2, v94
	s_cselect_b32 s34, -1, 0
	s_add_i32 s0, s33, 6
	v_dual_mov_b32 v98, 0x100 :: v_dual_mov_b32 v5, v96
	s_cmp_lt_i32 s0, s17
	v_dual_mov_b32 v0, 0 :: v_dual_mov_b32 v7, v96
	s_cselect_b32 s35, -1, 0
	s_add_i32 s0, s33, 7
	v_mov_b32_e32 v4, v96
	s_cmp_lt_i32 s0, s17
	v_mov_b32_e32 v6, v96
	s_cselect_b32 s36, -1, 0
	s_add_i32 s0, s33, 8
	v_dual_mov_b32 v8, 0 :: v_dual_mov_b32 v9, v96
	s_cmp_lt_i32 s0, s17
	v_mov_b32_e32 v10, v96
	s_cselect_b32 s39, -1, 0
	s_add_i32 s0, s33, 9
	s_lshl_b32 s40, s20, 4
	s_cmp_lt_i32 s0, s17
	v_mov_b32_e32 v11, v96
	s_cselect_b32 s41, -1, 0
	s_add_i32 s0, s33, 10
	v_mov_b32_e32 v12, v96
	s_cmp_lt_i32 s0, s17
	v_mov_b32_e32 v13, v96
	s_cselect_b32 s17, -1, 0
	s_ashr_i32 s13, s19, 31
	v_mov_b32_e32 v14, v96
	s_lshl_b64 s[12:13], s[12:13], 2
	s_add_u32 s0, s42, s46
	s_addc_u32 s42, s43, s47
	s_add_u32 s0, s0, s44
	s_addc_u32 s42, s42, s45
	s_add_u32 s0, s28, s0
	s_addc_u32 s28, s29, s42
	v_add_co_u32 v82, s0, s0, v2
	s_delay_alu instid0(VALU_DEP_1)
	v_add_co_ci_u32_e64 v83, null, s28, 0, s0
	v_mov_b32_e32 v2, v96
	v_mov_b32_e32 v15, v96
	s_mul_i32 s37, s20, 6
	s_mul_i32 s28, s20, 20
	;; [unrolled: 1-line block ×5, first 2 shown]
	s_lshl_b32 s20, s20, 1
	s_lshl_b32 s44, s19, 1
	s_mul_i32 s45, s19, 3
	s_lshl_b32 s46, s19, 2
	s_mul_i32 s47, s19, 5
	s_mul_i32 s49, s19, 7
	s_lshl_b32 s50, s19, 3
	s_mul_i32 s51, s19, 9
	s_mul_i32 s52, s19, 10
	;; [unrolled: 1-line block ×7, first 2 shown]
	s_lshl_b32 s58, s19, 4
	s_mul_i32 s59, s19, 17
	s_mul_i32 s60, s19, 18
	;; [unrolled: 1-line block ×15, first 2 shown]
	s_mov_b32 s19, 0
	s_branch .LBB37_45
.LBB37_44:                              ;   in Loop: Header=BB37_45 Depth=1
	s_waitcnt vmcnt(0)
	v_cvt_f16_f32_e32 v84, v84
	v_cvt_f16_f32_e32 v85, v85
	v_add_nc_u32_e32 v86, 0x400, v95
	v_add_nc_u32_e32 v87, 0x800, v95
	;; [unrolled: 1-line block ×3, first 2 shown]
	v_add_co_u32 v82, s0, 0x200, v82
	v_pack_b32_f16 v84, v84, v85
	ds_store_2addr_b32 v86, v96, v96 offset0:192 offset1:228
	ds_store_2addr_b32 v87, v96, v96 offset0:8 offset1:44
	;; [unrolled: 1-line block ×3, first 2 shown]
	ds_load_b128 v[99:102], v97 offset:64
	ds_load_b128 v[103:106], v97 offset:80
	;; [unrolled: 1-line block ×6, first 2 shown]
	v_cmp_le_i32_e32 vcc_lo, s16, v94
	v_add_nc_u32_e32 v81, 0x100, v81
	v_add_co_ci_u32_e64 v83, s0, 0, v83, s0
	s_or_b32 s19, vcc_lo, s19
	s_waitcnt lgkmcnt(4)
	v_wmma_f32_16x16x16_f16 v[8:15], v[56:63], v[99:106], v[8:15]
	ds_load_b128 v[56:59], v97 offset:160
	ds_load_b128 v[60:63], v97 offset:176
	v_wmma_f32_16x16x16_f16 v[0:7], v[72:79], v[99:106], v[0:7]
	s_waitcnt lgkmcnt(4)
	v_wmma_f32_16x16x16_f16 v[8:15], v[40:47], v[107:114], v[8:15]
	s_delay_alu instid0(VALU_DEP_2) | instskip(SKIP_1) | instid1(VALU_DEP_2)
	v_wmma_f32_16x16x16_f16 v[0:7], v[64:71], v[107:114], v[0:7]
	s_waitcnt lgkmcnt(2)
	v_wmma_f32_16x16x16_f16 v[8:15], v[24:31], v[115:122], v[8:15]
	s_delay_alu instid0(VALU_DEP_2) | instskip(SKIP_1) | instid1(VALU_DEP_2)
	v_wmma_f32_16x16x16_f16 v[0:7], v[48:55], v[115:122], v[0:7]
	s_waitcnt lgkmcnt(0)
	v_wmma_f32_16x16x16_f16 v[8:15], v[16:23], v[56:63], v[8:15]
	s_delay_alu instid0(VALU_DEP_2)
	v_wmma_f32_16x16x16_f16 v[0:7], v[32:39], v[56:63], v[0:7]
	s_and_not1_b32 exec_lo, exec_lo, s19
	s_cbranch_execz .LBB37_78
.LBB37_45:                              ; =>This Inner Loop Header: Depth=1
	v_dual_mov_b32 v85, 0 :: v_dual_add_nc_u32 v16, s44, v94
	v_add_nc_u32_e32 v22, s46, v94
	v_add_nc_u32_e32 v18, s45, v94
	v_add_co_u32 v20, vcc_lo, v82, s12
	s_delay_alu instid0(VALU_DEP_4)
	v_ashrrev_i32_e32 v17, 31, v16
	v_add_co_ci_u32_e32 v21, vcc_lo, s13, v83, vcc_lo
	v_ashrrev_i32_e32 v23, 31, v22
	v_ashrrev_i32_e32 v19, 31, v18
	v_add_nc_u32_e32 v24, s47, v94
	v_lshlrev_b64 v[16:17], 2, v[16:17]
	s_clause 0x1
	global_load_b32 v38, v[82:83], off
	global_load_b32 v39, v[20:21], off
	v_lshlrev_b64 v[20:21], 2, v[22:23]
	v_add_nc_u32_e32 v22, s48, v94
	v_lshlrev_b64 v[18:19], 2, v[18:19]
	v_ashrrev_i32_e32 v25, 31, v24
	v_add_nc_u32_e32 v26, s49, v94
	v_add_co_u32 v16, vcc_lo, s8, v16
	v_ashrrev_i32_e32 v23, 31, v22
	v_add_co_ci_u32_e32 v17, vcc_lo, s11, v17, vcc_lo
	v_add_nc_u32_e32 v28, s50, v94
	v_add_co_u32 v18, vcc_lo, s8, v18
	v_lshlrev_b64 v[24:25], 2, v[24:25]
	v_ashrrev_i32_e32 v27, 31, v26
	v_add_co_ci_u32_e32 v19, vcc_lo, s11, v19, vcc_lo
	v_add_nc_u32_e32 v30, s51, v94
	v_add_co_u32 v20, vcc_lo, s8, v20
	v_lshlrev_b64 v[22:23], 2, v[22:23]
	v_ashrrev_i32_e32 v29, 31, v28
	v_add_co_ci_u32_e32 v21, vcc_lo, s11, v21, vcc_lo
	v_add_co_u32 v24, vcc_lo, s8, v24
	v_lshlrev_b64 v[26:27], 2, v[26:27]
	v_ashrrev_i32_e32 v31, 31, v30
	v_add_co_ci_u32_e32 v25, vcc_lo, s11, v25, vcc_lo
	v_add_co_u32 v22, vcc_lo, s8, v22
	v_lshlrev_b64 v[28:29], 2, v[28:29]
	v_add_co_ci_u32_e32 v23, vcc_lo, s11, v23, vcc_lo
	v_add_nc_u32_e32 v32, s52, v94
	v_add_co_u32 v26, vcc_lo, s8, v26
	v_lshlrev_b64 v[30:31], 2, v[30:31]
	v_add_co_ci_u32_e32 v27, vcc_lo, s11, v27, vcc_lo
	v_add_nc_u32_e32 v34, s53, v94
	v_add_co_u32 v28, vcc_lo, s8, v28
	v_ashrrev_i32_e32 v33, 31, v32
	v_add_co_ci_u32_e32 v29, vcc_lo, s11, v29, vcc_lo
	v_add_nc_u32_e32 v36, s54, v94
	v_add_co_u32 v30, vcc_lo, s8, v30
	v_ashrrev_i32_e32 v35, 31, v34
	v_add_co_ci_u32_e32 v31, vcc_lo, s11, v31, vcc_lo
	s_clause 0x7
	global_load_b32 v40, v[16:17], off
	global_load_b32 v41, v[18:19], off
	global_load_b32 v42, v[20:21], off
	global_load_b32 v43, v[24:25], off
	global_load_b32 v44, v[22:23], off
	global_load_b32 v45, v[26:27], off
	global_load_b32 v46, v[28:29], off
	global_load_b32 v47, v[30:31], off
	v_add_nc_u32_e32 v18, s55, v94
	v_lshlrev_b64 v[32:33], 2, v[32:33]
	v_ashrrev_i32_e32 v37, 31, v36
	v_add_nc_u32_e32 v24, s56, v94
	v_lshlrev_b64 v[16:17], 2, v[34:35]
	v_ashrrev_i32_e32 v19, 31, v18
	v_add_nc_u32_e32 v26, s57, v94
	v_add_co_u32 v20, vcc_lo, s8, v32
	v_lshlrev_b64 v[22:23], 2, v[36:37]
	v_ashrrev_i32_e32 v25, 31, v24
	v_add_co_ci_u32_e32 v21, vcc_lo, s11, v33, vcc_lo
	v_add_nc_u32_e32 v28, s58, v94
	v_add_co_u32 v16, vcc_lo, s8, v16
	v_lshlrev_b64 v[18:19], 2, v[18:19]
	v_ashrrev_i32_e32 v27, 31, v26
	v_add_co_ci_u32_e32 v17, vcc_lo, s11, v17, vcc_lo
	v_add_nc_u32_e32 v30, s59, v94
	v_add_co_u32 v22, vcc_lo, s8, v22
	v_lshlrev_b64 v[24:25], 2, v[24:25]
	v_ashrrev_i32_e32 v29, 31, v28
	v_add_co_ci_u32_e32 v23, vcc_lo, s11, v23, vcc_lo
	v_add_co_u32 v18, vcc_lo, s8, v18
	v_lshlrev_b64 v[26:27], 2, v[26:27]
	v_ashrrev_i32_e32 v31, 31, v30
	v_add_co_ci_u32_e32 v19, vcc_lo, s11, v19, vcc_lo
	v_add_co_u32 v24, vcc_lo, s8, v24
	v_lshlrev_b64 v[28:29], 2, v[28:29]
	v_add_co_ci_u32_e32 v25, vcc_lo, s11, v25, vcc_lo
	v_add_nc_u32_e32 v32, s60, v94
	v_add_co_u32 v26, vcc_lo, s8, v26
	v_lshlrev_b64 v[30:31], 2, v[30:31]
	v_add_co_ci_u32_e32 v27, vcc_lo, s11, v27, vcc_lo
	v_add_nc_u32_e32 v34, s61, v94
	v_add_co_u32 v28, vcc_lo, s8, v28
	v_ashrrev_i32_e32 v33, 31, v32
	v_add_co_ci_u32_e32 v29, vcc_lo, s11, v29, vcc_lo
	v_add_nc_u32_e32 v36, s62, v94
	v_add_co_u32 v30, vcc_lo, s8, v30
	v_ashrrev_i32_e32 v35, 31, v34
	v_add_co_ci_u32_e32 v31, vcc_lo, s11, v31, vcc_lo
	s_clause 0x7
	global_load_b32 v48, v[20:21], off
	global_load_b32 v49, v[16:17], off
	global_load_b32 v50, v[22:23], off
	global_load_b32 v51, v[18:19], off
	global_load_b32 v52, v[24:25], off
	global_load_b32 v53, v[26:27], off
	global_load_b32 v54, v[28:29], off
	global_load_b32 v55, v[30:31], off
	v_add_nc_u32_e32 v18, s63, v94
	v_lshlrev_b64 v[32:33], 2, v[32:33]
	v_ashrrev_i32_e32 v37, 31, v36
	v_add_nc_u32_e32 v24, s64, v94
	v_lshlrev_b64 v[16:17], 2, v[34:35]
	v_ashrrev_i32_e32 v19, 31, v18
	v_add_nc_u32_e32 v26, s65, v94
	v_add_co_u32 v20, vcc_lo, s8, v32
	v_lshlrev_b64 v[22:23], 2, v[36:37]
	;; [unrolled: 49-line block ×3, first 2 shown]
	v_ashrrev_i32_e32 v25, 31, v24
	v_add_co_ci_u32_e32 v21, vcc_lo, s11, v33, vcc_lo
	v_add_co_u32 v16, vcc_lo, s8, v16
	v_lshlrev_b64 v[18:19], 2, v[18:19]
	v_ashrrev_i32_e32 v27, 31, v26
	v_add_co_ci_u32_e32 v17, vcc_lo, s11, v17, vcc_lo
	v_add_co_u32 v22, vcc_lo, s8, v22
	v_lshlrev_b64 v[24:25], 2, v[24:25]
	v_add_co_ci_u32_e32 v23, vcc_lo, s11, v23, vcc_lo
	v_add_co_u32 v18, vcc_lo, s8, v18
	v_lshlrev_b64 v[26:27], 2, v[26:27]
	v_add_co_ci_u32_e32 v19, vcc_lo, s11, v19, vcc_lo
	v_add_co_u32 v24, vcc_lo, s8, v24
	v_add_co_ci_u32_e32 v25, vcc_lo, s11, v25, vcc_lo
	s_delay_alu instid0(VALU_DEP_4)
	v_add_co_u32 v26, vcc_lo, s8, v26
	v_add_co_ci_u32_e32 v27, vcc_lo, s11, v27, vcc_lo
	s_clause 0x5
	global_load_b32 v32, v[20:21], off
	global_load_b32 v33, v[16:17], off
	;; [unrolled: 1-line block ×6, first 2 shown]
	v_mov_b32_e32 v84, 0
	s_and_not1_b32 vcc_lo, exec_lo, s22
	s_waitcnt vmcnt(31)
	ds_store_b32 v95, v38 offset:64
	s_waitcnt vmcnt(30)
	ds_store_b32 v95, v39 offset:208
	;; [unrolled: 2-line block ×16, first 2 shown]
	ds_load_b128 v[56:59], v97 offset:64
	ds_load_b128 v[60:63], v97 offset:80
	;; [unrolled: 1-line block ×8, first 2 shown]
	s_waitcnt vmcnt(15)
	ds_store_b32 v95, v54 offset:64
	s_waitcnt vmcnt(14)
	ds_store_b32 v95, v55 offset:208
	;; [unrolled: 2-line block ×16, first 2 shown]
	ds_load_b128 v[72:75], v97 offset:64
	ds_load_b128 v[76:79], v97 offset:80
	;; [unrolled: 1-line block ×8, first 2 shown]
	s_cbranch_vccnz .LBB37_48
; %bb.46:                               ;   in Loop: Header=BB37_45 Depth=1
	ds_load_b32 v86, v98
	v_dual_mov_b32 v84, 0 :: v_dual_mov_b32 v85, 0
	s_waitcnt lgkmcnt(0)
	v_cmp_gt_i32_e32 vcc_lo, 0, v86
	s_cbranch_vccnz .LBB37_48
; %bb.47:                               ;   in Loop: Header=BB37_45 Depth=1
	v_mad_u64_u32 v[84:85], null, v86, s9, v[81:82]
	s_delay_alu instid0(VALU_DEP_1) | instskip(NEXT) | instid1(VALU_DEP_1)
	v_ashrrev_i32_e32 v85, 31, v84
	v_lshlrev_b64 v[84:85], 2, v[84:85]
	s_delay_alu instid0(VALU_DEP_1) | instskip(NEXT) | instid1(VALU_DEP_2)
	v_add_co_u32 v84, vcc_lo, s14, v84
	v_add_co_ci_u32_e32 v85, vcc_lo, s18, v85, vcc_lo
	global_load_b64 v[84:85], v[84:85], off
.LBB37_48:                              ;   in Loop: Header=BB37_45 Depth=1
	s_waitcnt vmcnt(0)
	v_cvt_f16_f32_e32 v84, v84
	v_cvt_f16_f32_e32 v85, v85
	v_mov_b32_e32 v87, 0
	s_and_not1_b32 vcc_lo, exec_lo, s23
	v_mov_b32_e32 v86, 0
	s_delay_alu instid0(VALU_DEP_3)
	v_pack_b32_f16 v84, v84, v85
	v_mov_b32_e32 v85, 0
	ds_store_b32 v95, v84 offset:64
	s_cbranch_vccnz .LBB37_51
; %bb.49:                               ;   in Loop: Header=BB37_45 Depth=1
	ds_load_b32 v84, v98 offset:4
	v_dual_mov_b32 v86, 0 :: v_dual_mov_b32 v87, 0
	s_waitcnt lgkmcnt(0)
	v_cmp_gt_i32_e32 vcc_lo, 0, v84
	s_cbranch_vccnz .LBB37_51
; %bb.50:                               ;   in Loop: Header=BB37_45 Depth=1
	v_mul_lo_u32 v84, v84, s9
	s_delay_alu instid0(VALU_DEP_1) | instskip(NEXT) | instid1(VALU_DEP_1)
	v_add3_u32 v86, v84, s20, v81
	v_ashrrev_i32_e32 v87, 31, v86
	s_delay_alu instid0(VALU_DEP_1) | instskip(NEXT) | instid1(VALU_DEP_1)
	v_lshlrev_b64 v[86:87], 2, v[86:87]
	v_add_co_u32 v86, vcc_lo, s14, v86
	s_delay_alu instid0(VALU_DEP_2)
	v_add_co_ci_u32_e32 v87, vcc_lo, s18, v87, vcc_lo
	global_load_b64 v[86:87], v[86:87], off
.LBB37_51:                              ;   in Loop: Header=BB37_45 Depth=1
	s_waitcnt vmcnt(0)
	v_cvt_f16_f32_e32 v84, v86
	v_cvt_f16_f32_e32 v86, v87
	s_and_not1_b32 vcc_lo, exec_lo, s24
	s_delay_alu instid0(VALU_DEP_1)
	v_pack_b32_f16 v86, v84, v86
	v_mov_b32_e32 v84, 0
	ds_store_b32 v95, v86 offset:208
	s_cbranch_vccnz .LBB37_54
; %bb.52:                               ;   in Loop: Header=BB37_45 Depth=1
	ds_load_b32 v86, v98 offset:8
	v_dual_mov_b32 v84, 0 :: v_dual_mov_b32 v85, 0
	s_waitcnt lgkmcnt(0)
	v_cmp_gt_i32_e32 vcc_lo, 0, v86
	s_cbranch_vccnz .LBB37_54
; %bb.53:                               ;   in Loop: Header=BB37_45 Depth=1
	v_mul_lo_u32 v84, v86, s9
	s_delay_alu instid0(VALU_DEP_1) | instskip(NEXT) | instid1(VALU_DEP_1)
	v_add3_u32 v84, v84, s25, v81
	v_ashrrev_i32_e32 v85, 31, v84
	s_delay_alu instid0(VALU_DEP_1) | instskip(NEXT) | instid1(VALU_DEP_1)
	v_lshlrev_b64 v[84:85], 2, v[84:85]
	v_add_co_u32 v84, vcc_lo, s14, v84
	s_delay_alu instid0(VALU_DEP_2)
	v_add_co_ci_u32_e32 v85, vcc_lo, s18, v85, vcc_lo
	global_load_b64 v[84:85], v[84:85], off
.LBB37_54:                              ;   in Loop: Header=BB37_45 Depth=1
	s_waitcnt vmcnt(0)
	v_cvt_f16_f32_e32 v84, v84
	v_cvt_f16_f32_e32 v85, v85
	v_mov_b32_e32 v87, 0
	s_and_not1_b32 vcc_lo, exec_lo, s27
	v_mov_b32_e32 v86, 0
	s_delay_alu instid0(VALU_DEP_3)
	v_pack_b32_f16 v84, v84, v85
	v_mov_b32_e32 v85, 0
	ds_store_b32 v95, v84 offset:352
	s_cbranch_vccnz .LBB37_57
; %bb.55:                               ;   in Loop: Header=BB37_45 Depth=1
	ds_load_b32 v84, v98 offset:12
	v_dual_mov_b32 v86, 0 :: v_dual_mov_b32 v87, 0
	s_waitcnt lgkmcnt(0)
	v_cmp_gt_i32_e32 vcc_lo, 0, v84
	s_cbranch_vccnz .LBB37_57
; %bb.56:                               ;   in Loop: Header=BB37_45 Depth=1
	v_mul_lo_u32 v84, v84, s9
	s_delay_alu instid0(VALU_DEP_1) | instskip(NEXT) | instid1(VALU_DEP_1)
	v_add3_u32 v86, v84, s37, v81
	v_ashrrev_i32_e32 v87, 31, v86
	s_delay_alu instid0(VALU_DEP_1) | instskip(NEXT) | instid1(VALU_DEP_1)
	v_lshlrev_b64 v[86:87], 2, v[86:87]
	v_add_co_u32 v86, vcc_lo, s14, v86
	s_delay_alu instid0(VALU_DEP_2)
	v_add_co_ci_u32_e32 v87, vcc_lo, s18, v87, vcc_lo
	global_load_b64 v[86:87], v[86:87], off
.LBB37_57:                              ;   in Loop: Header=BB37_45 Depth=1
	s_waitcnt vmcnt(0)
	v_cvt_f16_f32_e32 v84, v86
	v_cvt_f16_f32_e32 v86, v87
	s_and_not1_b32 vcc_lo, exec_lo, s30
	s_delay_alu instid0(VALU_DEP_1)
	v_pack_b32_f16 v86, v84, v86
	v_mov_b32_e32 v84, 0
	ds_store_b32 v95, v86 offset:496
	s_cbranch_vccnz .LBB37_60
; %bb.58:                               ;   in Loop: Header=BB37_45 Depth=1
	ds_load_b32 v86, v98 offset:16
	v_dual_mov_b32 v84, 0 :: v_dual_mov_b32 v85, 0
	s_waitcnt lgkmcnt(0)
	v_cmp_gt_i32_e32 vcc_lo, 0, v86
	s_cbranch_vccnz .LBB37_60
; %bb.59:                               ;   in Loop: Header=BB37_45 Depth=1
	v_mul_lo_u32 v84, v86, s9
	s_delay_alu instid0(VALU_DEP_1) | instskip(NEXT) | instid1(VALU_DEP_1)
	v_add3_u32 v84, v84, s31, v81
	v_ashrrev_i32_e32 v85, 31, v84
	s_delay_alu instid0(VALU_DEP_1) | instskip(NEXT) | instid1(VALU_DEP_1)
	v_lshlrev_b64 v[84:85], 2, v[84:85]
	v_add_co_u32 v84, vcc_lo, s14, v84
	s_delay_alu instid0(VALU_DEP_2)
	v_add_co_ci_u32_e32 v85, vcc_lo, s18, v85, vcc_lo
	global_load_b64 v[84:85], v[84:85], off
.LBB37_60:                              ;   in Loop: Header=BB37_45 Depth=1
	;; [unrolled: 56-line block ×4, first 2 shown]
	s_waitcnt vmcnt(0)
	v_cvt_f16_f32_e32 v84, v84
	v_cvt_f16_f32_e32 v85, v85
	v_mov_b32_e32 v87, 0
	s_and_not1_b32 vcc_lo, exec_lo, s41
	v_mov_b32_e32 v86, 0
	s_delay_alu instid0(VALU_DEP_3)
	v_pack_b32_f16 v84, v84, v85
	v_mov_b32_e32 v85, 0
	ds_store_b32 v95, v84 offset:1216
	s_cbranch_vccnz .LBB37_75
; %bb.73:                               ;   in Loop: Header=BB37_45 Depth=1
	ds_load_b32 v84, v98 offset:36
	v_dual_mov_b32 v86, 0 :: v_dual_mov_b32 v87, 0
	s_waitcnt lgkmcnt(0)
	v_cmp_gt_i32_e32 vcc_lo, 0, v84
	s_cbranch_vccnz .LBB37_75
; %bb.74:                               ;   in Loop: Header=BB37_45 Depth=1
	v_mul_lo_u32 v84, v84, s9
	s_delay_alu instid0(VALU_DEP_1) | instskip(NEXT) | instid1(VALU_DEP_1)
	v_add3_u32 v86, v84, s29, v81
	v_ashrrev_i32_e32 v87, 31, v86
	s_delay_alu instid0(VALU_DEP_1) | instskip(NEXT) | instid1(VALU_DEP_1)
	v_lshlrev_b64 v[86:87], 2, v[86:87]
	v_add_co_u32 v86, vcc_lo, s14, v86
	s_delay_alu instid0(VALU_DEP_2)
	v_add_co_ci_u32_e32 v87, vcc_lo, s18, v87, vcc_lo
	global_load_b64 v[86:87], v[86:87], off
.LBB37_75:                              ;   in Loop: Header=BB37_45 Depth=1
	s_waitcnt vmcnt(0)
	v_cvt_f16_f32_e32 v84, v86
	v_cvt_f16_f32_e32 v86, v87
	s_and_not1_b32 vcc_lo, exec_lo, s17
	s_delay_alu instid0(VALU_DEP_1)
	v_pack_b32_f16 v86, v84, v86
	v_mov_b32_e32 v84, 0
	ds_store_b32 v95, v86 offset:1360
	s_cbranch_vccnz .LBB37_44
; %bb.76:                               ;   in Loop: Header=BB37_45 Depth=1
	ds_load_b32 v86, v98 offset:40
	v_dual_mov_b32 v84, 0 :: v_dual_mov_b32 v85, 0
	s_waitcnt lgkmcnt(0)
	v_cmp_gt_i32_e32 vcc_lo, 0, v86
	s_cbranch_vccnz .LBB37_44
; %bb.77:                               ;   in Loop: Header=BB37_45 Depth=1
	v_mul_lo_u32 v84, v86, s9
	s_delay_alu instid0(VALU_DEP_1) | instskip(NEXT) | instid1(VALU_DEP_1)
	v_add3_u32 v84, v84, s28, v81
	v_ashrrev_i32_e32 v85, 31, v84
	s_delay_alu instid0(VALU_DEP_1) | instskip(NEXT) | instid1(VALU_DEP_1)
	v_lshlrev_b64 v[84:85], 2, v[84:85]
	v_add_co_u32 v84, vcc_lo, s14, v84
	s_delay_alu instid0(VALU_DEP_2)
	v_add_co_ci_u32_e32 v85, vcc_lo, s18, v85, vcc_lo
	global_load_b64 v[84:85], v[84:85], off
	s_branch .LBB37_44
.LBB37_78:
	s_or_b32 exec_lo, exec_lo, s19
.LBB37_79:
	s_delay_alu instid0(SALU_CYCLE_1) | instskip(SKIP_4) | instid1(VALU_DEP_3)
	s_or_b32 exec_lo, exec_lo, s5
	v_lshrrev_b32_e32 v16, 2, v80
	s_movk_i32 s0, 0x210
	v_lshlrev_b32_e32 v17, 2, v92
	v_mad_u32_u24 v18, v93, s0, 0x100
	v_and_b32_e32 v16, 0xfc, v16
	s_barrier
	buffer_gl0_inv
	s_mov_b32 s0, exec_lo
	v_add3_u32 v17, v18, v16, v17
	v_lshl_add_u32 v16, v80, 2, 0x100
	ds_store_2addr_b32 v17, v8, v9 offset0:16 offset1:18
	ds_store_2addr_b32 v17, v10, v11 offset0:20 offset1:22
	;; [unrolled: 1-line block ×7, first 2 shown]
	v_mad_u32_u24 v0, 0x210, v89, v16
	ds_store_2addr_b32 v17, v6, v7 offset0:44 offset1:46
	v_mov_b32_e32 v6, -1
	s_waitcnt lgkmcnt(0)
	s_barrier
	buffer_gl0_inv
	ds_load_2addr_b32 v[2:3], v0 offset0:16 offset1:48
	ds_load_2addr_b32 v[0:1], v0 offset0:80 offset1:112
	v_cmpx_gt_u32_e32 11, v89
	s_cbranch_execz .LBB37_81
; %bb.80:
	ds_load_b32 v6, v88
.LBB37_81:
	s_or_b32 exec_lo, exec_lo, s0
	s_mul_hi_i32 s9, s26, s15
	s_mul_i32 s8, s26, s15
	s_mul_hi_i32 s13, s33, s21
	s_lshl_b64 s[8:9], s[8:9], 2
	s_mul_i32 s12, s33, s21
	s_waitcnt lgkmcnt(0)
	v_cmp_lt_i32_e32 vcc_lo, -1, v6
	s_add_u32 s0, s6, s8
	v_mul_u32_u24_e32 v5, 0x210, v89
	s_addc_u32 s5, s7, s9
	s_lshl_b64 s[6:7], s[12:13], 2
	v_add_nc_u32_e32 v4, s1, v80
	s_add_u32 s0, s0, s6
	s_addc_u32 s1, s5, s7
	s_and_b32 s5, vcc_lo, s2
	s_delay_alu instid0(SALU_CYCLE_1)
	s_and_saveexec_b32 s2, s5
	s_cbranch_execz .LBB37_83
; %bb.82:
	v_mul_lo_u32 v6, v6, s10
	v_mul_lo_u32 v8, v89, s21
	v_dual_add_f32 v2, 0, v2 :: v_dual_mov_b32 v7, 0
	s_delay_alu instid0(VALU_DEP_1) | instskip(NEXT) | instid1(VALU_DEP_3)
	v_add_f32_e32 v2, v2, v3
	v_add3_u32 v6, v4, v8, v6
	s_delay_alu instid0(VALU_DEP_2) | instskip(NEXT) | instid1(VALU_DEP_2)
	v_add_f32_e32 v0, v2, v0
	v_lshlrev_b64 v[2:3], 2, v[6:7]
	s_delay_alu instid0(VALU_DEP_2) | instskip(NEXT) | instid1(VALU_DEP_2)
	v_add_f32_e32 v6, v0, v1
	v_add_co_u32 v0, vcc_lo, s0, v2
	s_delay_alu instid0(VALU_DEP_3)
	v_add_co_ci_u32_e32 v1, vcc_lo, s1, v3, vcc_lo
	global_store_b32 v[0:1], v6, off
.LBB37_83:
	s_or_b32 exec_lo, exec_lo, s2
	v_dual_mov_b32 v6, -1 :: v_dual_add_nc_u32 v5, v5, v16
	s_mov_b32 s2, exec_lo
	s_delay_alu instid0(VALU_DEP_1)
	v_add_nc_u32_e32 v0, 0x800, v5
	ds_load_2addr_b32 v[2:3], v0 offset0:32 offset1:64
	ds_load_2addr_b32 v[0:1], v0 offset0:96 offset1:128
	v_cmpx_gt_u32_e32 7, v89
	s_cbranch_execz .LBB37_85
; %bb.84:
	ds_load_b32 v6, v88 offset:16
.LBB37_85:
	s_or_b32 exec_lo, exec_lo, s2
	s_waitcnt lgkmcnt(0)
	v_cmp_lt_i32_e32 vcc_lo, -1, v6
	s_and_b32 s3, vcc_lo, s3
	s_delay_alu instid0(SALU_CYCLE_1)
	s_and_saveexec_b32 s2, s3
	s_cbranch_execz .LBB37_87
; %bb.86:
	v_mul_lo_u32 v6, v6, s10
	v_mul_lo_u32 v8, v90, s21
	v_dual_add_f32 v2, 0, v2 :: v_dual_mov_b32 v7, 0
	s_delay_alu instid0(VALU_DEP_1) | instskip(NEXT) | instid1(VALU_DEP_3)
	v_add_f32_e32 v2, v2, v3
	v_add3_u32 v6, v4, v8, v6
	s_delay_alu instid0(VALU_DEP_2) | instskip(NEXT) | instid1(VALU_DEP_2)
	v_add_f32_e32 v0, v2, v0
	v_lshlrev_b64 v[2:3], 2, v[6:7]
	s_delay_alu instid0(VALU_DEP_2) | instskip(NEXT) | instid1(VALU_DEP_2)
	v_add_f32_e32 v6, v0, v1
	v_add_co_u32 v0, vcc_lo, s0, v2
	s_delay_alu instid0(VALU_DEP_3)
	v_add_co_ci_u32_e32 v1, vcc_lo, s1, v3, vcc_lo
	global_store_b32 v[0:1], v6, off
.LBB37_87:
	s_or_b32 exec_lo, exec_lo, s2
	v_cmp_gt_u32_e32 vcc_lo, 3, v89
	s_and_b32 exec_lo, exec_lo, vcc_lo
	s_cbranch_execz .LBB37_90
; %bb.88:
	ds_load_b32 v0, v88 offset:32
	s_waitcnt lgkmcnt(0)
	v_cmp_lt_i32_e32 vcc_lo, -1, v0
	s_and_b32 s2, vcc_lo, s4
	s_delay_alu instid0(SALU_CYCLE_1)
	s_and_b32 exec_lo, exec_lo, s2
	s_cbranch_execz .LBB37_90
; %bb.89:
	v_add_nc_u32_e32 v3, 0x1000, v5
	v_mul_lo_u32 v0, v0, s10
	ds_load_2addr_b32 v[1:2], v3 offset0:48 offset1:80
	ds_load_2addr_b32 v[5:6], v3 offset0:112 offset1:144
	v_mul_lo_u32 v3, v91, s21
	s_delay_alu instid0(VALU_DEP_1) | instskip(SKIP_2) | instid1(VALU_DEP_1)
	v_add3_u32 v0, v4, v3, v0
	s_waitcnt lgkmcnt(1)
	v_add_f32_e32 v7, 0, v1
	v_dual_add_f32 v2, v7, v2 :: v_dual_mov_b32 v1, 0
	s_waitcnt lgkmcnt(0)
	s_delay_alu instid0(VALU_DEP_1) | instskip(NEXT) | instid1(VALU_DEP_2)
	v_add_f32_e32 v2, v2, v5
	v_lshlrev_b64 v[0:1], 2, v[0:1]
	s_delay_alu instid0(VALU_DEP_2) | instskip(NEXT) | instid1(VALU_DEP_2)
	v_add_f32_e32 v2, v2, v6
	v_add_co_u32 v0, vcc_lo, s0, v0
	s_delay_alu instid0(VALU_DEP_3)
	v_add_co_ci_u32_e32 v1, vcc_lo, s1, v1, vcc_lo
	global_store_b32 v[0:1], v2, off
.LBB37_90:
	s_nop 0
	s_sendmsg sendmsg(MSG_DEALLOC_VGPRS)
	s_endpgm
	.section	.rodata,"a",@progbits
	.p2align	6, 0x0
	.amdhsa_kernel _ZL9mul_mat_fI7__half2Li32ELi11ELi4ELb1EEvPKT_PKfPKiPfiiiiiiiiiiiiiiii
		.amdhsa_group_segment_fixed_size 256
		.amdhsa_private_segment_fixed_size 0
		.amdhsa_kernarg_size 352
		.amdhsa_user_sgpr_count 13
		.amdhsa_user_sgpr_dispatch_ptr 0
		.amdhsa_user_sgpr_queue_ptr 0
		.amdhsa_user_sgpr_kernarg_segment_ptr 1
		.amdhsa_user_sgpr_dispatch_id 0
		.amdhsa_user_sgpr_private_segment_size 0
		.amdhsa_wavefront_size32 1
		.amdhsa_uses_dynamic_stack 0
		.amdhsa_enable_private_segment 0
		.amdhsa_system_sgpr_workgroup_id_x 1
		.amdhsa_system_sgpr_workgroup_id_y 1
		.amdhsa_system_sgpr_workgroup_id_z 1
		.amdhsa_system_sgpr_workgroup_info 0
		.amdhsa_system_vgpr_workitem_id 2
		.amdhsa_next_free_vgpr 123
		.amdhsa_next_free_sgpr 74
		.amdhsa_reserve_vcc 1
		.amdhsa_float_round_mode_32 0
		.amdhsa_float_round_mode_16_64 0
		.amdhsa_float_denorm_mode_32 3
		.amdhsa_float_denorm_mode_16_64 3
		.amdhsa_dx10_clamp 1
		.amdhsa_ieee_mode 1
		.amdhsa_fp16_overflow 0
		.amdhsa_workgroup_processor_mode 1
		.amdhsa_memory_ordered 1
		.amdhsa_forward_progress 0
		.amdhsa_shared_vgpr_count 0
		.amdhsa_exception_fp_ieee_invalid_op 0
		.amdhsa_exception_fp_denorm_src 0
		.amdhsa_exception_fp_ieee_div_zero 0
		.amdhsa_exception_fp_ieee_overflow 0
		.amdhsa_exception_fp_ieee_underflow 0
		.amdhsa_exception_fp_ieee_inexact 0
		.amdhsa_exception_int_div_zero 0
	.end_amdhsa_kernel
	.section	.text._ZL9mul_mat_fI7__half2Li32ELi11ELi4ELb1EEvPKT_PKfPKiPfiiiiiiiiiiiiiiii,"axG",@progbits,_ZL9mul_mat_fI7__half2Li32ELi11ELi4ELb1EEvPKT_PKfPKiPfiiiiiiiiiiiiiiii,comdat
.Lfunc_end37:
	.size	_ZL9mul_mat_fI7__half2Li32ELi11ELi4ELb1EEvPKT_PKfPKiPfiiiiiiiiiiiiiiii, .Lfunc_end37-_ZL9mul_mat_fI7__half2Li32ELi11ELi4ELb1EEvPKT_PKfPKiPfiiiiiiiiiiiiiiii
                                        ; -- End function
	.section	.AMDGPU.csdata,"",@progbits
; Kernel info:
; codeLenInByte = 6652
; NumSgprs: 76
; NumVgprs: 123
; ScratchSize: 0
; MemoryBound: 0
; FloatMode: 240
; IeeeMode: 1
; LDSByteSize: 256 bytes/workgroup (compile time only)
; SGPRBlocks: 9
; VGPRBlocks: 15
; NumSGPRsForWavesPerEU: 76
; NumVGPRsForWavesPerEU: 123
; Occupancy: 10
; WaveLimiterHint : 0
; COMPUTE_PGM_RSRC2:SCRATCH_EN: 0
; COMPUTE_PGM_RSRC2:USER_SGPR: 13
; COMPUTE_PGM_RSRC2:TRAP_HANDLER: 0
; COMPUTE_PGM_RSRC2:TGID_X_EN: 1
; COMPUTE_PGM_RSRC2:TGID_Y_EN: 1
; COMPUTE_PGM_RSRC2:TGID_Z_EN: 1
; COMPUTE_PGM_RSRC2:TIDIG_COMP_CNT: 2
	.section	.text._ZL9mul_mat_fI7__half2Li32ELi11ELi4ELb0EEvPKT_PKfPKiPfiiiiiiiiiiiiiiii,"axG",@progbits,_ZL9mul_mat_fI7__half2Li32ELi11ELi4ELb0EEvPKT_PKfPKiPfiiiiiiiiiiiiiiii,comdat
	.globl	_ZL9mul_mat_fI7__half2Li32ELi11ELi4ELb0EEvPKT_PKfPKiPfiiiiiiiiiiiiiiii ; -- Begin function _ZL9mul_mat_fI7__half2Li32ELi11ELi4ELb0EEvPKT_PKfPKiPfiiiiiiiiiiiiiiii
	.p2align	8
	.type	_ZL9mul_mat_fI7__half2Li32ELi11ELi4ELb0EEvPKT_PKfPKiPfiiiiiiiiiiiiiiii,@function
_ZL9mul_mat_fI7__half2Li32ELi11ELi4ELb0EEvPKT_PKfPKiPfiiiiiiiiiiiiiiii: ; @_ZL9mul_mat_fI7__half2Li32ELi11ELi4ELb0EEvPKT_PKfPKiPfiiiiiiiiiiiiiiii
; %bb.0:
	s_clause 0x2
	s_load_b256 s[4:11], s[0:1], 0x40
	s_load_b32 s22, s[0:1], 0x20
	s_load_b128 s[16:19], s[0:1], 0x2c
	v_bfe_u32 v72, v0, 10, 10
	v_and_b32_e32 v73, 0x3ff, v0
	s_mov_b32 s12, 0
	s_ashr_i32 s24, s15, 31
	s_waitcnt lgkmcnt(0)
	s_mov_b32 s19, exec_lo
	v_and_b32_e32 v75, 15, v73
	s_abs_i32 s2, s4
	s_abs_i32 s23, s8
	v_cvt_f32_u32_e32 v1, s2
	v_cvt_f32_u32_e32 v2, s23
	s_delay_alu instid0(VALU_DEP_2) | instskip(NEXT) | instid1(VALU_DEP_1)
	v_rcp_iflag_f32_e32 v1, v1
	v_rcp_iflag_f32_e32 v2, v2
	v_lshlrev_b32_e32 v74, 5, v72
	s_waitcnt_depctr 0xfff
	v_dual_mul_f32 v0, 0x4f7ffffe, v1 :: v_dual_mul_f32 v1, 0x4f7ffffe, v2
	v_add_nc_u32_e32 v76, v74, v73
	s_delay_alu instid0(VALU_DEP_2) | instskip(NEXT) | instid1(VALU_DEP_3)
	v_cvt_u32_f32_e32 v0, v0
	v_cvt_u32_f32_e32 v1, v1
	s_delay_alu instid0(VALU_DEP_2) | instskip(NEXT) | instid1(VALU_DEP_2)
	v_readfirstlane_b32 s25, v0
	v_readfirstlane_b32 s3, v1
	v_cmpx_le_i32_e64 s22, v76
	s_xor_b32 s19, exec_lo, s19
; %bb.1:
	v_and_b32_e32 v75, 15, v73
                                        ; implicit-def: $vgpr76
; %bb.2:
	s_or_saveexec_b32 s19, s19
	s_load_b64 s[20:21], s[0:1], 0x18
	v_dual_mov_b32 v15, s12 :: v_dual_mov_b32 v14, s12
	v_dual_mov_b32 v13, s12 :: v_dual_mov_b32 v12, s12
	;; [unrolled: 1-line block ×8, first 2 shown]
	s_lshl_b32 s12, s13, 5
	s_xor_b32 exec_lo, exec_lo, s19
	s_cbranch_execz .LBB38_6
; %bb.3:
	s_sub_i32 s13, 0, s2
	s_sub_i32 s26, 0, s23
	s_mul_i32 s13, s13, s25
	s_mul_i32 s26, s26, s3
	s_mul_hi_u32 s13, s25, s13
	s_mul_hi_u32 s26, s3, s26
	s_abs_i32 s27, s14
	s_add_i32 s25, s25, s13
	s_add_i32 s26, s3, s26
	s_mul_hi_u32 s3, s27, s25
	s_ashr_i32 s25, s14, 31
	s_ashr_i32 s4, s4, 31
	s_mul_i32 s28, s3, s2
	s_xor_b32 s4, s25, s4
	s_sub_i32 s25, s27, s28
	s_abs_i32 s13, s15
	s_ashr_i32 s8, s8, 31
	s_add_i32 s27, s3, 1
	s_sub_i32 s28, s25, s2
	s_cmp_ge_u32 s25, s2
	s_mul_hi_u32 s26, s13, s26
	s_cselect_b32 s3, s27, s3
	s_cselect_b32 s25, s28, s25
	s_add_i32 s27, s3, 1
	s_cmp_ge_u32 s25, s2
	s_mul_i32 s28, s14, s6
	s_cselect_b32 s25, s27, s3
	s_load_b128 s[0:3], s[0:1], 0x0
	s_xor_b32 s25, s25, s4
	s_xor_b32 s8, s24, s8
	s_sub_i32 s4, s25, s4
	s_mul_i32 s25, s26, s23
	s_add_i32 s24, s26, 1
	s_sub_i32 s13, s13, s25
	s_mul_i32 s4, s4, s5
	s_sub_i32 s25, s13, s23
	s_cmp_ge_u32 s13, s23
	s_mul_hi_i32 s27, s10, s15
	s_cselect_b32 s24, s24, s26
	s_cselect_b32 s13, s25, s13
	s_add_i32 s25, s24, 1
	s_cmp_ge_u32 s13, s23
	s_mul_i32 s26, s10, s15
	s_cselect_b32 s13, s25, s24
	s_ashr_i32 s5, s4, 31
	s_xor_b32 s13, s13, s8
	v_lshlrev_b32_e32 v3, 7, v72
	s_sub_i32 s8, s13, s8
	v_mad_u32_u24 v1, 0x900, v72, 0
	s_mul_hi_i32 s25, s8, s9
	s_mul_i32 s24, s8, s9
	s_mul_i32 s8, s12, s16
	s_lshl_b64 s[24:25], s[24:25], 2
	v_dual_mov_b32 v79, 0 :: v_dual_lshlrev_b32 v0, 2, v73
	s_waitcnt lgkmcnt(0)
	s_add_u32 s13, s0, s24
	s_addc_u32 s23, s1, s25
	s_ashr_i32 s9, s8, 31
	s_lshl_b64 s[4:5], s[4:5], 2
	s_lshl_b64 s[8:9], s[8:9], 2
	v_lshlrev_b32_e32 v5, 8, v72
	s_add_u32 s30, s4, s8
	s_addc_u32 s31, s5, s9
	s_add_u32 s6, s30, s13
	s_addc_u32 s8, s31, s23
	s_ashr_i32 s29, s28, 31
	s_lshl_b64 s[4:5], s[26:27], 2
	s_lshl_b64 s[26:27], s[28:29], 2
	v_add_nc_u32_e32 v77, v1, v0
	s_add_u32 s13, s2, s26
	s_addc_u32 s23, s3, s27
	s_add_u32 s9, s13, s4
	s_addc_u32 s10, s23, s5
	s_ashr_i32 s3, s16, 31
	s_mov_b32 s2, s16
	s_ashr_i32 s27, s17, 31
	s_lshl_b64 s[2:3], s[2:3], 2
	s_add_u32 s24, s30, s24
	s_addc_u32 s25, s31, s25
	v_add_co_u32 v3, s24, s24, v3
	s_delay_alu instid0(VALU_DEP_1) | instskip(SKIP_1) | instid1(VALU_DEP_3)
	v_add_co_ci_u32_e64 v4, null, s25, 0, s24
	v_lshlrev_b32_e32 v6, 3, v73
	v_add_co_u32 v0, vcc_lo, v3, v0
	s_delay_alu instid0(VALU_DEP_3) | instskip(SKIP_1) | instid1(VALU_DEP_3)
	v_add_co_ci_u32_e32 v3, vcc_lo, 0, v4, vcc_lo
	v_add_co_u32 v4, s4, s4, v5
	v_add_co_u32 v16, vcc_lo, s0, v0
	v_add_co_ci_u32_e64 v5, null, s5, 0, s4
	s_delay_alu instid0(VALU_DEP_4) | instskip(NEXT) | instid1(VALU_DEP_4)
	v_add_co_ci_u32_e32 v17, vcc_lo, s1, v3, vcc_lo
	v_add_co_u32 v0, vcc_lo, v4, v6
	s_delay_alu instid0(VALU_DEP_3) | instskip(SKIP_1) | instid1(VALU_DEP_3)
	v_add_co_ci_u32_e32 v3, vcc_lo, 0, v5, vcc_lo
	v_mul_u32_u24_e32 v2, 0x90, v75
	v_add_co_u32 v18, vcc_lo, s13, v0
	v_mov_b32_e32 v0, 0
	s_delay_alu instid0(VALU_DEP_4) | instskip(NEXT) | instid1(VALU_DEP_4)
	v_add_co_ci_u32_e32 v19, vcc_lo, s23, v3, vcc_lo
	v_add_nc_u32_e32 v78, v1, v2
	s_mov_b32 s26, s17
	s_delay_alu instid0(VALU_DEP_3)
	v_mov_b32_e32 v3, v0
	v_mov_b32_e32 v1, v0
	;; [unrolled: 1-line block ×15, first 2 shown]
	s_lshl_b64 s[4:5], s[26:27], 3
	s_mul_i32 s1, s16, 31
	s_lshl_b32 s13, s17, 1
	s_mul_i32 s23, s17, 3
	s_lshl_b32 s24, s17, 2
	s_mul_i32 s25, s17, 5
	s_mul_i32 s26, s17, 6
	;; [unrolled: 1-line block ×3, first 2 shown]
	s_lshl_b32 s28, s17, 3
	s_mul_i32 s29, s17, 9
	s_mul_i32 s17, s17, 10
	s_lshl_b32 s30, s16, 1
	s_mul_i32 s31, s16, 3
	s_lshl_b32 s33, s16, 2
	s_mul_i32 s34, s16, 5
	s_mul_i32 s35, s16, 6
	;; [unrolled: 1-line block ×3, first 2 shown]
	s_lshl_b32 s37, s16, 3
	s_mul_i32 s38, s16, 9
	s_mul_i32 s39, s16, 10
	;; [unrolled: 1-line block ×7, first 2 shown]
	s_lshl_b32 s45, s16, 4
	s_mul_i32 s46, s16, 17
	s_mul_i32 s47, s16, 18
	;; [unrolled: 1-line block ×14, first 2 shown]
	s_mov_b32 s16, 0
.LBB38_4:                               ; =>This Inner Loop Header: Depth=1
	v_add_nc_u32_e32 v20, s30, v76
	v_add_nc_u32_e32 v22, s31, v76
	;; [unrolled: 1-line block ×4, first 2 shown]
	v_add_co_u32 v106, vcc_lo, v16, s2
	v_ashrrev_i32_e32 v21, 31, v20
	v_ashrrev_i32_e32 v23, 31, v22
	v_ashrrev_i32_e32 v25, 31, v24
	v_add_nc_u32_e32 v28, s35, v76
	v_add_co_ci_u32_e32 v107, vcc_lo, s3, v17, vcc_lo
	v_lshlrev_b64 v[20:21], 2, v[20:21]
	v_add_co_u32 v110, vcc_lo, v18, s4
	v_lshlrev_b64 v[22:23], 2, v[22:23]
	v_ashrrev_i32_e32 v27, 31, v26
	v_add_nc_u32_e32 v30, s36, v76
	v_add_co_ci_u32_e32 v111, vcc_lo, s5, v19, vcc_lo
	v_lshlrev_b64 v[24:25], 2, v[24:25]
	v_add_co_u32 v20, vcc_lo, s6, v20
	v_ashrrev_i32_e32 v29, 31, v28
	v_add_nc_u32_e32 v32, s37, v76
	v_add_co_ci_u32_e32 v21, vcc_lo, s8, v21, vcc_lo
	v_lshlrev_b64 v[26:27], 2, v[26:27]
	v_add_co_u32 v22, vcc_lo, s6, v22
	;; [unrolled: 5-line block ×34, first 2 shown]
	v_ashrrev_i32_e32 v103, 31, v102
	v_add_co_ci_u32_e32 v95, vcc_lo, s10, v95, vcc_lo
	v_lshlrev_b64 v[100:101], 3, v[100:101]
	v_add_co_u32 v96, vcc_lo, s9, v96
	v_ashrrev_i32_e32 v105, 31, v104
	v_add_co_ci_u32_e32 v97, vcc_lo, s10, v97, vcc_lo
	v_lshlrev_b64 v[102:103], 3, v[102:103]
	v_add_co_u32 v98, vcc_lo, s9, v98
	v_add_co_ci_u32_e32 v99, vcc_lo, s10, v99, vcc_lo
	global_load_b64 v[108:109], v[18:19], off
	global_load_b32 v112, v[16:17], off
	v_lshlrev_b64 v[104:105], 3, v[104:105]
	v_add_co_u32 v100, vcc_lo, s9, v100
	v_add_co_ci_u32_e32 v101, vcc_lo, s10, v101, vcc_lo
	global_load_b32 v113, v[106:107], off
	global_load_b64 v[106:107], v[110:111], off
	v_add_co_u32 v102, vcc_lo, s9, v102
	v_add_co_ci_u32_e32 v103, vcc_lo, s10, v103, vcc_lo
	v_add_co_u32 v104, vcc_lo, s9, v104
	v_add_co_ci_u32_e32 v105, vcc_lo, s10, v105, vcc_lo
	s_clause 0xd
	global_load_b32 v110, v[20:21], off
	global_load_b32 v111, v[22:23], off
	;; [unrolled: 1-line block ×14, first 2 shown]
	s_clause 0x8
	global_load_b64 v[20:21], v[88:89], off
	global_load_b64 v[22:23], v[90:91], off
	global_load_b64 v[24:25], v[92:93], off
	global_load_b64 v[26:27], v[94:95], off
	global_load_b64 v[28:29], v[96:97], off
	global_load_b64 v[30:31], v[98:99], off
	global_load_b64 v[32:33], v[100:101], off
	global_load_b64 v[34:35], v[102:103], off
	global_load_b64 v[36:37], v[104:105], off
	s_clause 0xf
	global_load_b32 v88, v[48:49], off
	global_load_b32 v89, v[50:51], off
	;; [unrolled: 1-line block ×16, first 2 shown]
	v_add_nc_u32_e32 v76, 0x80, v76
	v_add_co_u32 v16, vcc_lo, 0x200, v16
	v_add_co_ci_u32_e32 v17, vcc_lo, 0, v17, vcc_lo
	v_add_co_u32 v18, vcc_lo, 0x400, v18
	s_delay_alu instid0(VALU_DEP_4) | instskip(SKIP_1) | instid1(VALU_DEP_2)
	v_cmp_le_i32_e64 s0, s22, v76
	v_add_co_ci_u32_e32 v19, vcc_lo, 0, v19, vcc_lo
	s_or_b32 s16, s0, s16
	s_waitcnt vmcnt(24)
	v_cvt_f16_f32_e32 v70, v20
	v_cvt_f16_f32_e32 v71, v21
	s_waitcnt vmcnt(23)
	v_cvt_f16_f32_e32 v96, v22
	v_cvt_f16_f32_e32 v97, v23
	;; [unrolled: 3-line block ×4, first 2 shown]
	v_cvt_f16_f32_e32 v43, v108
	v_cvt_f16_f32_e32 v44, v109
	ds_store_b32 v77, v112
	s_waitcnt vmcnt(20)
	v_cvt_f16_f32_e32 v102, v28
	v_cvt_f16_f32_e32 v103, v29
	s_waitcnt vmcnt(19)
	v_cvt_f16_f32_e32 v104, v30
	ds_store_b32 v77, v113 offset:144
	v_cvt_f16_f32_e32 v45, v106
	v_cvt_f16_f32_e32 v46, v107
	v_pack_b32_f16 v68, v43, v44
	ds_store_b32 v77, v110 offset:288
	ds_store_b32 v77, v111 offset:432
	;; [unrolled: 1-line block ×14, first 2 shown]
	v_cvt_f16_f32_e32 v105, v31
	s_waitcnt vmcnt(18)
	v_cvt_f16_f32_e32 v106, v32
	v_pack_b32_f16 v69, v45, v46
	v_cvt_f16_f32_e32 v107, v33
	s_waitcnt vmcnt(17)
	v_cvt_f16_f32_e32 v108, v34
	v_cvt_f16_f32_e32 v109, v35
	s_waitcnt vmcnt(16)
	v_cvt_f16_f32_e32 v110, v36
	v_cvt_f16_f32_e32 v111, v37
	ds_load_b128 v[20:23], v78
	ds_load_b128 v[24:27], v78 offset:16
	ds_load_b128 v[28:31], v78 offset:32
	;; [unrolled: 1-line block ×7, first 2 shown]
	s_waitcnt vmcnt(15)
	ds_store_b32 v77, v88
	s_waitcnt vmcnt(14)
	ds_store_b32 v77, v89 offset:144
	s_waitcnt vmcnt(13)
	ds_store_b32 v77, v52 offset:288
	;; [unrolled: 2-line block ×15, first 2 shown]
	ds_load_b128 v[52:55], v78
	ds_load_b128 v[56:59], v78 offset:16
	ds_load_b128 v[60:63], v78 offset:32
	;; [unrolled: 1-line block ×7, first 2 shown]
	ds_store_b32 v77, v68
	v_pack_b32_f16 v68, v70, v71
	v_pack_b32_f16 v70, v96, v97
	;; [unrolled: 1-line block ×9, first 2 shown]
	ds_store_b32 v77, v69 offset:144
	ds_store_b32 v77, v68 offset:288
	;; [unrolled: 1-line block ×15, first 2 shown]
	ds_load_b128 v[96:99], v78
	ds_load_b128 v[100:103], v78 offset:16
	ds_load_b128 v[104:107], v78 offset:32
	;; [unrolled: 1-line block ×5, first 2 shown]
	s_waitcnt lgkmcnt(4)
	v_wmma_f32_16x16x16_f16 v[8:15], v[20:27], v[96:103], v[8:15]
	ds_load_b128 v[20:23], v78 offset:96
	ds_load_b128 v[24:27], v78 offset:112
	v_wmma_f32_16x16x16_f16 v[0:7], v[52:59], v[96:103], v[0:7]
	s_waitcnt lgkmcnt(4)
	v_wmma_f32_16x16x16_f16 v[8:15], v[28:35], v[104:111], v[8:15]
	s_delay_alu instid0(VALU_DEP_2) | instskip(SKIP_1) | instid1(VALU_DEP_2)
	v_wmma_f32_16x16x16_f16 v[0:7], v[60:67], v[104:111], v[0:7]
	s_waitcnt lgkmcnt(2)
	v_wmma_f32_16x16x16_f16 v[8:15], v[36:43], v[112:119], v[8:15]
	s_delay_alu instid0(VALU_DEP_2) | instskip(SKIP_1) | instid1(VALU_DEP_2)
	v_wmma_f32_16x16x16_f16 v[0:7], v[80:87], v[112:119], v[0:7]
	s_waitcnt lgkmcnt(0)
	v_wmma_f32_16x16x16_f16 v[8:15], v[44:51], v[20:27], v[8:15]
	s_delay_alu instid0(VALU_DEP_2)
	v_wmma_f32_16x16x16_f16 v[0:7], v[88:95], v[20:27], v[0:7]
	s_and_not1_b32 exec_lo, exec_lo, s16
	s_cbranch_execnz .LBB38_4
; %bb.5:
	s_or_b32 exec_lo, exec_lo, s16
.LBB38_6:
	s_delay_alu instid0(SALU_CYCLE_1)
	s_or_b32 exec_lo, exec_lo, s19
	v_lshrrev_b32_e32 v16, 2, v73
	v_mad_u32_u24 v17, 0x210, v75, 0
	v_lshlrev_b32_e32 v18, 2, v74
	s_waitcnt lgkmcnt(0)
	s_barrier
	v_and_b32_e32 v16, 0xfc, v16
	buffer_gl0_inv
	s_mul_hi_i32 s1, s11, s15
	s_mul_i32 s0, s11, s15
	s_mul_i32 s2, s14, s7
	v_add3_u32 v17, v17, v16, v18
	v_lshl_add_u32 v16, v73, 2, 0
	s_lshl_b64 s[0:1], s[0:1], 2
	ds_store_2addr_b32 v17, v8, v9 offset1:2
	ds_store_2addr_b32 v17, v10, v11 offset0:4 offset1:6
	ds_store_2addr_b32 v17, v12, v13 offset0:8 offset1:10
	;; [unrolled: 1-line block ×6, first 2 shown]
	v_mad_u32_u24 v0, 0x210, v72, v16
	ds_store_2addr_b32 v17, v6, v7 offset0:28 offset1:30
	s_waitcnt lgkmcnt(0)
	s_barrier
	buffer_gl0_inv
	v_add_nc_u32_e32 v1, 0x800, v0
	s_add_u32 s4, s20, s0
	s_addc_u32 s5, s21, s1
	ds_load_2addr_b32 v[3:4], v0 offset1:32
	ds_load_2addr_b32 v[5:6], v1 offset0:16 offset1:48
	ds_load_2addr_b32 v[7:8], v0 offset0:64 offset1:96
	;; [unrolled: 1-line block ×3, first 2 shown]
	s_ashr_i32 s3, s2, 31
	s_delay_alu instid0(SALU_CYCLE_1)
	s_lshl_b64 s[0:1], s[2:3], 2
	s_mov_b32 s2, exec_lo
	s_add_u32 s0, s4, s0
	s_addc_u32 s1, s5, s1
	s_waitcnt lgkmcnt(3)
	v_dual_add_f32 v3, 0, v3 :: v_dual_add_nc_u32 v0, s12, v73
	s_waitcnt lgkmcnt(2)
	v_add_f32_e32 v5, 0, v5
	s_delay_alu instid0(VALU_DEP_2) | instskip(NEXT) | instid1(VALU_DEP_3)
	v_add_f32_e32 v11, v3, v4
	v_mad_u64_u32 v[1:2], null, v72, s18, v[0:1]
	v_mov_b32_e32 v2, 0
	s_waitcnt lgkmcnt(1)
	s_delay_alu instid0(VALU_DEP_3) | instskip(NEXT) | instid1(VALU_DEP_2)
	v_dual_add_f32 v12, v5, v6 :: v_dual_add_f32 v7, v11, v7
	v_lshlrev_b64 v[3:4], 2, v[1:2]
	v_lshl_add_u32 v1, s18, 2, v1
	s_delay_alu instid0(VALU_DEP_3) | instskip(NEXT) | instid1(VALU_DEP_2)
	v_add_f32_e32 v7, v7, v8
	v_lshlrev_b64 v[5:6], 2, v[1:2]
	s_waitcnt lgkmcnt(0)
	v_add_f32_e32 v1, v12, v9
	v_add_co_u32 v3, vcc_lo, s0, v3
	v_add_co_ci_u32_e32 v4, vcc_lo, s1, v4, vcc_lo
	s_delay_alu instid0(VALU_DEP_4) | instskip(NEXT) | instid1(VALU_DEP_4)
	v_add_co_u32 v5, vcc_lo, s0, v5
	v_add_f32_e32 v1, v1, v10
	v_add_co_ci_u32_e32 v6, vcc_lo, s1, v6, vcc_lo
	s_clause 0x1
	global_store_b32 v[3:4], v7, off
	global_store_b32 v[5:6], v1, off
	v_cmpx_gt_u32_e32 3, v72
	s_cbranch_execz .LBB38_8
; %bb.7:
	v_or_b32_e32 v1, 8, v72
	s_delay_alu instid0(VALU_DEP_1)
	v_mad_u32_u24 v5, 0x210, v1, v16
	v_mad_u64_u32 v[7:8], null, v1, s18, v[0:1]
	ds_load_2addr_b32 v[3:4], v5 offset1:32
	ds_load_2addr_b32 v[5:6], v5 offset0:64 offset1:96
	s_waitcnt lgkmcnt(1)
	v_dual_mov_b32 v8, v2 :: v_dual_add_f32 v3, 0, v3
	s_delay_alu instid0(VALU_DEP_1) | instskip(SKIP_1) | instid1(VALU_DEP_1)
	v_add_f32_e32 v0, v3, v4
	s_waitcnt lgkmcnt(0)
	v_add_f32_e32 v2, v0, v5
	s_delay_alu instid0(VALU_DEP_3) | instskip(NEXT) | instid1(VALU_DEP_2)
	v_lshlrev_b64 v[0:1], 2, v[7:8]
	v_add_f32_e32 v2, v2, v6
	s_delay_alu instid0(VALU_DEP_2) | instskip(NEXT) | instid1(VALU_DEP_3)
	v_add_co_u32 v0, vcc_lo, s0, v0
	v_add_co_ci_u32_e32 v1, vcc_lo, s1, v1, vcc_lo
	global_store_b32 v[0:1], v2, off
.LBB38_8:
	s_nop 0
	s_sendmsg sendmsg(MSG_DEALLOC_VGPRS)
	s_endpgm
	.section	.rodata,"a",@progbits
	.p2align	6, 0x0
	.amdhsa_kernel _ZL9mul_mat_fI7__half2Li32ELi11ELi4ELb0EEvPKT_PKfPKiPfiiiiiiiiiiiiiiii
		.amdhsa_group_segment_fixed_size 0
		.amdhsa_private_segment_fixed_size 0
		.amdhsa_kernarg_size 96
		.amdhsa_user_sgpr_count 13
		.amdhsa_user_sgpr_dispatch_ptr 0
		.amdhsa_user_sgpr_queue_ptr 0
		.amdhsa_user_sgpr_kernarg_segment_ptr 1
		.amdhsa_user_sgpr_dispatch_id 0
		.amdhsa_user_sgpr_private_segment_size 0
		.amdhsa_wavefront_size32 1
		.amdhsa_uses_dynamic_stack 0
		.amdhsa_enable_private_segment 0
		.amdhsa_system_sgpr_workgroup_id_x 1
		.amdhsa_system_sgpr_workgroup_id_y 1
		.amdhsa_system_sgpr_workgroup_id_z 1
		.amdhsa_system_sgpr_workgroup_info 0
		.amdhsa_system_vgpr_workitem_id 1
		.amdhsa_next_free_vgpr 121
		.amdhsa_next_free_sgpr 60
		.amdhsa_reserve_vcc 1
		.amdhsa_float_round_mode_32 0
		.amdhsa_float_round_mode_16_64 0
		.amdhsa_float_denorm_mode_32 3
		.amdhsa_float_denorm_mode_16_64 3
		.amdhsa_dx10_clamp 1
		.amdhsa_ieee_mode 1
		.amdhsa_fp16_overflow 0
		.amdhsa_workgroup_processor_mode 1
		.amdhsa_memory_ordered 1
		.amdhsa_forward_progress 0
		.amdhsa_shared_vgpr_count 0
		.amdhsa_exception_fp_ieee_invalid_op 0
		.amdhsa_exception_fp_denorm_src 0
		.amdhsa_exception_fp_ieee_div_zero 0
		.amdhsa_exception_fp_ieee_overflow 0
		.amdhsa_exception_fp_ieee_underflow 0
		.amdhsa_exception_fp_ieee_inexact 0
		.amdhsa_exception_int_div_zero 0
	.end_amdhsa_kernel
	.section	.text._ZL9mul_mat_fI7__half2Li32ELi11ELi4ELb0EEvPKT_PKfPKiPfiiiiiiiiiiiiiiii,"axG",@progbits,_ZL9mul_mat_fI7__half2Li32ELi11ELi4ELb0EEvPKT_PKfPKiPfiiiiiiiiiiiiiiii,comdat
.Lfunc_end38:
	.size	_ZL9mul_mat_fI7__half2Li32ELi11ELi4ELb0EEvPKT_PKfPKiPfiiiiiiiiiiiiiiii, .Lfunc_end38-_ZL9mul_mat_fI7__half2Li32ELi11ELi4ELb0EEvPKT_PKfPKiPfiiiiiiiiiiiiiiii
                                        ; -- End function
	.section	.AMDGPU.csdata,"",@progbits
; Kernel info:
; codeLenInByte = 3940
; NumSgprs: 62
; NumVgprs: 121
; ScratchSize: 0
; MemoryBound: 0
; FloatMode: 240
; IeeeMode: 1
; LDSByteSize: 0 bytes/workgroup (compile time only)
; SGPRBlocks: 7
; VGPRBlocks: 15
; NumSGPRsForWavesPerEU: 62
; NumVGPRsForWavesPerEU: 121
; Occupancy: 10
; WaveLimiterHint : 0
; COMPUTE_PGM_RSRC2:SCRATCH_EN: 0
; COMPUTE_PGM_RSRC2:USER_SGPR: 13
; COMPUTE_PGM_RSRC2:TRAP_HANDLER: 0
; COMPUTE_PGM_RSRC2:TGID_X_EN: 1
; COMPUTE_PGM_RSRC2:TGID_Y_EN: 1
; COMPUTE_PGM_RSRC2:TGID_Z_EN: 1
; COMPUTE_PGM_RSRC2:TIDIG_COMP_CNT: 1
	.section	.text._ZL13mul_mat_f_idsI7__half2Li32ELi11ELi5EEvPKT_PKfPKiS7_S7_Pfiiiiiiiiiiiiii15HIP_vector_typeIjLj3EESA_,"axG",@progbits,_ZL13mul_mat_f_idsI7__half2Li32ELi11ELi5EEvPKT_PKfPKiS7_S7_Pfiiiiiiiiiiiiii15HIP_vector_typeIjLj3EESA_,comdat
	.globl	_ZL13mul_mat_f_idsI7__half2Li32ELi11ELi5EEvPKT_PKfPKiS7_S7_Pfiiiiiiiiiiiiii15HIP_vector_typeIjLj3EESA_ ; -- Begin function _ZL13mul_mat_f_idsI7__half2Li32ELi11ELi5EEvPKT_PKfPKiS7_S7_Pfiiiiiiiiiiiiii15HIP_vector_typeIjLj3EESA_
	.p2align	8
	.type	_ZL13mul_mat_f_idsI7__half2Li32ELi11ELi5EEvPKT_PKfPKiS7_S7_Pfiiiiiiiiiiiiii15HIP_vector_typeIjLj3EESA_,@function
_ZL13mul_mat_f_idsI7__half2Li32ELi11ELi5EEvPKT_PKfPKiS7_S7_Pfiiiiiiiiiiiiii15HIP_vector_typeIjLj3EESA_: ; @_ZL13mul_mat_f_idsI7__half2Li32ELi11ELi5EEvPKT_PKfPKiS7_S7_Pfiiiiiiiiiiiiii15HIP_vector_typeIjLj3EESA_
; %bb.0:
	s_load_b64 s[4:5], s[0:1], 0x20
	s_mov_b32 s2, s15
	s_ashr_i32 s15, s14, 31
	s_delay_alu instid0(SALU_CYCLE_1)
	s_lshl_b64 s[6:7], s[14:15], 2
	s_waitcnt lgkmcnt(0)
	s_add_u32 s4, s4, s6
	s_addc_u32 s5, s5, s7
	s_load_b64 s[30:31], s[4:5], 0x0
	s_waitcnt lgkmcnt(0)
	s_sub_i32 s33, s31, s30
	s_delay_alu instid0(SALU_CYCLE_1) | instskip(NEXT) | instid1(SALU_CYCLE_1)
	s_add_i32 s3, s33, 10
	s_mul_hi_i32 s3, s3, 0x2e8ba2e9
	s_delay_alu instid0(SALU_CYCLE_1) | instskip(SKIP_1) | instid1(SALU_CYCLE_1)
	s_lshr_b32 s4, s3, 31
	s_ashr_i32 s3, s3, 1
	s_add_i32 s3, s3, s4
	s_delay_alu instid0(SALU_CYCLE_1)
	s_cmp_ge_i32 s2, s3
	s_cbranch_scc1 .LBB39_50
; %bb.1:
	s_clause 0x4
	s_load_b128 s[8:11], s[0:1], 0x30
	s_load_b64 s[24:25], s[0:1], 0x40
	s_load_b128 s[4:7], s[0:1], 0x4c
	s_load_b128 s[16:19], s[0:1], 0x68
	s_load_b64 s[26:27], s[0:1], 0x78
	v_bfe_u32 v105, v0, 10, 10
	v_and_b32_e32 v106, 0x3ff, v0
	s_ashr_i32 s31, s30, 31
	s_waitcnt lgkmcnt(0)
	s_mov_b32 s7, exec_lo
                                        ; implicit-def: $sgpr3
	v_lshlrev_b32_e32 v107, 5, v105
	v_and_b32_e32 v108, 15, v106
	s_delay_alu instid0(VALU_DEP_2) | instskip(NEXT) | instid1(VALU_DEP_1)
	v_add_nc_u32_e32 v80, v107, v106
	v_cmpx_le_i32_e64 s8, v80
	s_xor_b32 s7, exec_lo, s7
; %bb.2:
	v_and_b32_e32 v108, 15, v106
	s_mov_b32 s3, 0
                                        ; implicit-def: $vgpr80
; %bb.3:
	s_or_saveexec_b32 s36, s7
	s_clause 0x1
	s_load_b64 s[34:35], s[0:1], 0x18
	s_load_b64 s[28:29], s[0:1], 0x28
	v_dual_mov_b32 v7, s3 :: v_dual_mov_b32 v6, s3
	v_dual_mov_b32 v5, s3 :: v_dual_mov_b32 v4, s3
	;; [unrolled: 1-line block ×8, first 2 shown]
	s_lshl_b32 s7, s13, 5
	s_mul_i32 s2, s2, 11
	s_xor_b32 exec_lo, exec_lo, s36
	s_cbranch_execz .LBB39_40
; %bb.4:
	s_clause 0x1
	s_load_b128 s[20:23], s[0:1], 0x0
	s_load_b64 s[12:13], s[0:1], 0x10
	s_mul_i32 s0, s7, s11
	s_mul_i32 s14, s14, s4
	s_ashr_i32 s1, s0, 31
	s_ashr_i32 s15, s14, 31
	s_lshl_b64 s[0:1], s[0:1], 2
	s_lshl_b64 s[14:15], s[14:15], 2
	v_dual_mov_b32 v8, 0 :: v_dual_lshlrev_b32 v3, 7, v105
	s_add_u32 s0, s14, s0
	s_addc_u32 s47, s15, s1
	v_mad_u32_u24 v0, 0x900, v105, 0
	v_dual_mov_b32 v110, 0 :: v_dual_lshlrev_b32 v1, 2, v106
	v_mul_u32_u24_e32 v2, 0x90, v108
	s_mov_b32 s41, 0
	s_mul_i32 s45, s11, 3
	s_delay_alu instid0(VALU_DEP_2)
	v_dual_mov_b32 v10, v110 :: v_dual_add_nc_u32 v109, v0, v1
	s_waitcnt lgkmcnt(0)
	s_add_u32 s1, s0, s20
	s_addc_u32 s4, s47, s21
	s_lshl_b64 s[14:15], s[30:31], 2
	v_add_co_u32 v3, s0, s0, v3
	s_add_u32 s14, s12, s14
	s_addc_u32 s15, s13, s15
	s_cmp_lt_i32 s2, s33
	v_add_co_ci_u32_e64 v4, null, s47, 0, s0
	s_cselect_b32 s37, -1, 0
	s_ashr_i32 s3, s2, 31
	v_add_co_u32 v1, vcc_lo, v3, v1
	s_lshl_b64 s[12:13], s[2:3], 2
	v_add_co_ci_u32_e32 v3, vcc_lo, 0, v4, vcc_lo
	s_add_u32 s12, s14, s12
	s_addc_u32 s13, s15, s13
	s_add_i32 s3, s2, 1
	v_add_co_u32 v81, vcc_lo, s20, v1
	s_cmp_lt_i32 s3, s33
	v_add_co_ci_u32_e32 v82, vcc_lo, s21, v3, vcc_lo
	s_cselect_b32 s3, -1, 0
	s_add_i32 s14, s2, 2
	v_dual_mov_b32 v12, v110 :: v_dual_add_nc_u32 v111, v0, v2
	s_cmp_lt_i32 s14, s33
	v_dual_mov_b32 v9, v110 :: v_dual_mov_b32 v0, 0
	s_cselect_b32 s38, -1, 0
	s_add_i32 s14, s2, 3
	v_mov_b32_e32 v11, v110
	s_cmp_lt_i32 s14, s33
	v_mov_b32_e32 v13, v110
	s_cselect_b32 s39, -1, 0
	s_add_i32 s14, s2, 4
	v_mov_b32_e32 v14, v110
	s_cmp_lt_i32 s14, s33
	v_mov_b32_e32 v15, v110
	;; [unrolled: 5-line block ×5, first 2 shown]
	s_cselect_b32 s44, -1, 0
	s_add_i32 s15, s2, 8
	v_mov_b32_e32 v7, v110
	s_cmp_lt_i32 s15, s33
	s_mov_b32 s14, s11
	s_cselect_b32 s46, -1, 0
	s_add_i32 s15, s2, 9
	s_mul_i32 s49, s11, 5
	s_cmp_lt_i32 s15, s33
	s_mul_i32 s50, s11, 6
	s_cselect_b32 s47, -1, 0
	s_add_i32 s0, s2, 10
	s_mul_i32 s51, s11, 7
	s_cmp_lt_i32 s0, s33
	s_mul_i32 s53, s11, 9
	s_cselect_b32 s20, -1, 0
	s_ashr_i32 s15, s11, 31
	s_lshl_b32 s21, s11, 1
	s_lshl_b32 s48, s11, 2
	s_lshl_b64 s[14:15], s[14:15], 2
	s_lshl_b32 s52, s11, 3
	s_mul_i32 s54, s11, 10
	s_mul_i32 s55, s11, 11
	;; [unrolled: 1-line block ×6, first 2 shown]
	s_lshl_b32 s60, s11, 4
	s_mul_i32 s61, s11, 17
	s_mul_i32 s62, s11, 18
	;; [unrolled: 1-line block ×15, first 2 shown]
	s_branch .LBB39_6
.LBB39_5:                               ;   in Loop: Header=BB39_6 Depth=1
	s_waitcnt vmcnt(0)
	v_cvt_f16_f32_e32 v83, v83
	v_cvt_f16_f32_e32 v84, v84
	;; [unrolled: 1-line block ×8, first 2 shown]
	v_pack_b32_f16 v83, v83, v84
	v_pack_b32_f16 v84, v87, v88
	v_cvt_f16_f32_e32 v87, v89
	v_cvt_f16_f32_e32 v88, v90
	v_pack_b32_f16 v85, v85, v86
	v_pack_b32_f16 v86, v91, v92
	v_cvt_f16_f32_e32 v89, v95
	v_cvt_f16_f32_e32 v90, v96
	;; [unrolled: 1-line block ×4, first 2 shown]
	ds_store_2addr_b32 v109, v83, v84 offset1:36
	ds_store_2addr_b32 v109, v85, v86 offset0:72 offset1:108
	v_pack_b32_f16 v83, v87, v88
	v_cvt_f16_f32_e32 v86, v99
	v_cvt_f16_f32_e32 v87, v100
	v_pack_b32_f16 v84, v89, v90
	v_pack_b32_f16 v85, v91, v92
	v_cvt_f16_f32_e32 v88, v97
	v_cvt_f16_f32_e32 v89, v98
	;; [unrolled: 1-line block ×6, first 2 shown]
	v_pack_b32_f16 v86, v86, v87
	v_pack_b32_f16 v87, v88, v89
	;; [unrolled: 1-line block ×3, first 2 shown]
	v_add_nc_u32_e32 v89, 0x400, v109
	v_pack_b32_f16 v90, v92, v93
	ds_store_2addr_b32 v109, v83, v84 offset0:144 offset1:180
	v_add_nc_u32_e32 v83, 0x600, v109
	ds_store_2addr_b32 v109, v85, v86 offset0:216 offset1:252
	ds_store_2addr_b32 v89, v87, v88 offset0:32 offset1:68
	ds_store_2addr_b32 v89, v90, v110 offset0:104 offset1:140
	ds_store_2addr_b32 v89, v110, v110 offset0:176 offset1:212
	ds_store_2addr_b32 v83, v110, v110 offset0:120 offset1:156
	ds_load_b128 v[83:86], v111
	ds_load_b128 v[87:90], v111 offset:16
	ds_load_b128 v[91:94], v111 offset:32
	;; [unrolled: 1-line block ×5, first 2 shown]
	v_add_nc_u32_e32 v80, 0xa0, v80
	v_add_co_u32 v81, s0, 0x280, v81
	s_delay_alu instid0(VALU_DEP_1) | instskip(NEXT) | instid1(VALU_DEP_3)
	v_add_co_ci_u32_e64 v82, s0, 0, v82, s0
	v_cmp_le_i32_e32 vcc_lo, s8, v80
	s_or_b32 s41, vcc_lo, s41
	s_waitcnt lgkmcnt(4)
	v_wmma_f32_16x16x16_f16 v[8:15], v[48:55], v[83:90], v[8:15]
	ds_load_b128 v[48:51], v111 offset:96
	ds_load_b128 v[52:55], v111 offset:112
	v_wmma_f32_16x16x16_f16 v[0:7], v[72:79], v[83:90], v[0:7]
	s_waitcnt lgkmcnt(4)
	v_wmma_f32_16x16x16_f16 v[8:15], v[32:39], v[91:98], v[8:15]
	s_delay_alu instid0(VALU_DEP_2) | instskip(SKIP_1) | instid1(VALU_DEP_2)
	v_wmma_f32_16x16x16_f16 v[0:7], v[64:71], v[91:98], v[0:7]
	s_waitcnt lgkmcnt(2)
	v_wmma_f32_16x16x16_f16 v[8:15], v[24:31], v[112:119], v[8:15]
	s_delay_alu instid0(VALU_DEP_2) | instskip(SKIP_1) | instid1(VALU_DEP_2)
	v_wmma_f32_16x16x16_f16 v[0:7], v[56:63], v[112:119], v[0:7]
	s_waitcnt lgkmcnt(0)
	v_wmma_f32_16x16x16_f16 v[8:15], v[16:23], v[48:55], v[8:15]
	s_delay_alu instid0(VALU_DEP_2)
	v_wmma_f32_16x16x16_f16 v[0:7], v[40:47], v[48:55], v[0:7]
	s_and_not1_b32 exec_lo, exec_lo, s41
	s_cbranch_execz .LBB39_39
.LBB39_6:                               ; =>This Inner Loop Header: Depth=1
	v_dual_mov_b32 v83, 0 :: v_dual_add_nc_u32 v16, s21, v80
	v_add_nc_u32_e32 v22, s48, v80
	v_add_nc_u32_e32 v18, s45, v80
	v_add_co_u32 v20, vcc_lo, v81, s14
	s_delay_alu instid0(VALU_DEP_4)
	v_ashrrev_i32_e32 v17, 31, v16
	v_add_co_ci_u32_e32 v21, vcc_lo, s15, v82, vcc_lo
	v_ashrrev_i32_e32 v23, 31, v22
	v_ashrrev_i32_e32 v19, 31, v18
	v_add_nc_u32_e32 v24, s49, v80
	v_lshlrev_b64 v[16:17], 2, v[16:17]
	s_clause 0x1
	global_load_b32 v38, v[81:82], off
	global_load_b32 v39, v[20:21], off
	v_lshlrev_b64 v[20:21], 2, v[22:23]
	v_add_nc_u32_e32 v22, s50, v80
	v_lshlrev_b64 v[18:19], 2, v[18:19]
	v_ashrrev_i32_e32 v25, 31, v24
	v_add_nc_u32_e32 v26, s51, v80
	v_add_co_u32 v16, vcc_lo, s1, v16
	v_ashrrev_i32_e32 v23, 31, v22
	v_add_co_ci_u32_e32 v17, vcc_lo, s4, v17, vcc_lo
	v_add_nc_u32_e32 v28, s52, v80
	v_add_co_u32 v18, vcc_lo, s1, v18
	v_lshlrev_b64 v[24:25], 2, v[24:25]
	v_ashrrev_i32_e32 v27, 31, v26
	v_add_co_ci_u32_e32 v19, vcc_lo, s4, v19, vcc_lo
	v_add_nc_u32_e32 v30, s53, v80
	v_add_co_u32 v20, vcc_lo, s1, v20
	v_lshlrev_b64 v[22:23], 2, v[22:23]
	v_ashrrev_i32_e32 v29, 31, v28
	v_add_co_ci_u32_e32 v21, vcc_lo, s4, v21, vcc_lo
	v_add_co_u32 v24, vcc_lo, s1, v24
	v_lshlrev_b64 v[26:27], 2, v[26:27]
	v_ashrrev_i32_e32 v31, 31, v30
	v_add_co_ci_u32_e32 v25, vcc_lo, s4, v25, vcc_lo
	v_add_co_u32 v22, vcc_lo, s1, v22
	v_lshlrev_b64 v[28:29], 2, v[28:29]
	v_add_co_ci_u32_e32 v23, vcc_lo, s4, v23, vcc_lo
	v_add_nc_u32_e32 v32, s54, v80
	v_add_co_u32 v26, vcc_lo, s1, v26
	v_lshlrev_b64 v[30:31], 2, v[30:31]
	v_add_co_ci_u32_e32 v27, vcc_lo, s4, v27, vcc_lo
	v_add_nc_u32_e32 v34, s55, v80
	v_add_co_u32 v28, vcc_lo, s1, v28
	v_ashrrev_i32_e32 v33, 31, v32
	v_add_co_ci_u32_e32 v29, vcc_lo, s4, v29, vcc_lo
	v_add_nc_u32_e32 v36, s56, v80
	v_add_co_u32 v30, vcc_lo, s1, v30
	v_ashrrev_i32_e32 v35, 31, v34
	v_add_co_ci_u32_e32 v31, vcc_lo, s4, v31, vcc_lo
	s_clause 0x7
	global_load_b32 v40, v[16:17], off
	global_load_b32 v41, v[18:19], off
	global_load_b32 v42, v[20:21], off
	global_load_b32 v43, v[24:25], off
	global_load_b32 v44, v[22:23], off
	global_load_b32 v45, v[26:27], off
	global_load_b32 v46, v[28:29], off
	global_load_b32 v47, v[30:31], off
	v_add_nc_u32_e32 v18, s57, v80
	v_lshlrev_b64 v[32:33], 2, v[32:33]
	v_ashrrev_i32_e32 v37, 31, v36
	v_add_nc_u32_e32 v24, s58, v80
	v_lshlrev_b64 v[16:17], 2, v[34:35]
	v_ashrrev_i32_e32 v19, 31, v18
	v_add_nc_u32_e32 v26, s59, v80
	v_add_co_u32 v20, vcc_lo, s1, v32
	v_lshlrev_b64 v[22:23], 2, v[36:37]
	v_ashrrev_i32_e32 v25, 31, v24
	v_add_co_ci_u32_e32 v21, vcc_lo, s4, v33, vcc_lo
	v_add_nc_u32_e32 v28, s60, v80
	v_add_co_u32 v16, vcc_lo, s1, v16
	v_lshlrev_b64 v[18:19], 2, v[18:19]
	v_ashrrev_i32_e32 v27, 31, v26
	v_add_co_ci_u32_e32 v17, vcc_lo, s4, v17, vcc_lo
	v_add_nc_u32_e32 v30, s61, v80
	v_add_co_u32 v22, vcc_lo, s1, v22
	v_lshlrev_b64 v[24:25], 2, v[24:25]
	v_ashrrev_i32_e32 v29, 31, v28
	v_add_co_ci_u32_e32 v23, vcc_lo, s4, v23, vcc_lo
	v_add_co_u32 v18, vcc_lo, s1, v18
	v_lshlrev_b64 v[26:27], 2, v[26:27]
	v_ashrrev_i32_e32 v31, 31, v30
	v_add_co_ci_u32_e32 v19, vcc_lo, s4, v19, vcc_lo
	v_add_co_u32 v24, vcc_lo, s1, v24
	v_lshlrev_b64 v[28:29], 2, v[28:29]
	v_add_co_ci_u32_e32 v25, vcc_lo, s4, v25, vcc_lo
	v_add_nc_u32_e32 v32, s62, v80
	v_add_co_u32 v26, vcc_lo, s1, v26
	v_lshlrev_b64 v[30:31], 2, v[30:31]
	v_add_co_ci_u32_e32 v27, vcc_lo, s4, v27, vcc_lo
	v_add_nc_u32_e32 v34, s63, v80
	v_add_co_u32 v28, vcc_lo, s1, v28
	v_ashrrev_i32_e32 v33, 31, v32
	v_add_co_ci_u32_e32 v29, vcc_lo, s4, v29, vcc_lo
	v_add_nc_u32_e32 v36, s64, v80
	v_add_co_u32 v30, vcc_lo, s1, v30
	v_ashrrev_i32_e32 v35, 31, v34
	v_add_co_ci_u32_e32 v31, vcc_lo, s4, v31, vcc_lo
	s_clause 0x7
	global_load_b32 v48, v[20:21], off
	global_load_b32 v49, v[16:17], off
	global_load_b32 v50, v[22:23], off
	global_load_b32 v51, v[18:19], off
	global_load_b32 v52, v[24:25], off
	global_load_b32 v53, v[26:27], off
	global_load_b32 v56, v[28:29], off
	global_load_b32 v57, v[30:31], off
	v_add_nc_u32_e32 v18, s65, v80
	v_lshlrev_b64 v[32:33], 2, v[32:33]
	v_ashrrev_i32_e32 v37, 31, v36
	v_add_nc_u32_e32 v24, s66, v80
	v_lshlrev_b64 v[16:17], 2, v[34:35]
	v_ashrrev_i32_e32 v19, 31, v18
	v_add_nc_u32_e32 v26, s67, v80
	v_add_co_u32 v20, vcc_lo, s1, v32
	v_lshlrev_b64 v[22:23], 2, v[36:37]
	;; [unrolled: 49-line block ×3, first 2 shown]
	v_ashrrev_i32_e32 v25, 31, v24
	v_add_co_ci_u32_e32 v21, vcc_lo, s4, v33, vcc_lo
	v_add_co_u32 v16, vcc_lo, s1, v16
	v_lshlrev_b64 v[18:19], 2, v[18:19]
	v_ashrrev_i32_e32 v27, 31, v26
	v_add_co_ci_u32_e32 v17, vcc_lo, s4, v17, vcc_lo
	v_add_co_u32 v22, vcc_lo, s1, v22
	v_lshlrev_b64 v[24:25], 2, v[24:25]
	v_add_co_ci_u32_e32 v23, vcc_lo, s4, v23, vcc_lo
	v_add_co_u32 v18, vcc_lo, s1, v18
	v_lshlrev_b64 v[26:27], 2, v[26:27]
	v_add_co_ci_u32_e32 v19, vcc_lo, s4, v19, vcc_lo
	v_add_co_u32 v24, vcc_lo, s1, v24
	v_add_co_ci_u32_e32 v25, vcc_lo, s4, v25, vcc_lo
	s_delay_alu instid0(VALU_DEP_4)
	v_add_co_u32 v26, vcc_lo, s1, v26
	v_add_co_ci_u32_e32 v27, vcc_lo, s4, v27, vcc_lo
	s_clause 0x5
	global_load_b32 v66, v[20:21], off
	global_load_b32 v67, v[16:17], off
	;; [unrolled: 1-line block ×6, first 2 shown]
	v_mov_b32_e32 v84, 0
	s_and_not1_b32 vcc_lo, exec_lo, s37
	s_waitcnt vmcnt(31)
	ds_store_b32 v109, v38
	s_waitcnt vmcnt(30)
	ds_store_b32 v109, v39 offset:144
	s_waitcnt vmcnt(29)
	ds_store_b32 v109, v40 offset:288
	;; [unrolled: 2-line block ×15, first 2 shown]
	ds_load_b128 v[48:51], v111
	ds_load_b128 v[52:55], v111 offset:16
	ds_load_b128 v[32:35], v111 offset:32
	;; [unrolled: 1-line block ×7, first 2 shown]
	s_waitcnt vmcnt(15)
	ds_store_b32 v109, v56
	s_waitcnt vmcnt(14)
	ds_store_b32 v109, v57 offset:144
	s_waitcnt vmcnt(13)
	ds_store_b32 v109, v58 offset:288
	s_waitcnt vmcnt(12)
	ds_store_b32 v109, v59 offset:432
	s_waitcnt vmcnt(11)
	ds_store_b32 v109, v60 offset:576
	s_waitcnt vmcnt(10)
	ds_store_b32 v109, v61 offset:720
	s_waitcnt vmcnt(9)
	ds_store_b32 v109, v62 offset:864
	s_waitcnt vmcnt(8)
	ds_store_b32 v109, v63 offset:1008
	s_waitcnt vmcnt(7)
	ds_store_b32 v109, v64 offset:1152
	s_waitcnt vmcnt(6)
	ds_store_b32 v109, v65 offset:1296
	s_waitcnt vmcnt(5)
	ds_store_b32 v109, v66 offset:1440
	s_waitcnt vmcnt(4)
	ds_store_b32 v109, v67 offset:1584
	s_waitcnt vmcnt(3)
	ds_store_b32 v109, v68 offset:1728
	s_waitcnt vmcnt(2)
	ds_store_b32 v109, v69 offset:1872
	s_waitcnt vmcnt(1)
	ds_store_b32 v109, v70 offset:2016
	s_waitcnt vmcnt(0)
	ds_store_b32 v109, v71 offset:2160
	ds_load_b128 v[72:75], v111
	ds_load_b128 v[76:79], v111 offset:16
	ds_load_b128 v[64:67], v111 offset:32
	;; [unrolled: 1-line block ×7, first 2 shown]
	s_cbranch_vccnz .LBB39_9
; %bb.7:                                ;   in Loop: Header=BB39_6 Depth=1
	s_load_b32 s0, s[12:13], 0x0
	v_dual_mov_b32 v84, 0 :: v_dual_mov_b32 v83, 0
	s_waitcnt lgkmcnt(0)
	s_mul_hi_u32 s75, s0, s16
	s_delay_alu instid0(SALU_CYCLE_1) | instskip(NEXT) | instid1(SALU_CYCLE_1)
	s_add_i32 s75, s0, s75
	s_lshr_b32 s75, s75, s17
	s_delay_alu instid0(SALU_CYCLE_1)
	s_cmp_ge_i32 s75, s9
	s_cbranch_scc1 .LBB39_9
; %bb.8:                                ;   in Loop: Header=BB39_6 Depth=1
	v_mad_u64_u32 v[83:84], null, s75, s24, v[80:81]
	s_mul_i32 s75, s75, s18
	s_delay_alu instid0(SALU_CYCLE_1) | instskip(NEXT) | instid1(SALU_CYCLE_1)
	s_sub_i32 s0, s0, s75
	s_mul_i32 s0, s0, s5
	s_delay_alu instid0(VALU_DEP_1) | instid1(SALU_CYCLE_1)
	v_lshl_add_u32 v83, v83, 1, s0
	s_delay_alu instid0(VALU_DEP_1) | instskip(NEXT) | instid1(VALU_DEP_1)
	v_ashrrev_i32_e32 v84, 31, v83
	v_lshlrev_b64 v[83:84], 2, v[83:84]
	s_delay_alu instid0(VALU_DEP_1) | instskip(NEXT) | instid1(VALU_DEP_2)
	v_add_co_u32 v83, vcc_lo, s22, v83
	v_add_co_ci_u32_e32 v84, vcc_lo, s23, v84, vcc_lo
	global_load_b64 v[83:84], v[83:84], off
.LBB39_9:                               ;   in Loop: Header=BB39_6 Depth=1
	v_dual_mov_b32 v85, 0 :: v_dual_mov_b32 v88, 0
	v_mov_b32_e32 v87, 0
	s_and_not1_b32 vcc_lo, exec_lo, s3
	s_cbranch_vccnz .LBB39_12
; %bb.10:                               ;   in Loop: Header=BB39_6 Depth=1
	s_load_b32 s0, s[12:13], 0x4
	v_dual_mov_b32 v88, 0 :: v_dual_mov_b32 v87, 0
	s_waitcnt lgkmcnt(0)
	s_mul_hi_u32 s75, s0, s16
	s_delay_alu instid0(SALU_CYCLE_1) | instskip(NEXT) | instid1(SALU_CYCLE_1)
	s_add_i32 s75, s0, s75
	s_lshr_b32 s75, s75, s17
	s_delay_alu instid0(SALU_CYCLE_1)
	s_cmp_ge_i32 s75, s9
	s_cbranch_scc1 .LBB39_12
; %bb.11:                               ;   in Loop: Header=BB39_6 Depth=1
	v_mad_u64_u32 v[86:87], null, s75, s24, v[80:81]
	s_mul_i32 s75, s75, s18
	s_delay_alu instid0(SALU_CYCLE_1) | instskip(NEXT) | instid1(SALU_CYCLE_1)
	s_sub_i32 s0, s0, s75
	s_mul_i32 s0, s0, s5
	s_delay_alu instid0(VALU_DEP_1) | instid1(SALU_CYCLE_1)
	v_lshl_add_u32 v86, v86, 1, s0
	s_delay_alu instid0(VALU_DEP_1) | instskip(NEXT) | instid1(VALU_DEP_1)
	v_ashrrev_i32_e32 v87, 31, v86
	v_lshlrev_b64 v[86:87], 2, v[86:87]
	s_delay_alu instid0(VALU_DEP_1) | instskip(NEXT) | instid1(VALU_DEP_2)
	v_add_co_u32 v86, vcc_lo, s22, v86
	v_add_co_ci_u32_e32 v87, vcc_lo, s23, v87, vcc_lo
	global_load_b64 v[87:88], v[86:87], off
.LBB39_12:                              ;   in Loop: Header=BB39_6 Depth=1
	v_mov_b32_e32 v86, 0
	s_and_not1_b32 vcc_lo, exec_lo, s38
	s_cbranch_vccnz .LBB39_15
; %bb.13:                               ;   in Loop: Header=BB39_6 Depth=1
	s_load_b32 s0, s[12:13], 0x8
	v_dual_mov_b32 v86, 0 :: v_dual_mov_b32 v85, 0
	s_waitcnt lgkmcnt(0)
	s_mul_hi_u32 s75, s0, s16
	s_delay_alu instid0(SALU_CYCLE_1) | instskip(NEXT) | instid1(SALU_CYCLE_1)
	s_add_i32 s75, s0, s75
	s_lshr_b32 s75, s75, s17
	s_delay_alu instid0(SALU_CYCLE_1)
	s_cmp_ge_i32 s75, s9
	s_cbranch_scc1 .LBB39_15
; %bb.14:                               ;   in Loop: Header=BB39_6 Depth=1
	v_mad_u64_u32 v[85:86], null, s75, s24, v[80:81]
	s_mul_i32 s75, s75, s18
	s_delay_alu instid0(SALU_CYCLE_1) | instskip(NEXT) | instid1(SALU_CYCLE_1)
	s_sub_i32 s0, s0, s75
	s_mul_i32 s0, s0, s5
	s_delay_alu instid0(VALU_DEP_1) | instid1(SALU_CYCLE_1)
	v_lshl_add_u32 v85, v85, 1, s0
	s_delay_alu instid0(VALU_DEP_1) | instskip(NEXT) | instid1(VALU_DEP_1)
	v_ashrrev_i32_e32 v86, 31, v85
	v_lshlrev_b64 v[85:86], 2, v[85:86]
	s_delay_alu instid0(VALU_DEP_1) | instskip(NEXT) | instid1(VALU_DEP_2)
	v_add_co_u32 v85, vcc_lo, s22, v85
	v_add_co_ci_u32_e32 v86, vcc_lo, s23, v86, vcc_lo
	global_load_b64 v[85:86], v[85:86], off
.LBB39_15:                              ;   in Loop: Header=BB39_6 Depth=1
	v_dual_mov_b32 v89, 0 :: v_dual_mov_b32 v92, 0
	v_mov_b32_e32 v91, 0
	s_and_not1_b32 vcc_lo, exec_lo, s39
	s_cbranch_vccnz .LBB39_18
; %bb.16:                               ;   in Loop: Header=BB39_6 Depth=1
	s_load_b32 s0, s[12:13], 0xc
	v_dual_mov_b32 v92, 0 :: v_dual_mov_b32 v91, 0
	s_waitcnt lgkmcnt(0)
	s_mul_hi_u32 s75, s0, s16
	s_delay_alu instid0(SALU_CYCLE_1) | instskip(NEXT) | instid1(SALU_CYCLE_1)
	s_add_i32 s75, s0, s75
	s_lshr_b32 s75, s75, s17
	s_delay_alu instid0(SALU_CYCLE_1)
	s_cmp_ge_i32 s75, s9
	s_cbranch_scc1 .LBB39_18
; %bb.17:                               ;   in Loop: Header=BB39_6 Depth=1
	v_mad_u64_u32 v[90:91], null, s75, s24, v[80:81]
	s_mul_i32 s75, s75, s18
	s_delay_alu instid0(SALU_CYCLE_1) | instskip(NEXT) | instid1(SALU_CYCLE_1)
	s_sub_i32 s0, s0, s75
	s_mul_i32 s0, s0, s5
	s_delay_alu instid0(VALU_DEP_1) | instid1(SALU_CYCLE_1)
	v_lshl_add_u32 v90, v90, 1, s0
	s_delay_alu instid0(VALU_DEP_1) | instskip(NEXT) | instid1(VALU_DEP_1)
	v_ashrrev_i32_e32 v91, 31, v90
	v_lshlrev_b64 v[90:91], 2, v[90:91]
	s_delay_alu instid0(VALU_DEP_1) | instskip(NEXT) | instid1(VALU_DEP_2)
	v_add_co_u32 v90, vcc_lo, s22, v90
	v_add_co_ci_u32_e32 v91, vcc_lo, s23, v91, vcc_lo
	global_load_b64 v[91:92], v[90:91], off
.LBB39_18:                              ;   in Loop: Header=BB39_6 Depth=1
	v_mov_b32_e32 v90, 0
	s_and_not1_b32 vcc_lo, exec_lo, s40
	s_cbranch_vccnz .LBB39_21
; %bb.19:                               ;   in Loop: Header=BB39_6 Depth=1
	s_load_b32 s0, s[12:13], 0x10
	v_dual_mov_b32 v90, 0 :: v_dual_mov_b32 v89, 0
	s_waitcnt lgkmcnt(0)
	s_mul_hi_u32 s75, s0, s16
	s_delay_alu instid0(SALU_CYCLE_1) | instskip(NEXT) | instid1(SALU_CYCLE_1)
	s_add_i32 s75, s0, s75
	s_lshr_b32 s75, s75, s17
	s_delay_alu instid0(SALU_CYCLE_1)
	s_cmp_ge_i32 s75, s9
	s_cbranch_scc1 .LBB39_21
; %bb.20:                               ;   in Loop: Header=BB39_6 Depth=1
	v_mad_u64_u32 v[89:90], null, s75, s24, v[80:81]
	s_mul_i32 s75, s75, s18
	s_delay_alu instid0(SALU_CYCLE_1) | instskip(NEXT) | instid1(SALU_CYCLE_1)
	s_sub_i32 s0, s0, s75
	s_mul_i32 s0, s0, s5
	s_delay_alu instid0(VALU_DEP_1) | instid1(SALU_CYCLE_1)
	v_lshl_add_u32 v89, v89, 1, s0
	s_delay_alu instid0(VALU_DEP_1) | instskip(NEXT) | instid1(VALU_DEP_1)
	v_ashrrev_i32_e32 v90, 31, v89
	v_lshlrev_b64 v[89:90], 2, v[89:90]
	s_delay_alu instid0(VALU_DEP_1) | instskip(NEXT) | instid1(VALU_DEP_2)
	v_add_co_u32 v89, vcc_lo, s22, v89
	v_add_co_ci_u32_e32 v90, vcc_lo, s23, v90, vcc_lo
	global_load_b64 v[89:90], v[89:90], off
.LBB39_21:                              ;   in Loop: Header=BB39_6 Depth=1
	;; [unrolled: 61-line block ×4, first 2 shown]
	v_dual_mov_b32 v101, 0 :: v_dual_mov_b32 v104, 0
	v_mov_b32_e32 v103, 0
	s_and_not1_b32 vcc_lo, exec_lo, s47
	s_cbranch_vccnz .LBB39_36
; %bb.34:                               ;   in Loop: Header=BB39_6 Depth=1
	s_load_b32 s0, s[12:13], 0x24
	v_dual_mov_b32 v104, 0 :: v_dual_mov_b32 v103, 0
	s_waitcnt lgkmcnt(0)
	s_mul_hi_u32 s75, s0, s16
	s_delay_alu instid0(SALU_CYCLE_1) | instskip(NEXT) | instid1(SALU_CYCLE_1)
	s_add_i32 s75, s0, s75
	s_lshr_b32 s75, s75, s17
	s_delay_alu instid0(SALU_CYCLE_1)
	s_cmp_ge_i32 s75, s9
	s_cbranch_scc1 .LBB39_36
; %bb.35:                               ;   in Loop: Header=BB39_6 Depth=1
	v_mad_u64_u32 v[102:103], null, s75, s24, v[80:81]
	s_mul_i32 s75, s75, s18
	s_delay_alu instid0(SALU_CYCLE_1) | instskip(NEXT) | instid1(SALU_CYCLE_1)
	s_sub_i32 s0, s0, s75
	s_mul_i32 s0, s0, s5
	s_delay_alu instid0(VALU_DEP_1) | instid1(SALU_CYCLE_1)
	v_lshl_add_u32 v102, v102, 1, s0
	s_delay_alu instid0(VALU_DEP_1) | instskip(NEXT) | instid1(VALU_DEP_1)
	v_ashrrev_i32_e32 v103, 31, v102
	v_lshlrev_b64 v[102:103], 2, v[102:103]
	s_delay_alu instid0(VALU_DEP_1) | instskip(NEXT) | instid1(VALU_DEP_2)
	v_add_co_u32 v102, vcc_lo, s22, v102
	v_add_co_ci_u32_e32 v103, vcc_lo, s23, v103, vcc_lo
	global_load_b64 v[103:104], v[102:103], off
.LBB39_36:                              ;   in Loop: Header=BB39_6 Depth=1
	v_mov_b32_e32 v102, 0
	s_and_not1_b32 vcc_lo, exec_lo, s20
	s_cbranch_vccnz .LBB39_5
; %bb.37:                               ;   in Loop: Header=BB39_6 Depth=1
	s_load_b32 s0, s[12:13], 0x28
	v_dual_mov_b32 v102, 0 :: v_dual_mov_b32 v101, 0
	s_waitcnt lgkmcnt(0)
	s_mul_hi_u32 s75, s0, s16
	s_delay_alu instid0(SALU_CYCLE_1) | instskip(NEXT) | instid1(SALU_CYCLE_1)
	s_add_i32 s75, s0, s75
	s_lshr_b32 s75, s75, s17
	s_delay_alu instid0(SALU_CYCLE_1)
	s_cmp_ge_i32 s75, s9
	s_cbranch_scc1 .LBB39_5
; %bb.38:                               ;   in Loop: Header=BB39_6 Depth=1
	v_mad_u64_u32 v[101:102], null, s75, s24, v[80:81]
	s_mul_i32 s75, s75, s18
	s_delay_alu instid0(SALU_CYCLE_1) | instskip(NEXT) | instid1(SALU_CYCLE_1)
	s_sub_i32 s0, s0, s75
	s_mul_i32 s0, s0, s5
	s_delay_alu instid0(VALU_DEP_1) | instid1(SALU_CYCLE_1)
	v_lshl_add_u32 v101, v101, 1, s0
	s_delay_alu instid0(VALU_DEP_1) | instskip(NEXT) | instid1(VALU_DEP_1)
	v_ashrrev_i32_e32 v102, 31, v101
	v_lshlrev_b64 v[101:102], 2, v[101:102]
	s_delay_alu instid0(VALU_DEP_1) | instskip(NEXT) | instid1(VALU_DEP_2)
	v_add_co_u32 v101, vcc_lo, s22, v101
	v_add_co_ci_u32_e32 v102, vcc_lo, s23, v102, vcc_lo
	global_load_b64 v[101:102], v[101:102], off
	s_branch .LBB39_5
.LBB39_39:
	s_or_b32 exec_lo, exec_lo, s41
.LBB39_40:
	s_delay_alu instid0(SALU_CYCLE_1)
	s_or_b32 exec_lo, exec_lo, s36
	v_lshrrev_b32_e32 v16, 2, v106
	v_mad_u32_u24 v17, 0x290, v108, 0
	v_lshlrev_b32_e32 v18, 2, v107
	s_waitcnt lgkmcnt(0)
	s_barrier
	v_and_b32_e32 v16, 0xfc, v16
	buffer_gl0_inv
	s_lshl_b64 s[4:5], s[30:31], 2
	v_cmp_gt_u32_e64 s0, 11, v105
	s_add_u32 s1, s34, s4
	v_add3_u32 v16, v17, v16, v18
	s_addc_u32 s4, s35, s5
	s_cmp_gt_i32 s10, 0
	ds_store_2addr_b32 v16, v8, v9 offset1:2
	ds_store_2addr_b32 v16, v10, v11 offset0:4 offset1:6
	ds_store_2addr_b32 v16, v12, v13 offset0:8 offset1:10
	ds_store_2addr_b32 v16, v14, v15 offset0:12 offset1:14
	ds_store_2addr_b32 v16, v0, v1 offset0:16 offset1:18
	ds_store_2addr_b32 v16, v2, v3 offset0:20 offset1:22
	ds_store_2addr_b32 v16, v4, v5 offset0:24 offset1:26
	v_add_nc_u32_e32 v0, s2, v105
	s_cselect_b32 s3, -1, 0
	v_lshl_add_u32 v3, v106, 2, 0
	v_add_nc_u32_e32 v2, s7, v106
	v_mul_u32_u24_e32 v4, 0x290, v105
	v_cmp_gt_i32_e32 vcc_lo, s33, v0
	ds_store_2addr_b32 v16, v6, v7 offset0:28 offset1:30
	s_waitcnt lgkmcnt(0)
	s_barrier
	buffer_gl0_inv
	s_and_b32 s5, s3, vcc_lo
	s_delay_alu instid0(SALU_CYCLE_1) | instskip(NEXT) | instid1(SALU_CYCLE_1)
	s_and_b32 s5, s0, s5
	s_and_saveexec_b32 s0, s5
	s_cbranch_execz .LBB39_43
; %bb.41:
	v_ashrrev_i32_e32 v1, 31, v0
	s_delay_alu instid0(VALU_DEP_1) | instskip(NEXT) | instid1(VALU_DEP_1)
	v_lshlrev_b64 v[5:6], 2, v[0:1]
	v_add_co_u32 v5, vcc_lo, s1, v5
	s_delay_alu instid0(VALU_DEP_2) | instskip(SKIP_3) | instid1(VALU_DEP_1)
	v_add_co_ci_u32_e32 v6, vcc_lo, s4, v6, vcc_lo
	global_load_b32 v5, v[5:6], off
	s_waitcnt vmcnt(0)
	v_mul_hi_u32 v1, v5, s19
	v_add_nc_u32_e32 v1, v5, v1
	s_delay_alu instid0(VALU_DEP_1) | instskip(NEXT) | instid1(VALU_DEP_1)
	v_lshrrev_b32_e32 v1, s26, v1
	v_cmp_gt_i32_e32 vcc_lo, s9, v1
	s_and_b32 exec_lo, exec_lo, vcc_lo
	s_cbranch_execz .LBB39_43
; %bb.42:
	v_add_nc_u32_e32 v10, v3, v4
	v_mul_lo_u32 v11, v1, s27
	v_mul_lo_u32 v1, v1, s25
	ds_load_2addr_b32 v[6:7], v10 offset1:32
	v_sub_nc_u32_e32 v5, v5, v11
	s_delay_alu instid0(VALU_DEP_1) | instskip(NEXT) | instid1(VALU_DEP_1)
	v_mul_lo_u32 v5, v5, s6
	v_add3_u32 v5, v2, v1, v5
	s_waitcnt lgkmcnt(0)
	v_add_f32_e32 v6, 0, v6
	s_delay_alu instid0(VALU_DEP_1) | instskip(SKIP_4) | instid1(VALU_DEP_1)
	v_add_f32_e32 v7, v6, v7
	ds_load_2addr_b32 v[8:9], v10 offset0:64 offset1:96
	ds_load_b32 v10, v10 offset:512
	s_waitcnt lgkmcnt(1)
	v_dual_add_f32 v7, v7, v8 :: v_dual_mov_b32 v6, 0
	v_add_f32_e32 v1, v7, v9
	s_delay_alu instid0(VALU_DEP_2) | instskip(SKIP_1) | instid1(VALU_DEP_2)
	v_lshlrev_b64 v[5:6], 2, v[5:6]
	s_waitcnt lgkmcnt(0)
	v_add_f32_e32 v1, v1, v10
	s_delay_alu instid0(VALU_DEP_2) | instskip(NEXT) | instid1(VALU_DEP_3)
	v_add_co_u32 v5, vcc_lo, s28, v5
	v_add_co_ci_u32_e32 v6, vcc_lo, s29, v6, vcc_lo
	global_store_b32 v[5:6], v1, off
.LBB39_43:
	s_or_b32 exec_lo, exec_lo, s0
	v_add_nc_u32_e32 v0, 5, v0
	v_cmp_gt_u32_e64 s0, 6, v105
	s_delay_alu instid0(VALU_DEP_2)
	v_cmp_gt_i32_e32 vcc_lo, s33, v0
	s_and_b32 s5, s3, vcc_lo
	s_delay_alu instid0(VALU_DEP_2) | instid1(SALU_CYCLE_1)
	s_and_b32 s5, s0, s5
	s_delay_alu instid0(SALU_CYCLE_1)
	s_and_saveexec_b32 s0, s5
	s_cbranch_execz .LBB39_46
; %bb.44:
	s_ashr_i32 s5, s2, 31
	v_add_co_u32 v0, s7, v105, s2
	s_delay_alu instid0(VALU_DEP_1) | instskip(NEXT) | instid1(VALU_DEP_1)
	v_add_co_ci_u32_e64 v1, null, 0, s5, s7
	v_lshlrev_b64 v[0:1], 2, v[0:1]
	s_delay_alu instid0(VALU_DEP_1) | instskip(NEXT) | instid1(VALU_DEP_2)
	v_add_co_u32 v0, vcc_lo, s1, v0
	v_add_co_ci_u32_e32 v1, vcc_lo, s4, v1, vcc_lo
	global_load_b32 v5, v[0:1], off offset:20
	v_mov_b32_e32 v1, 0
	s_waitcnt vmcnt(0)
	v_mul_hi_u32 v0, v5, s19
	s_delay_alu instid0(VALU_DEP_1) | instskip(NEXT) | instid1(VALU_DEP_1)
	v_add_nc_u32_e32 v0, v5, v0
	v_lshrrev_b32_e32 v0, s26, v0
	s_delay_alu instid0(VALU_DEP_1)
	v_cmp_gt_i32_e32 vcc_lo, s9, v0
	s_and_b32 exec_lo, exec_lo, vcc_lo
	s_cbranch_execz .LBB39_46
; %bb.45:
	v_add_nc_u32_e32 v4, v4, v3
	v_mul_lo_u32 v10, v0, s27
	v_mul_lo_u32 v0, v0, s25
	s_delay_alu instid0(VALU_DEP_3) | instskip(NEXT) | instid1(VALU_DEP_3)
	v_add_nc_u32_e32 v8, 0xc00, v4
	v_sub_nc_u32_e32 v5, v5, v10
	ds_load_2addr_b32 v[6:7], v8 offset0:52 offset1:84
	ds_load_2addr_b32 v[8:9], v8 offset0:116 offset1:148
	v_mul_lo_u32 v5, v5, s6
	s_delay_alu instid0(VALU_DEP_1) | instskip(NEXT) | instid1(VALU_DEP_1)
	v_add3_u32 v0, v2, v0, v5
	v_lshlrev_b64 v[0:1], 2, v[0:1]
	s_waitcnt lgkmcnt(1)
	v_add_f32_e32 v6, 0, v6
	s_delay_alu instid0(VALU_DEP_2) | instskip(NEXT) | instid1(VALU_DEP_2)
	v_add_co_u32 v0, vcc_lo, s28, v0
	v_add_f32_e32 v6, v6, v7
	s_delay_alu instid0(VALU_DEP_4) | instskip(SKIP_1) | instid1(VALU_DEP_2)
	v_add_co_ci_u32_e32 v1, vcc_lo, s29, v1, vcc_lo
	s_waitcnt lgkmcnt(0)
	v_add_f32_e32 v6, v6, v8
	s_delay_alu instid0(VALU_DEP_1)
	v_add_f32_e32 v5, v6, v9
	ds_load_b32 v4, v4 offset:3792
	s_waitcnt lgkmcnt(0)
	v_add_f32_e32 v4, v5, v4
	global_store_b32 v[0:1], v4, off
.LBB39_46:
	s_or_b32 exec_lo, exec_lo, s0
	s_delay_alu instid0(SALU_CYCLE_1)
	s_mov_b32 s0, exec_lo
	v_cmpx_eq_u32_e32 0, v105
	s_cbranch_execz .LBB39_50
; %bb.47:
	s_add_i32 s0, s2, 10
	s_delay_alu instid0(SALU_CYCLE_1) | instskip(SKIP_2) | instid1(SALU_CYCLE_1)
	s_cmp_ge_i32 s0, s33
	s_cselect_b32 s0, -1, 0
	s_xor_b32 s3, s3, -1
	s_or_b32 s0, s3, s0
	s_delay_alu instid0(SALU_CYCLE_1)
	s_and_b32 vcc_lo, exec_lo, s0
	s_cbranch_vccnz .LBB39_50
; %bb.48:
	s_ashr_i32 s3, s2, 31
	s_delay_alu instid0(SALU_CYCLE_1) | instskip(NEXT) | instid1(SALU_CYCLE_1)
	s_lshl_b64 s[2:3], s[2:3], 2
	s_add_u32 s0, s1, s2
	s_addc_u32 s1, s4, s3
	s_load_b32 s0, s[0:1], 0x28
	s_waitcnt lgkmcnt(0)
	s_mul_hi_u32 s1, s0, s19
	s_delay_alu instid0(SALU_CYCLE_1) | instskip(NEXT) | instid1(SALU_CYCLE_1)
	s_add_i32 s1, s0, s1
	s_lshr_b32 s1, s1, s26
	s_delay_alu instid0(SALU_CYCLE_1)
	s_cmp_ge_i32 s1, s9
	s_cbranch_scc1 .LBB39_50
; %bb.49:
	v_add_nc_u32_e32 v4, 0x1800, v3
	s_mul_i32 s2, s1, s27
	s_mul_i32 s1, s1, s25
	s_sub_i32 s0, s0, s2
	ds_load_2addr_b32 v[0:1], v4 offset0:104 offset1:136
	ds_load_2addr_b32 v[4:5], v4 offset0:168 offset1:200
	ds_load_b32 v3, v3 offset:7072
	s_mul_i32 s0, s0, s6
	s_waitcnt lgkmcnt(2)
	v_add_f32_e32 v0, 0, v0
	s_delay_alu instid0(VALU_DEP_1) | instskip(SKIP_1) | instid1(VALU_DEP_1)
	v_dual_add_f32 v0, v0, v1 :: v_dual_mov_b32 v1, 0
	s_waitcnt lgkmcnt(1)
	v_add_f32_e32 v4, v0, v4
	v_add3_u32 v0, s0, s1, v2
	s_delay_alu instid0(VALU_DEP_2) | instskip(NEXT) | instid1(VALU_DEP_2)
	v_add_f32_e32 v2, v4, v5
	v_lshlrev_b64 v[0:1], 2, v[0:1]
	s_waitcnt lgkmcnt(0)
	s_delay_alu instid0(VALU_DEP_2) | instskip(NEXT) | instid1(VALU_DEP_2)
	v_add_f32_e32 v2, v2, v3
	v_add_co_u32 v0, vcc_lo, s28, v0
	s_delay_alu instid0(VALU_DEP_3)
	v_add_co_ci_u32_e32 v1, vcc_lo, s29, v1, vcc_lo
	global_store_b32 v[0:1], v2, off
.LBB39_50:
	s_nop 0
	s_sendmsg sendmsg(MSG_DEALLOC_VGPRS)
	s_endpgm
	.section	.rodata,"a",@progbits
	.p2align	6, 0x0
	.amdhsa_kernel _ZL13mul_mat_f_idsI7__half2Li32ELi11ELi5EEvPKT_PKfPKiS7_S7_Pfiiiiiiiiiiiiii15HIP_vector_typeIjLj3EESA_
		.amdhsa_group_segment_fixed_size 0
		.amdhsa_private_segment_fixed_size 0
		.amdhsa_kernarg_size 128
		.amdhsa_user_sgpr_count 13
		.amdhsa_user_sgpr_dispatch_ptr 0
		.amdhsa_user_sgpr_queue_ptr 0
		.amdhsa_user_sgpr_kernarg_segment_ptr 1
		.amdhsa_user_sgpr_dispatch_id 0
		.amdhsa_user_sgpr_private_segment_size 0
		.amdhsa_wavefront_size32 1
		.amdhsa_uses_dynamic_stack 0
		.amdhsa_enable_private_segment 0
		.amdhsa_system_sgpr_workgroup_id_x 1
		.amdhsa_system_sgpr_workgroup_id_y 1
		.amdhsa_system_sgpr_workgroup_id_z 1
		.amdhsa_system_sgpr_workgroup_info 0
		.amdhsa_system_vgpr_workitem_id 1
		.amdhsa_next_free_vgpr 120
		.amdhsa_next_free_sgpr 76
		.amdhsa_reserve_vcc 1
		.amdhsa_float_round_mode_32 0
		.amdhsa_float_round_mode_16_64 0
		.amdhsa_float_denorm_mode_32 3
		.amdhsa_float_denorm_mode_16_64 3
		.amdhsa_dx10_clamp 1
		.amdhsa_ieee_mode 1
		.amdhsa_fp16_overflow 0
		.amdhsa_workgroup_processor_mode 1
		.amdhsa_memory_ordered 1
		.amdhsa_forward_progress 0
		.amdhsa_shared_vgpr_count 0
		.amdhsa_exception_fp_ieee_invalid_op 0
		.amdhsa_exception_fp_denorm_src 0
		.amdhsa_exception_fp_ieee_div_zero 0
		.amdhsa_exception_fp_ieee_overflow 0
		.amdhsa_exception_fp_ieee_underflow 0
		.amdhsa_exception_fp_ieee_inexact 0
		.amdhsa_exception_int_div_zero 0
	.end_amdhsa_kernel
	.section	.text._ZL13mul_mat_f_idsI7__half2Li32ELi11ELi5EEvPKT_PKfPKiS7_S7_Pfiiiiiiiiiiiiii15HIP_vector_typeIjLj3EESA_,"axG",@progbits,_ZL13mul_mat_f_idsI7__half2Li32ELi11ELi5EEvPKT_PKfPKiS7_S7_Pfiiiiiiiiiiiiii15HIP_vector_typeIjLj3EESA_,comdat
.Lfunc_end39:
	.size	_ZL13mul_mat_f_idsI7__half2Li32ELi11ELi5EEvPKT_PKfPKiS7_S7_Pfiiiiiiiiiiiiii15HIP_vector_typeIjLj3EESA_, .Lfunc_end39-_ZL13mul_mat_f_idsI7__half2Li32ELi11ELi5EEvPKT_PKfPKiS7_S7_Pfiiiiiiiiiiiiii15HIP_vector_typeIjLj3EESA_
                                        ; -- End function
	.section	.AMDGPU.csdata,"",@progbits
; Kernel info:
; codeLenInByte = 5476
; NumSgprs: 78
; NumVgprs: 120
; ScratchSize: 0
; MemoryBound: 0
; FloatMode: 240
; IeeeMode: 1
; LDSByteSize: 0 bytes/workgroup (compile time only)
; SGPRBlocks: 9
; VGPRBlocks: 14
; NumSGPRsForWavesPerEU: 78
; NumVGPRsForWavesPerEU: 120
; Occupancy: 12
; WaveLimiterHint : 1
; COMPUTE_PGM_RSRC2:SCRATCH_EN: 0
; COMPUTE_PGM_RSRC2:USER_SGPR: 13
; COMPUTE_PGM_RSRC2:TRAP_HANDLER: 0
; COMPUTE_PGM_RSRC2:TGID_X_EN: 1
; COMPUTE_PGM_RSRC2:TGID_Y_EN: 1
; COMPUTE_PGM_RSRC2:TGID_Z_EN: 1
; COMPUTE_PGM_RSRC2:TIDIG_COMP_CNT: 1
	.section	.text._ZL9mul_mat_fI7__half2Li32ELi11ELi5ELb1EEvPKT_PKfPKiPfiiiiiiiiiiiiiiii,"axG",@progbits,_ZL9mul_mat_fI7__half2Li32ELi11ELi5ELb1EEvPKT_PKfPKiPfiiiiiiiiiiiiiiii,comdat
	.globl	_ZL9mul_mat_fI7__half2Li32ELi11ELi5ELb1EEvPKT_PKfPKiPfiiiiiiiiiiiiiiii ; -- Begin function _ZL9mul_mat_fI7__half2Li32ELi11ELi5ELb1EEvPKT_PKfPKiPfiiiiiiiiiiiiiiii
	.p2align	8
	.type	_ZL9mul_mat_fI7__half2Li32ELi11ELi5ELb1EEvPKT_PKfPKiPfiiiiiiiiiiiiiiii,@function
_ZL9mul_mat_fI7__half2Li32ELi11ELi5ELb1EEvPKT_PKfPKiPfiiiiiiiiiiiiiiii: ; @_ZL9mul_mat_fI7__half2Li32ELi11ELi5ELb1EEvPKT_PKfPKiPfiiiiiiiiiiiiiiii
; %bb.0:
	s_clause 0x1
	s_load_b256 s[16:23], s[0:1], 0x20
	s_load_b128 s[8:11], s[0:1], 0x44
	v_and_b32_e32 v80, 0x3ff, v0
	v_bfe_u32 v88, v0, 10, 10
	s_delay_alu instid0(VALU_DEP_2) | instskip(NEXT) | instid1(VALU_DEP_2)
	v_cmp_eq_u32_e32 vcc_lo, 0, v80
	v_lshl_add_u32 v89, v88, 2, 0x100
	s_waitcnt lgkmcnt(0)
	s_add_i32 s2, s17, 10
	s_delay_alu instid0(SALU_CYCLE_1) | instskip(NEXT) | instid1(SALU_CYCLE_1)
	s_mul_hi_i32 s2, s2, 0x2e8ba2e9
	s_lshr_b32 s3, s2, 31
	s_ashr_i32 s2, s2, 1
	s_delay_alu instid0(SALU_CYCLE_1)
	s_add_i32 s2, s2, s3
	s_load_b32 s3, s[0:1], 0x64
	v_cvt_f32_u32_e32 v1, s2
	s_add_u32 s28, s0, 0x60
	s_addc_u32 s29, s1, 0
	s_sub_i32 s5, 0, s2
	s_delay_alu instid0(VALU_DEP_1) | instskip(SKIP_2) | instid1(VALU_DEP_1)
	v_rcp_iflag_f32_e32 v1, v1
	s_waitcnt_depctr 0xfff
	v_mul_f32_e32 v1, 0x4f7ffffe, v1
	v_cvt_u32_f32_e32 v1, v1
	s_delay_alu instid0(VALU_DEP_1) | instskip(NEXT) | instid1(VALU_DEP_1)
	v_readfirstlane_b32 s4, v1
	s_mul_i32 s5, s5, s4
	s_delay_alu instid0(SALU_CYCLE_1) | instskip(NEXT) | instid1(SALU_CYCLE_1)
	s_mul_hi_u32 s5, s4, s5
	s_add_i32 s4, s4, s5
	s_waitcnt lgkmcnt(0)
	s_mul_hi_u32 s4, s3, s4
	s_delay_alu instid0(SALU_CYCLE_1) | instskip(NEXT) | instid1(SALU_CYCLE_1)
	s_mul_i32 s5, s4, s2
	s_sub_i32 s3, s3, s5
	s_add_i32 s5, s4, 1
	s_sub_i32 s6, s3, s2
	s_cmp_ge_u32 s3, s2
	s_cselect_b32 s4, s5, s4
	s_cselect_b32 s3, s6, s3
	s_add_i32 s5, s4, 1
	s_cmp_ge_u32 s3, s2
	s_load_b64 s[6:7], s[0:1], 0x10
	s_cselect_b32 s2, s5, s4
	s_abs_i32 s12, s11
	v_cvt_f32_u32_e32 v1, s2
	v_cvt_f32_u32_e32 v2, s12
	s_sub_i32 s4, 0, s2
	s_delay_alu instid0(VALU_DEP_2) | instskip(NEXT) | instid1(VALU_DEP_1)
	v_rcp_iflag_f32_e32 v1, v1
	v_rcp_iflag_f32_e32 v2, v2
	s_waitcnt_depctr 0xfff
	v_dual_mul_f32 v1, 0x4f7ffffe, v1 :: v_dual_mul_f32 v2, 0x4f7ffffe, v2
	s_delay_alu instid0(VALU_DEP_1) | instskip(NEXT) | instid1(VALU_DEP_1)
	v_cvt_u32_f32_e32 v1, v1
	v_readfirstlane_b32 s3, v1
	s_delay_alu instid0(VALU_DEP_3) | instskip(NEXT) | instid1(VALU_DEP_2)
	v_cvt_u32_f32_e32 v1, v2
	s_mul_i32 s4, s4, s3
	s_delay_alu instid0(VALU_DEP_1) | instskip(SKIP_1) | instid1(SALU_CYCLE_1)
	v_readfirstlane_b32 s30, v1
	s_mul_hi_u32 s4, s3, s4
	s_add_i32 s3, s3, s4
	s_delay_alu instid0(SALU_CYCLE_1)
	s_mul_hi_u32 s3, s14, s3
	s_and_saveexec_b32 s4, vcc_lo
	s_cbranch_execz .LBB40_2
; %bb.1:
	v_mov_b32_e32 v1, -1
	ds_store_b32 v89, v1
.LBB40_2:
	s_or_b32 exec_lo, exec_lo, s4
	s_mul_i32 s4, s3, s2
	s_add_i32 s5, s3, 1
	s_sub_i32 s4, s14, s4
	v_mov_b32_e32 v3, 0
	s_sub_i32 s24, s4, s2
	s_cmp_ge_u32 s4, s2
	s_cselect_b32 s3, s5, s3
	s_cselect_b32 s4, s24, s4
	s_add_i32 s5, s3, 1
	s_cmp_ge_u32 s4, s2
	s_cselect_b32 s3, s5, s3
	v_cmp_gt_i32_e64 s5, s18, v80
	s_mul_i32 s33, s3, 11
	s_mul_i32 s3, s3, s2
	v_add_nc_u32_e32 v1, s33, v88
	s_mul_hi_i32 s25, s33, s23
	s_mul_i32 s24, s33, s23
	s_sub_i32 s14, s14, s3
	s_lshl_b64 s[24:25], s[24:25], 2
	v_cmp_gt_i32_e64 s2, s17, v1
	s_waitcnt lgkmcnt(0)
	s_add_u32 s31, s6, s24
	s_addc_u32 s7, s7, s25
	s_delay_alu instid0(VALU_DEP_1)
	s_and_saveexec_b32 s6, s2
	s_cbranch_execz .LBB40_10
; %bb.3:
	v_mov_b32_e32 v3, 0
	s_and_saveexec_b32 s24, s5
	s_cbranch_execz .LBB40_9
; %bb.4:
	v_mul_lo_u32 v1, v88, s23
	v_dual_mov_b32 v3, 0 :: v_dual_mov_b32 v6, v80
	s_lshl_b32 s26, s22, 5
	s_mov_b32 s25, 0
	s_delay_alu instid0(VALU_DEP_2) | instskip(NEXT) | instid1(VALU_DEP_1)
	v_ashrrev_i32_e32 v2, 31, v1
	v_lshlrev_b64 v[4:5], 2, v[1:2]
	v_mul_lo_u32 v1, v80, s22
	s_delay_alu instid0(VALU_DEP_2) | instskip(NEXT) | instid1(VALU_DEP_1)
	v_add_co_u32 v4, s3, s31, v4
	v_add_co_ci_u32_e64 v5, s3, s7, v5, s3
	s_set_inst_prefetch_distance 0x1
	s_branch .LBB40_6
	.p2align	6
.LBB40_5:                               ;   in Loop: Header=BB40_6 Depth=1
	s_or_b32 exec_lo, exec_lo, s27
	v_add_nc_u32_e32 v6, 32, v6
	s_xor_b32 s3, s3, -1
	v_add_nc_u32_e32 v1, s26, v1
	s_delay_alu instid0(VALU_DEP_2) | instskip(NEXT) | instid1(VALU_DEP_1)
	v_cmp_le_i32_e64 s4, s18, v6
	s_or_b32 s3, s3, s4
	s_delay_alu instid0(SALU_CYCLE_1) | instskip(NEXT) | instid1(SALU_CYCLE_1)
	s_and_b32 s3, exec_lo, s3
	s_or_b32 s25, s3, s25
	s_delay_alu instid0(SALU_CYCLE_1)
	s_and_not1_b32 exec_lo, exec_lo, s25
	s_cbranch_execz .LBB40_8
.LBB40_6:                               ; =>This Inner Loop Header: Depth=1
	s_delay_alu instid0(VALU_DEP_3) | instskip(SKIP_1) | instid1(VALU_DEP_1)
	v_ashrrev_i32_e32 v2, 31, v1
	s_mov_b32 s27, exec_lo
	v_lshlrev_b64 v[7:8], 2, v[1:2]
	s_delay_alu instid0(VALU_DEP_1) | instskip(NEXT) | instid1(VALU_DEP_1)
	v_add_co_u32 v7, s3, v4, v7
	v_add_co_ci_u32_e64 v8, s3, v5, v8, s3
	global_load_b32 v2, v[7:8], off
	s_waitcnt vmcnt(0)
	v_cmp_ne_u32_e64 s3, s14, v2
	v_cmpx_eq_u32_e64 s14, v2
	s_cbranch_execz .LBB40_5
; %bb.7:                                ;   in Loop: Header=BB40_6 Depth=1
	v_mov_b32_e32 v3, 1
	ds_store_b32 v89, v6
	s_branch .LBB40_5
.LBB40_8:
	s_set_inst_prefetch_distance 0x2
	s_or_b32 exec_lo, exec_lo, s25
.LBB40_9:
	s_delay_alu instid0(SALU_CYCLE_1)
	s_or_b32 exec_lo, exec_lo, s24
.LBB40_10:
	s_delay_alu instid0(SALU_CYCLE_1)
	s_or_b32 exec_lo, exec_lo, s6
	s_sub_i32 s24, 0, s12
	s_and_saveexec_b32 s3, vcc_lo
	s_cbranch_execz .LBB40_12
; %bb.11:
	v_mov_b32_e32 v1, -1
	ds_store_b32 v89, v1 offset:20
.LBB40_12:
	s_or_b32 exec_lo, exec_lo, s3
	v_add_nc_u32_e32 v90, 5, v88
	s_mul_i32 s24, s24, s30
	s_delay_alu instid0(VALU_DEP_1) | instskip(NEXT) | instid1(VALU_DEP_1)
	v_add_nc_u32_e32 v1, s33, v90
	v_cmp_gt_i32_e64 s3, s17, v1
	s_delay_alu instid0(VALU_DEP_1)
	s_and_saveexec_b32 s25, s3
	s_cbranch_execz .LBB40_20
; %bb.13:
	s_and_saveexec_b32 s26, s5
	s_cbranch_execz .LBB40_19
; %bb.14:
	v_mul_lo_u32 v1, v90, s23
	v_mov_b32_e32 v6, v80
	s_lshl_b32 s34, s22, 5
	s_mov_b32 s27, 0
	s_delay_alu instid0(VALU_DEP_2) | instskip(NEXT) | instid1(VALU_DEP_1)
	v_ashrrev_i32_e32 v2, 31, v1
	v_lshlrev_b64 v[4:5], 2, v[1:2]
	v_mul_lo_u32 v1, v80, s22
	s_delay_alu instid0(VALU_DEP_2) | instskip(NEXT) | instid1(VALU_DEP_1)
	v_add_co_u32 v4, s4, s31, v4
	v_add_co_ci_u32_e64 v5, s4, s7, v5, s4
	s_set_inst_prefetch_distance 0x1
	s_branch .LBB40_16
	.p2align	6
.LBB40_15:                              ;   in Loop: Header=BB40_16 Depth=1
	s_or_b32 exec_lo, exec_lo, s35
	v_add_nc_u32_e32 v6, 32, v6
	s_xor_b32 s4, s4, -1
	v_add_nc_u32_e32 v1, s34, v1
	s_delay_alu instid0(VALU_DEP_2) | instskip(NEXT) | instid1(VALU_DEP_1)
	v_cmp_le_i32_e64 s6, s18, v6
	s_or_b32 s4, s4, s6
	s_delay_alu instid0(SALU_CYCLE_1) | instskip(NEXT) | instid1(SALU_CYCLE_1)
	s_and_b32 s4, exec_lo, s4
	s_or_b32 s27, s4, s27
	s_delay_alu instid0(SALU_CYCLE_1)
	s_and_not1_b32 exec_lo, exec_lo, s27
	s_cbranch_execz .LBB40_18
.LBB40_16:                              ; =>This Inner Loop Header: Depth=1
	s_delay_alu instid0(VALU_DEP_3) | instskip(SKIP_1) | instid1(VALU_DEP_1)
	v_ashrrev_i32_e32 v2, 31, v1
	s_mov_b32 s35, exec_lo
	v_lshlrev_b64 v[7:8], 2, v[1:2]
	s_delay_alu instid0(VALU_DEP_1) | instskip(NEXT) | instid1(VALU_DEP_1)
	v_add_co_u32 v7, s4, v4, v7
	v_add_co_ci_u32_e64 v8, s4, v5, v8, s4
	global_load_b32 v2, v[7:8], off
	s_waitcnt vmcnt(0)
	v_cmp_ne_u32_e64 s4, s14, v2
	v_cmpx_eq_u32_e64 s14, v2
	s_cbranch_execz .LBB40_15
; %bb.17:                               ;   in Loop: Header=BB40_16 Depth=1
	v_mov_b32_e32 v3, 1
	ds_store_b32 v89, v6 offset:20
	s_branch .LBB40_15
.LBB40_18:
	s_set_inst_prefetch_distance 0x2
	s_or_b32 exec_lo, exec_lo, s27
.LBB40_19:
	s_delay_alu instid0(SALU_CYCLE_1)
	s_or_b32 exec_lo, exec_lo, s26
.LBB40_20:
	s_delay_alu instid0(SALU_CYCLE_1)
	s_or_b32 exec_lo, exec_lo, s25
	s_mul_hi_u32 s6, s30, s24
	s_and_saveexec_b32 s4, vcc_lo
	s_cbranch_execz .LBB40_22
; %bb.21:
	v_mov_b32_e32 v1, -1
	ds_store_b32 v89, v1 offset:40
.LBB40_22:
	s_or_b32 exec_lo, exec_lo, s4
	s_load_b128 s[24:27], s[0:1], 0x54
	v_add_nc_u32_e32 v91, 10, v88
	s_waitcnt lgkmcnt(0)
	s_abs_i32 s27, s15
	s_add_i32 s34, s30, s6
	s_delay_alu instid0(VALU_DEP_1) | instskip(NEXT) | instid1(VALU_DEP_1)
	v_add_nc_u32_e32 v1, s33, v91
	v_cmp_gt_i32_e64 s4, s17, v1
	s_delay_alu instid0(VALU_DEP_1)
	s_and_saveexec_b32 s6, s4
	s_cbranch_execz .LBB40_30
; %bb.23:
	s_and_saveexec_b32 s30, s5
	s_cbranch_execz .LBB40_29
; %bb.24:
	v_mul_lo_u32 v1, v91, s23
	v_mov_b32_e32 v6, v80
	s_delay_alu instid0(VALU_DEP_2) | instskip(NEXT) | instid1(VALU_DEP_1)
	v_ashrrev_i32_e32 v2, 31, v1
	v_lshlrev_b64 v[4:5], 2, v[1:2]
	v_mul_lo_u32 v1, v80, s22
	s_lshl_b32 s22, s22, 5
	s_delay_alu instid0(VALU_DEP_2) | instskip(NEXT) | instid1(VALU_DEP_3)
	v_add_co_u32 v4, vcc_lo, s31, v4
	v_add_co_ci_u32_e32 v5, vcc_lo, s7, v5, vcc_lo
	s_mov_b32 s7, 0
	s_set_inst_prefetch_distance 0x1
	s_branch .LBB40_26
	.p2align	6
.LBB40_25:                              ;   in Loop: Header=BB40_26 Depth=1
	s_or_b32 exec_lo, exec_lo, s23
	v_add_nc_u32_e32 v6, 32, v6
	s_xor_b32 s23, vcc_lo, -1
	v_add_nc_u32_e32 v1, s22, v1
	s_delay_alu instid0(VALU_DEP_2) | instskip(NEXT) | instid1(VALU_DEP_1)
	v_cmp_le_i32_e64 s5, s18, v6
	s_or_b32 s5, s23, s5
	s_delay_alu instid0(SALU_CYCLE_1) | instskip(NEXT) | instid1(SALU_CYCLE_1)
	s_and_b32 s5, exec_lo, s5
	s_or_b32 s7, s5, s7
	s_delay_alu instid0(SALU_CYCLE_1)
	s_and_not1_b32 exec_lo, exec_lo, s7
	s_cbranch_execz .LBB40_28
.LBB40_26:                              ; =>This Inner Loop Header: Depth=1
	s_delay_alu instid0(VALU_DEP_3) | instskip(SKIP_1) | instid1(VALU_DEP_1)
	v_ashrrev_i32_e32 v2, 31, v1
	s_mov_b32 s23, exec_lo
	v_lshlrev_b64 v[7:8], 2, v[1:2]
	s_delay_alu instid0(VALU_DEP_1) | instskip(NEXT) | instid1(VALU_DEP_2)
	v_add_co_u32 v7, vcc_lo, v4, v7
	v_add_co_ci_u32_e32 v8, vcc_lo, v5, v8, vcc_lo
	global_load_b32 v2, v[7:8], off
	s_waitcnt vmcnt(0)
	v_cmp_ne_u32_e32 vcc_lo, s14, v2
	v_cmpx_eq_u32_e64 s14, v2
	s_cbranch_execz .LBB40_25
; %bb.27:                               ;   in Loop: Header=BB40_26 Depth=1
	v_mov_b32_e32 v3, 1
	ds_store_b32 v89, v6 offset:40
	s_branch .LBB40_25
.LBB40_28:
	s_set_inst_prefetch_distance 0x2
	s_or_b32 exec_lo, exec_lo, s7
.LBB40_29:
	s_delay_alu instid0(SALU_CYCLE_1)
	s_or_b32 exec_lo, exec_lo, s30
.LBB40_30:
	s_delay_alu instid0(SALU_CYCLE_1)
	s_or_b32 exec_lo, exec_lo, s6
	v_cmp_ne_u32_e32 vcc_lo, 0, v3
	s_load_b64 s[22:23], s[28:29], 0xc
	s_clause 0x1
	s_load_b128 s[28:31], s[0:1], 0x0
	s_load_b64 s[6:7], s[0:1], 0x18
	v_cndmask_b32_e64 v1, 0, 1, vcc_lo
	s_delay_alu instid0(VALU_DEP_1) | instskip(NEXT) | instid1(VALU_DEP_1)
	v_or_b32_dpp v1, v1, v1 row_shl:1 row_mask:0xf bank_mask:0xf bound_ctrl:1
	v_or_b32_dpp v1, v1, v1 row_shl:2 row_mask:0xf bank_mask:0xf bound_ctrl:1
	s_delay_alu instid0(VALU_DEP_1)
	v_or_b32_dpp v1, v1, v1 row_shl:4 row_mask:0xf bank_mask:0xf bound_ctrl:1
	s_waitcnt lgkmcnt(0)
	s_lshr_b32 s1, s22, 16
	s_and_b32 s0, s22, 0xffff
	s_and_b32 s18, s23, 0xffff
	s_mul_i32 s5, s1, s0
	v_or_b32_dpp v1, v1, v1 row_shl:8 row_mask:0xf bank_mask:0xf bound_ctrl:1
	s_bfe_i32 s5, s5, 0x180000
	s_delay_alu instid0(SALU_CYCLE_1) | instskip(SKIP_1) | instid1(VALU_DEP_1)
	s_mul_i32 s5, s5, s18
	s_mul_hi_u32 s18, s27, s34
	v_mov_b32_dpp v1, v1 row_share:0 row_mask:0xf bank_mask:0xf bound_ctrl:1
	s_add_i32 s5, s5, 31
	s_delay_alu instid0(SALU_CYCLE_1) | instskip(NEXT) | instid1(SALU_CYCLE_1)
	s_and_not1_b32 s5, s5, 31
	s_cmp_lg_u32 s5, 32
	s_delay_alu instid0(VALU_DEP_1) | instskip(NEXT) | instid1(VALU_DEP_1)
	v_permlanex16_b32 v2, v1, 0, 0 op_sel:[0,1]
	v_or_b32_e32 v2, v2, v1
	s_cbranch_scc0 .LBB40_39
; %bb.31:
	v_bfe_u32 v0, v0, 20, 10
	s_delay_alu instid0(VALU_DEP_1) | instskip(NEXT) | instid1(VALU_DEP_1)
	v_mad_u32_u24 v3, v0, s1, v88
	v_mad_u64_u32 v[0:1], null, v3, s0, v[80:81]
	v_mbcnt_lo_u32_b32 v1, -1, 0
	s_mov_b32 s0, exec_lo
	s_delay_alu instid0(VALU_DEP_2) | instskip(NEXT) | instid1(VALU_DEP_1)
	v_lshrrev_b32_e32 v3, 5, v0
	v_or_b32_e32 v3, v1, v3
	s_delay_alu instid0(VALU_DEP_1)
	v_cmpx_eq_u32_e32 0, v3
	s_cbranch_execz .LBB40_33
; %bb.32:
	v_mov_b32_e32 v3, 0
	ds_store_b32 v3, v2
.LBB40_33:
	s_or_b32 exec_lo, exec_lo, s0
	v_cmp_eq_u32_e32 vcc_lo, 0, v1
	v_cmp_lt_u32_e64 s0, 31, v0
	s_mov_b32 s1, 0
	s_waitcnt lgkmcnt(0)
	s_barrier
	buffer_gl0_inv
	s_and_b32 s5, s0, vcc_lo
	s_delay_alu instid0(SALU_CYCLE_1)
	s_and_saveexec_b32 s0, s5
	s_cbranch_execz .LBB40_38
; %bb.34:
	s_mov_b32 s5, exec_lo
.LBB40_35:                              ; =>This Inner Loop Header: Depth=1
	s_delay_alu instid0(SALU_CYCLE_1) | instskip(NEXT) | instid1(SALU_CYCLE_1)
	s_ctz_i32_b32 s22, s5
	v_readlane_b32 s23, v2, s22
	s_lshl_b32 s22, 1, s22
	s_delay_alu instid0(SALU_CYCLE_1) | instskip(NEXT) | instid1(VALU_DEP_1)
	s_and_not1_b32 s5, s5, s22
	s_or_b32 s1, s1, s23
	s_cmp_lg_u32 s5, 0
	s_cbranch_scc1 .LBB40_35
; %bb.36:
	v_mbcnt_lo_u32_b32 v0, exec_lo, 0
	s_mov_b32 s5, exec_lo
	s_delay_alu instid0(VALU_DEP_1)
	v_cmpx_eq_u32_e32 0, v0
	s_xor_b32 s5, exec_lo, s5
	s_cbranch_execz .LBB40_38
; %bb.37:
	v_dual_mov_b32 v0, 0 :: v_dual_mov_b32 v1, s1
	ds_or_b32 v0, v1
.LBB40_38:
	s_or_b32 exec_lo, exec_lo, s0
	v_mov_b32_e32 v0, 0
	s_waitcnt lgkmcnt(0)
	s_barrier
	buffer_gl0_inv
	ds_load_b32 v2, v0
	s_waitcnt lgkmcnt(0)
	s_barrier
	buffer_gl0_inv
.LBB40_39:
	s_ashr_i32 s0, s15, 31
	s_ashr_i32 s11, s11, 31
	s_mov_b32 s1, exec_lo
	v_cmpx_ne_u32_e32 0, v2
	s_cbranch_execz .LBB40_90
; %bb.40:
	v_lshlrev_b32_e32 v92, 5, v88
	v_and_b32_e32 v93, 15, v80
	s_mov_b32 s5, exec_lo
                                        ; implicit-def: $sgpr1
	s_delay_alu instid0(VALU_DEP_2) | instskip(NEXT) | instid1(VALU_DEP_1)
	v_add_nc_u32_e32 v94, v92, v80
	v_cmpx_le_i32_e64 s16, v94
	s_xor_b32 s5, exec_lo, s5
; %bb.41:
	v_and_b32_e32 v93, 15, v80
	s_mov_b32 s1, 0
                                        ; implicit-def: $vgpr94
; %bb.42:
	s_or_saveexec_b32 s5, s5
	v_dual_mov_b32 v15, s1 :: v_dual_mov_b32 v14, s1
	v_dual_mov_b32 v13, s1 :: v_dual_mov_b32 v12, s1
	v_dual_mov_b32 v11, s1 :: v_dual_mov_b32 v10, s1
	v_dual_mov_b32 v9, s1 :: v_dual_mov_b32 v8, s1
	v_dual_mov_b32 v7, s1 :: v_dual_mov_b32 v6, s1
	v_dual_mov_b32 v5, s1 :: v_dual_mov_b32 v4, s1
	v_dual_mov_b32 v3, s1 :: v_dual_mov_b32 v2, s1
	v_dual_mov_b32 v1, s1 :: v_dual_mov_b32 v0, s1
	s_lshl_b32 s1, s13, 5
	s_xor_b32 exec_lo, exec_lo, s5
	s_cbranch_execz .LBB40_79
; %bb.43:
	s_mul_i32 s13, s18, s12
	s_xor_b32 s0, s0, s11
	s_sub_i32 s11, s27, s13
	s_add_i32 s13, s18, 1
	s_sub_i32 s22, s11, s12
	s_cmp_ge_u32 s11, s12
	s_mul_hi_i32 s37, s25, s15
	s_cselect_b32 s13, s13, s18
	s_cselect_b32 s11, s22, s11
	s_add_i32 s18, s13, 1
	s_cmp_ge_u32 s11, s12
	s_mul_i32 s12, s14, s8
	s_cselect_b32 s11, s18, s13
	s_ashr_i32 s13, s12, 31
	s_xor_b32 s11, s11, s0
	s_mul_i32 s22, s1, s19
	s_sub_i32 s0, s11, s0
	s_mul_i32 s36, s25, s15
	s_mul_hi_i32 s35, s0, s24
	s_mul_i32 s34, s0, s24
	v_mul_u32_u24_e32 v0, 0x90, v93
	s_lshl_b64 s[42:43], s[34:35], 2
	s_mul_i32 s38, s20, 10
	s_add_u32 s0, s28, s42
	s_addc_u32 s8, s29, s43
	s_lshl_b64 s[44:45], s[12:13], 2
	s_mul_hi_i32 s13, s20, s33
	s_add_u32 s0, s0, s44
	s_addc_u32 s11, s8, s45
	s_ashr_i32 s23, s22, 31
	s_mul_i32 s12, s20, s33
	s_lshl_b64 s[46:47], s[22:23], 2
	s_mul_i32 s48, s19, 6
	s_add_u32 s8, s0, s46
	s_addc_u32 s11, s11, s47
	s_lshl_b64 s[22:23], s[36:37], 2
	s_lshl_b64 s[12:13], s[12:13], 3
	s_add_u32 s0, s30, s22
	s_addc_u32 s18, s31, s23
	s_add_u32 s14, s0, s12
	s_addc_u32 s18, s18, s13
	s_cmp_lt_i32 s33, s17
	s_movk_i32 s12, 0x900
	s_cselect_b32 s22, -1, 0
	s_add_i32 s0, s33, 1
	v_mad_u32_u24 v1, v88, s12, 0x100
	s_cmp_lt_i32 s0, s17
	v_mov_b32_e32 v96, 0
	s_cselect_b32 s23, -1, 0
	s_add_i32 s0, s33, 2
	v_add_nc_u32_e32 v97, v1, v0
	s_cmp_lt_i32 s0, s17
	v_lshlrev_b32_e32 v2, 1, v80
	s_cselect_b32 s24, -1, 0
	s_add_i32 s0, s33, 3
	s_lshl_b32 s25, s20, 2
	s_cmp_lt_i32 s0, s17
	s_mov_b32 s12, s19
	s_cselect_b32 s27, -1, 0
	s_add_i32 s0, s33, 4
	v_lshl_add_u32 v95, v80, 2, v1
	v_mov_b32_e32 v1, v96
	s_cmp_lt_i32 s0, s17
	v_lshl_add_u32 v81, v88, 6, v2
	s_cselect_b32 s30, -1, 0
	s_add_i32 s0, s33, 5
	s_lshl_b32 s31, s20, 3
	s_cmp_lt_i32 s0, s17
	v_dual_mov_b32 v3, v96 :: v_dual_lshlrev_b32 v2, 2, v94
	s_cselect_b32 s34, -1, 0
	s_add_i32 s0, s33, 6
	v_dual_mov_b32 v98, 0x100 :: v_dual_mov_b32 v5, v96
	s_cmp_lt_i32 s0, s17
	v_dual_mov_b32 v0, 0 :: v_dual_mov_b32 v7, v96
	s_cselect_b32 s35, -1, 0
	s_add_i32 s0, s33, 7
	v_mov_b32_e32 v4, v96
	s_cmp_lt_i32 s0, s17
	v_mov_b32_e32 v6, v96
	s_cselect_b32 s36, -1, 0
	s_add_i32 s0, s33, 8
	v_dual_mov_b32 v8, 0 :: v_dual_mov_b32 v9, v96
	s_cmp_lt_i32 s0, s17
	v_mov_b32_e32 v10, v96
	s_cselect_b32 s39, -1, 0
	s_add_i32 s0, s33, 9
	s_lshl_b32 s40, s20, 4
	s_cmp_lt_i32 s0, s17
	v_mov_b32_e32 v11, v96
	s_cselect_b32 s41, -1, 0
	s_add_i32 s0, s33, 10
	v_mov_b32_e32 v12, v96
	s_cmp_lt_i32 s0, s17
	v_mov_b32_e32 v13, v96
	s_cselect_b32 s17, -1, 0
	s_ashr_i32 s13, s19, 31
	v_mov_b32_e32 v14, v96
	s_lshl_b64 s[12:13], s[12:13], 2
	s_add_u32 s0, s42, s46
	s_addc_u32 s42, s43, s47
	s_add_u32 s0, s0, s44
	s_addc_u32 s42, s42, s45
	;; [unrolled: 2-line block ×3, first 2 shown]
	v_add_co_u32 v82, s0, s0, v2
	s_delay_alu instid0(VALU_DEP_1)
	v_add_co_ci_u32_e64 v83, null, s28, 0, s0
	v_mov_b32_e32 v2, v96
	v_mov_b32_e32 v15, v96
	s_mul_i32 s37, s20, 6
	s_mul_i32 s28, s20, 20
	;; [unrolled: 1-line block ×5, first 2 shown]
	s_lshl_b32 s20, s20, 1
	s_lshl_b32 s44, s19, 1
	s_mul_i32 s45, s19, 3
	s_lshl_b32 s46, s19, 2
	s_mul_i32 s47, s19, 5
	s_mul_i32 s49, s19, 7
	s_lshl_b32 s50, s19, 3
	s_mul_i32 s51, s19, 9
	s_mul_i32 s52, s19, 10
	;; [unrolled: 1-line block ×7, first 2 shown]
	s_lshl_b32 s58, s19, 4
	s_mul_i32 s59, s19, 17
	s_mul_i32 s60, s19, 18
	;; [unrolled: 1-line block ×15, first 2 shown]
	s_mov_b32 s19, 0
	s_branch .LBB40_45
.LBB40_44:                              ;   in Loop: Header=BB40_45 Depth=1
	s_waitcnt vmcnt(0)
	v_cvt_f16_f32_e32 v84, v84
	v_cvt_f16_f32_e32 v85, v85
	v_add_nc_u32_e32 v86, 0x400, v95
	v_add_nc_u32_e32 v87, 0x800, v95
	;; [unrolled: 1-line block ×3, first 2 shown]
	v_add_co_u32 v82, s0, 0x280, v82
	v_pack_b32_f16 v84, v84, v85
	ds_store_2addr_b32 v86, v96, v96 offset0:192 offset1:228
	ds_store_2addr_b32 v87, v96, v96 offset0:8 offset1:44
	;; [unrolled: 1-line block ×3, first 2 shown]
	ds_load_b128 v[99:102], v97 offset:64
	ds_load_b128 v[103:106], v97 offset:80
	;; [unrolled: 1-line block ×6, first 2 shown]
	v_cmp_le_i32_e32 vcc_lo, s16, v94
	v_add_nc_u32_e32 v81, 0x140, v81
	v_add_co_ci_u32_e64 v83, s0, 0, v83, s0
	s_or_b32 s19, vcc_lo, s19
	s_waitcnt lgkmcnt(4)
	v_wmma_f32_16x16x16_f16 v[8:15], v[56:63], v[99:106], v[8:15]
	ds_load_b128 v[56:59], v97 offset:160
	ds_load_b128 v[60:63], v97 offset:176
	v_wmma_f32_16x16x16_f16 v[0:7], v[72:79], v[99:106], v[0:7]
	s_waitcnt lgkmcnt(4)
	v_wmma_f32_16x16x16_f16 v[8:15], v[40:47], v[107:114], v[8:15]
	s_delay_alu instid0(VALU_DEP_2) | instskip(SKIP_1) | instid1(VALU_DEP_2)
	v_wmma_f32_16x16x16_f16 v[0:7], v[64:71], v[107:114], v[0:7]
	s_waitcnt lgkmcnt(2)
	v_wmma_f32_16x16x16_f16 v[8:15], v[24:31], v[115:122], v[8:15]
	s_delay_alu instid0(VALU_DEP_2) | instskip(SKIP_1) | instid1(VALU_DEP_2)
	v_wmma_f32_16x16x16_f16 v[0:7], v[48:55], v[115:122], v[0:7]
	s_waitcnt lgkmcnt(0)
	v_wmma_f32_16x16x16_f16 v[8:15], v[16:23], v[56:63], v[8:15]
	s_delay_alu instid0(VALU_DEP_2)
	v_wmma_f32_16x16x16_f16 v[0:7], v[32:39], v[56:63], v[0:7]
	s_and_not1_b32 exec_lo, exec_lo, s19
	s_cbranch_execz .LBB40_78
.LBB40_45:                              ; =>This Inner Loop Header: Depth=1
	v_dual_mov_b32 v85, 0 :: v_dual_add_nc_u32 v16, s44, v94
	v_add_nc_u32_e32 v22, s46, v94
	v_add_nc_u32_e32 v18, s45, v94
	v_add_co_u32 v20, vcc_lo, v82, s12
	s_delay_alu instid0(VALU_DEP_4)
	v_ashrrev_i32_e32 v17, 31, v16
	v_add_co_ci_u32_e32 v21, vcc_lo, s13, v83, vcc_lo
	v_ashrrev_i32_e32 v23, 31, v22
	v_ashrrev_i32_e32 v19, 31, v18
	v_add_nc_u32_e32 v24, s47, v94
	v_lshlrev_b64 v[16:17], 2, v[16:17]
	s_clause 0x1
	global_load_b32 v38, v[82:83], off
	global_load_b32 v39, v[20:21], off
	v_lshlrev_b64 v[20:21], 2, v[22:23]
	v_add_nc_u32_e32 v22, s48, v94
	v_lshlrev_b64 v[18:19], 2, v[18:19]
	v_ashrrev_i32_e32 v25, 31, v24
	v_add_nc_u32_e32 v26, s49, v94
	v_add_co_u32 v16, vcc_lo, s8, v16
	v_ashrrev_i32_e32 v23, 31, v22
	v_add_co_ci_u32_e32 v17, vcc_lo, s11, v17, vcc_lo
	v_add_nc_u32_e32 v28, s50, v94
	v_add_co_u32 v18, vcc_lo, s8, v18
	v_lshlrev_b64 v[24:25], 2, v[24:25]
	v_ashrrev_i32_e32 v27, 31, v26
	v_add_co_ci_u32_e32 v19, vcc_lo, s11, v19, vcc_lo
	v_add_nc_u32_e32 v30, s51, v94
	v_add_co_u32 v20, vcc_lo, s8, v20
	v_lshlrev_b64 v[22:23], 2, v[22:23]
	v_ashrrev_i32_e32 v29, 31, v28
	v_add_co_ci_u32_e32 v21, vcc_lo, s11, v21, vcc_lo
	v_add_co_u32 v24, vcc_lo, s8, v24
	v_lshlrev_b64 v[26:27], 2, v[26:27]
	v_ashrrev_i32_e32 v31, 31, v30
	v_add_co_ci_u32_e32 v25, vcc_lo, s11, v25, vcc_lo
	v_add_co_u32 v22, vcc_lo, s8, v22
	v_lshlrev_b64 v[28:29], 2, v[28:29]
	v_add_co_ci_u32_e32 v23, vcc_lo, s11, v23, vcc_lo
	v_add_nc_u32_e32 v32, s52, v94
	v_add_co_u32 v26, vcc_lo, s8, v26
	v_lshlrev_b64 v[30:31], 2, v[30:31]
	v_add_co_ci_u32_e32 v27, vcc_lo, s11, v27, vcc_lo
	v_add_nc_u32_e32 v34, s53, v94
	v_add_co_u32 v28, vcc_lo, s8, v28
	v_ashrrev_i32_e32 v33, 31, v32
	v_add_co_ci_u32_e32 v29, vcc_lo, s11, v29, vcc_lo
	v_add_nc_u32_e32 v36, s54, v94
	v_add_co_u32 v30, vcc_lo, s8, v30
	v_ashrrev_i32_e32 v35, 31, v34
	v_add_co_ci_u32_e32 v31, vcc_lo, s11, v31, vcc_lo
	s_clause 0x7
	global_load_b32 v40, v[16:17], off
	global_load_b32 v41, v[18:19], off
	global_load_b32 v42, v[20:21], off
	global_load_b32 v43, v[24:25], off
	global_load_b32 v44, v[22:23], off
	global_load_b32 v45, v[26:27], off
	global_load_b32 v46, v[28:29], off
	global_load_b32 v47, v[30:31], off
	v_add_nc_u32_e32 v18, s55, v94
	v_lshlrev_b64 v[32:33], 2, v[32:33]
	v_ashrrev_i32_e32 v37, 31, v36
	v_add_nc_u32_e32 v24, s56, v94
	v_lshlrev_b64 v[16:17], 2, v[34:35]
	v_ashrrev_i32_e32 v19, 31, v18
	v_add_nc_u32_e32 v26, s57, v94
	v_add_co_u32 v20, vcc_lo, s8, v32
	v_lshlrev_b64 v[22:23], 2, v[36:37]
	v_ashrrev_i32_e32 v25, 31, v24
	v_add_co_ci_u32_e32 v21, vcc_lo, s11, v33, vcc_lo
	v_add_nc_u32_e32 v28, s58, v94
	v_add_co_u32 v16, vcc_lo, s8, v16
	v_lshlrev_b64 v[18:19], 2, v[18:19]
	v_ashrrev_i32_e32 v27, 31, v26
	v_add_co_ci_u32_e32 v17, vcc_lo, s11, v17, vcc_lo
	v_add_nc_u32_e32 v30, s59, v94
	v_add_co_u32 v22, vcc_lo, s8, v22
	v_lshlrev_b64 v[24:25], 2, v[24:25]
	v_ashrrev_i32_e32 v29, 31, v28
	v_add_co_ci_u32_e32 v23, vcc_lo, s11, v23, vcc_lo
	v_add_co_u32 v18, vcc_lo, s8, v18
	v_lshlrev_b64 v[26:27], 2, v[26:27]
	v_ashrrev_i32_e32 v31, 31, v30
	v_add_co_ci_u32_e32 v19, vcc_lo, s11, v19, vcc_lo
	v_add_co_u32 v24, vcc_lo, s8, v24
	v_lshlrev_b64 v[28:29], 2, v[28:29]
	v_add_co_ci_u32_e32 v25, vcc_lo, s11, v25, vcc_lo
	v_add_nc_u32_e32 v32, s60, v94
	v_add_co_u32 v26, vcc_lo, s8, v26
	v_lshlrev_b64 v[30:31], 2, v[30:31]
	v_add_co_ci_u32_e32 v27, vcc_lo, s11, v27, vcc_lo
	v_add_nc_u32_e32 v34, s61, v94
	v_add_co_u32 v28, vcc_lo, s8, v28
	v_ashrrev_i32_e32 v33, 31, v32
	v_add_co_ci_u32_e32 v29, vcc_lo, s11, v29, vcc_lo
	v_add_nc_u32_e32 v36, s62, v94
	v_add_co_u32 v30, vcc_lo, s8, v30
	v_ashrrev_i32_e32 v35, 31, v34
	v_add_co_ci_u32_e32 v31, vcc_lo, s11, v31, vcc_lo
	s_clause 0x7
	global_load_b32 v48, v[20:21], off
	global_load_b32 v49, v[16:17], off
	global_load_b32 v50, v[22:23], off
	global_load_b32 v51, v[18:19], off
	global_load_b32 v52, v[24:25], off
	global_load_b32 v53, v[26:27], off
	global_load_b32 v54, v[28:29], off
	global_load_b32 v55, v[30:31], off
	v_add_nc_u32_e32 v18, s63, v94
	v_lshlrev_b64 v[32:33], 2, v[32:33]
	v_ashrrev_i32_e32 v37, 31, v36
	v_add_nc_u32_e32 v24, s64, v94
	v_lshlrev_b64 v[16:17], 2, v[34:35]
	v_ashrrev_i32_e32 v19, 31, v18
	v_add_nc_u32_e32 v26, s65, v94
	v_add_co_u32 v20, vcc_lo, s8, v32
	v_lshlrev_b64 v[22:23], 2, v[36:37]
	;; [unrolled: 49-line block ×3, first 2 shown]
	v_ashrrev_i32_e32 v25, 31, v24
	v_add_co_ci_u32_e32 v21, vcc_lo, s11, v33, vcc_lo
	v_add_co_u32 v16, vcc_lo, s8, v16
	v_lshlrev_b64 v[18:19], 2, v[18:19]
	v_ashrrev_i32_e32 v27, 31, v26
	v_add_co_ci_u32_e32 v17, vcc_lo, s11, v17, vcc_lo
	v_add_co_u32 v22, vcc_lo, s8, v22
	v_lshlrev_b64 v[24:25], 2, v[24:25]
	v_add_co_ci_u32_e32 v23, vcc_lo, s11, v23, vcc_lo
	v_add_co_u32 v18, vcc_lo, s8, v18
	v_lshlrev_b64 v[26:27], 2, v[26:27]
	v_add_co_ci_u32_e32 v19, vcc_lo, s11, v19, vcc_lo
	v_add_co_u32 v24, vcc_lo, s8, v24
	v_add_co_ci_u32_e32 v25, vcc_lo, s11, v25, vcc_lo
	s_delay_alu instid0(VALU_DEP_4)
	v_add_co_u32 v26, vcc_lo, s8, v26
	v_add_co_ci_u32_e32 v27, vcc_lo, s11, v27, vcc_lo
	s_clause 0x5
	global_load_b32 v32, v[20:21], off
	global_load_b32 v33, v[16:17], off
	;; [unrolled: 1-line block ×6, first 2 shown]
	v_mov_b32_e32 v84, 0
	s_and_not1_b32 vcc_lo, exec_lo, s22
	s_waitcnt vmcnt(31)
	ds_store_b32 v95, v38 offset:64
	s_waitcnt vmcnt(30)
	ds_store_b32 v95, v39 offset:208
	;; [unrolled: 2-line block ×16, first 2 shown]
	ds_load_b128 v[56:59], v97 offset:64
	ds_load_b128 v[60:63], v97 offset:80
	;; [unrolled: 1-line block ×8, first 2 shown]
	s_waitcnt vmcnt(15)
	ds_store_b32 v95, v54 offset:64
	s_waitcnt vmcnt(14)
	ds_store_b32 v95, v55 offset:208
	;; [unrolled: 2-line block ×16, first 2 shown]
	ds_load_b128 v[72:75], v97 offset:64
	ds_load_b128 v[76:79], v97 offset:80
	ds_load_b128 v[64:67], v97 offset:96
	ds_load_b128 v[68:71], v97 offset:112
	ds_load_b128 v[48:51], v97 offset:128
	ds_load_b128 v[52:55], v97 offset:144
	ds_load_b128 v[32:35], v97 offset:160
	ds_load_b128 v[36:39], v97 offset:176
	s_cbranch_vccnz .LBB40_48
; %bb.46:                               ;   in Loop: Header=BB40_45 Depth=1
	ds_load_b32 v86, v98
	v_dual_mov_b32 v84, 0 :: v_dual_mov_b32 v85, 0
	s_waitcnt lgkmcnt(0)
	v_cmp_gt_i32_e32 vcc_lo, 0, v86
	s_cbranch_vccnz .LBB40_48
; %bb.47:                               ;   in Loop: Header=BB40_45 Depth=1
	v_mad_u64_u32 v[84:85], null, v86, s9, v[81:82]
	s_delay_alu instid0(VALU_DEP_1) | instskip(NEXT) | instid1(VALU_DEP_1)
	v_ashrrev_i32_e32 v85, 31, v84
	v_lshlrev_b64 v[84:85], 2, v[84:85]
	s_delay_alu instid0(VALU_DEP_1) | instskip(NEXT) | instid1(VALU_DEP_2)
	v_add_co_u32 v84, vcc_lo, s14, v84
	v_add_co_ci_u32_e32 v85, vcc_lo, s18, v85, vcc_lo
	global_load_b64 v[84:85], v[84:85], off
.LBB40_48:                              ;   in Loop: Header=BB40_45 Depth=1
	s_waitcnt vmcnt(0)
	v_cvt_f16_f32_e32 v84, v84
	v_cvt_f16_f32_e32 v85, v85
	v_mov_b32_e32 v87, 0
	s_and_not1_b32 vcc_lo, exec_lo, s23
	v_mov_b32_e32 v86, 0
	s_delay_alu instid0(VALU_DEP_3)
	v_pack_b32_f16 v84, v84, v85
	v_mov_b32_e32 v85, 0
	ds_store_b32 v95, v84 offset:64
	s_cbranch_vccnz .LBB40_51
; %bb.49:                               ;   in Loop: Header=BB40_45 Depth=1
	ds_load_b32 v84, v98 offset:4
	v_dual_mov_b32 v86, 0 :: v_dual_mov_b32 v87, 0
	s_waitcnt lgkmcnt(0)
	v_cmp_gt_i32_e32 vcc_lo, 0, v84
	s_cbranch_vccnz .LBB40_51
; %bb.50:                               ;   in Loop: Header=BB40_45 Depth=1
	v_mul_lo_u32 v84, v84, s9
	s_delay_alu instid0(VALU_DEP_1) | instskip(NEXT) | instid1(VALU_DEP_1)
	v_add3_u32 v86, v84, s20, v81
	v_ashrrev_i32_e32 v87, 31, v86
	s_delay_alu instid0(VALU_DEP_1) | instskip(NEXT) | instid1(VALU_DEP_1)
	v_lshlrev_b64 v[86:87], 2, v[86:87]
	v_add_co_u32 v86, vcc_lo, s14, v86
	s_delay_alu instid0(VALU_DEP_2)
	v_add_co_ci_u32_e32 v87, vcc_lo, s18, v87, vcc_lo
	global_load_b64 v[86:87], v[86:87], off
.LBB40_51:                              ;   in Loop: Header=BB40_45 Depth=1
	s_waitcnt vmcnt(0)
	v_cvt_f16_f32_e32 v84, v86
	v_cvt_f16_f32_e32 v86, v87
	s_and_not1_b32 vcc_lo, exec_lo, s24
	s_delay_alu instid0(VALU_DEP_1)
	v_pack_b32_f16 v86, v84, v86
	v_mov_b32_e32 v84, 0
	ds_store_b32 v95, v86 offset:208
	s_cbranch_vccnz .LBB40_54
; %bb.52:                               ;   in Loop: Header=BB40_45 Depth=1
	ds_load_b32 v86, v98 offset:8
	v_dual_mov_b32 v84, 0 :: v_dual_mov_b32 v85, 0
	s_waitcnt lgkmcnt(0)
	v_cmp_gt_i32_e32 vcc_lo, 0, v86
	s_cbranch_vccnz .LBB40_54
; %bb.53:                               ;   in Loop: Header=BB40_45 Depth=1
	v_mul_lo_u32 v84, v86, s9
	s_delay_alu instid0(VALU_DEP_1) | instskip(NEXT) | instid1(VALU_DEP_1)
	v_add3_u32 v84, v84, s25, v81
	v_ashrrev_i32_e32 v85, 31, v84
	s_delay_alu instid0(VALU_DEP_1) | instskip(NEXT) | instid1(VALU_DEP_1)
	v_lshlrev_b64 v[84:85], 2, v[84:85]
	v_add_co_u32 v84, vcc_lo, s14, v84
	s_delay_alu instid0(VALU_DEP_2)
	v_add_co_ci_u32_e32 v85, vcc_lo, s18, v85, vcc_lo
	global_load_b64 v[84:85], v[84:85], off
.LBB40_54:                              ;   in Loop: Header=BB40_45 Depth=1
	s_waitcnt vmcnt(0)
	v_cvt_f16_f32_e32 v84, v84
	v_cvt_f16_f32_e32 v85, v85
	v_mov_b32_e32 v87, 0
	s_and_not1_b32 vcc_lo, exec_lo, s27
	v_mov_b32_e32 v86, 0
	s_delay_alu instid0(VALU_DEP_3)
	v_pack_b32_f16 v84, v84, v85
	v_mov_b32_e32 v85, 0
	ds_store_b32 v95, v84 offset:352
	s_cbranch_vccnz .LBB40_57
; %bb.55:                               ;   in Loop: Header=BB40_45 Depth=1
	ds_load_b32 v84, v98 offset:12
	v_dual_mov_b32 v86, 0 :: v_dual_mov_b32 v87, 0
	s_waitcnt lgkmcnt(0)
	v_cmp_gt_i32_e32 vcc_lo, 0, v84
	s_cbranch_vccnz .LBB40_57
; %bb.56:                               ;   in Loop: Header=BB40_45 Depth=1
	v_mul_lo_u32 v84, v84, s9
	s_delay_alu instid0(VALU_DEP_1) | instskip(NEXT) | instid1(VALU_DEP_1)
	v_add3_u32 v86, v84, s37, v81
	v_ashrrev_i32_e32 v87, 31, v86
	s_delay_alu instid0(VALU_DEP_1) | instskip(NEXT) | instid1(VALU_DEP_1)
	v_lshlrev_b64 v[86:87], 2, v[86:87]
	v_add_co_u32 v86, vcc_lo, s14, v86
	s_delay_alu instid0(VALU_DEP_2)
	v_add_co_ci_u32_e32 v87, vcc_lo, s18, v87, vcc_lo
	global_load_b64 v[86:87], v[86:87], off
.LBB40_57:                              ;   in Loop: Header=BB40_45 Depth=1
	s_waitcnt vmcnt(0)
	v_cvt_f16_f32_e32 v84, v86
	v_cvt_f16_f32_e32 v86, v87
	s_and_not1_b32 vcc_lo, exec_lo, s30
	s_delay_alu instid0(VALU_DEP_1)
	v_pack_b32_f16 v86, v84, v86
	v_mov_b32_e32 v84, 0
	ds_store_b32 v95, v86 offset:496
	s_cbranch_vccnz .LBB40_60
; %bb.58:                               ;   in Loop: Header=BB40_45 Depth=1
	ds_load_b32 v86, v98 offset:16
	v_dual_mov_b32 v84, 0 :: v_dual_mov_b32 v85, 0
	s_waitcnt lgkmcnt(0)
	v_cmp_gt_i32_e32 vcc_lo, 0, v86
	s_cbranch_vccnz .LBB40_60
; %bb.59:                               ;   in Loop: Header=BB40_45 Depth=1
	v_mul_lo_u32 v84, v86, s9
	s_delay_alu instid0(VALU_DEP_1) | instskip(NEXT) | instid1(VALU_DEP_1)
	v_add3_u32 v84, v84, s31, v81
	v_ashrrev_i32_e32 v85, 31, v84
	s_delay_alu instid0(VALU_DEP_1) | instskip(NEXT) | instid1(VALU_DEP_1)
	v_lshlrev_b64 v[84:85], 2, v[84:85]
	v_add_co_u32 v84, vcc_lo, s14, v84
	s_delay_alu instid0(VALU_DEP_2)
	v_add_co_ci_u32_e32 v85, vcc_lo, s18, v85, vcc_lo
	global_load_b64 v[84:85], v[84:85], off
.LBB40_60:                              ;   in Loop: Header=BB40_45 Depth=1
	;; [unrolled: 56-line block ×4, first 2 shown]
	s_waitcnt vmcnt(0)
	v_cvt_f16_f32_e32 v84, v84
	v_cvt_f16_f32_e32 v85, v85
	v_mov_b32_e32 v87, 0
	s_and_not1_b32 vcc_lo, exec_lo, s41
	v_mov_b32_e32 v86, 0
	s_delay_alu instid0(VALU_DEP_3)
	v_pack_b32_f16 v84, v84, v85
	v_mov_b32_e32 v85, 0
	ds_store_b32 v95, v84 offset:1216
	s_cbranch_vccnz .LBB40_75
; %bb.73:                               ;   in Loop: Header=BB40_45 Depth=1
	ds_load_b32 v84, v98 offset:36
	v_dual_mov_b32 v86, 0 :: v_dual_mov_b32 v87, 0
	s_waitcnt lgkmcnt(0)
	v_cmp_gt_i32_e32 vcc_lo, 0, v84
	s_cbranch_vccnz .LBB40_75
; %bb.74:                               ;   in Loop: Header=BB40_45 Depth=1
	v_mul_lo_u32 v84, v84, s9
	s_delay_alu instid0(VALU_DEP_1) | instskip(NEXT) | instid1(VALU_DEP_1)
	v_add3_u32 v86, v84, s29, v81
	v_ashrrev_i32_e32 v87, 31, v86
	s_delay_alu instid0(VALU_DEP_1) | instskip(NEXT) | instid1(VALU_DEP_1)
	v_lshlrev_b64 v[86:87], 2, v[86:87]
	v_add_co_u32 v86, vcc_lo, s14, v86
	s_delay_alu instid0(VALU_DEP_2)
	v_add_co_ci_u32_e32 v87, vcc_lo, s18, v87, vcc_lo
	global_load_b64 v[86:87], v[86:87], off
.LBB40_75:                              ;   in Loop: Header=BB40_45 Depth=1
	s_waitcnt vmcnt(0)
	v_cvt_f16_f32_e32 v84, v86
	v_cvt_f16_f32_e32 v86, v87
	s_and_not1_b32 vcc_lo, exec_lo, s17
	s_delay_alu instid0(VALU_DEP_1)
	v_pack_b32_f16 v86, v84, v86
	v_mov_b32_e32 v84, 0
	ds_store_b32 v95, v86 offset:1360
	s_cbranch_vccnz .LBB40_44
; %bb.76:                               ;   in Loop: Header=BB40_45 Depth=1
	ds_load_b32 v86, v98 offset:40
	v_dual_mov_b32 v84, 0 :: v_dual_mov_b32 v85, 0
	s_waitcnt lgkmcnt(0)
	v_cmp_gt_i32_e32 vcc_lo, 0, v86
	s_cbranch_vccnz .LBB40_44
; %bb.77:                               ;   in Loop: Header=BB40_45 Depth=1
	v_mul_lo_u32 v84, v86, s9
	s_delay_alu instid0(VALU_DEP_1) | instskip(NEXT) | instid1(VALU_DEP_1)
	v_add3_u32 v84, v84, s28, v81
	v_ashrrev_i32_e32 v85, 31, v84
	s_delay_alu instid0(VALU_DEP_1) | instskip(NEXT) | instid1(VALU_DEP_1)
	v_lshlrev_b64 v[84:85], 2, v[84:85]
	v_add_co_u32 v84, vcc_lo, s14, v84
	s_delay_alu instid0(VALU_DEP_2)
	v_add_co_ci_u32_e32 v85, vcc_lo, s18, v85, vcc_lo
	global_load_b64 v[84:85], v[84:85], off
	s_branch .LBB40_44
.LBB40_78:
	s_or_b32 exec_lo, exec_lo, s19
.LBB40_79:
	s_delay_alu instid0(SALU_CYCLE_1) | instskip(SKIP_4) | instid1(VALU_DEP_3)
	s_or_b32 exec_lo, exec_lo, s5
	v_lshrrev_b32_e32 v16, 2, v80
	s_movk_i32 s0, 0x290
	v_lshlrev_b32_e32 v17, 2, v92
	v_mad_u32_u24 v18, v93, s0, 0x100
	v_and_b32_e32 v16, 0xfc, v16
	s_barrier
	buffer_gl0_inv
	s_mov_b32 s0, exec_lo
	v_add3_u32 v17, v18, v16, v17
	v_lshl_add_u32 v16, v80, 2, 0x100
	ds_store_2addr_b32 v17, v8, v9 offset0:16 offset1:18
	ds_store_2addr_b32 v17, v10, v11 offset0:20 offset1:22
	;; [unrolled: 1-line block ×7, first 2 shown]
	v_mad_u32_u24 v4, 0x290, v88, v16
	ds_store_2addr_b32 v17, v6, v7 offset0:44 offset1:46
	v_mov_b32_e32 v7, -1
	s_waitcnt lgkmcnt(0)
	s_barrier
	buffer_gl0_inv
	ds_load_2addr_b32 v[2:3], v4 offset0:16 offset1:48
	ds_load_2addr_b32 v[0:1], v4 offset0:80 offset1:112
	ds_load_b32 v5, v4 offset:576
	v_cmpx_gt_u32_e32 11, v88
	s_cbranch_execz .LBB40_81
; %bb.80:
	ds_load_b32 v7, v89
.LBB40_81:
	s_or_b32 exec_lo, exec_lo, s0
	s_mul_hi_i32 s9, s26, s15
	s_mul_i32 s8, s26, s15
	s_mul_hi_i32 s13, s33, s21
	s_lshl_b64 s[8:9], s[8:9], 2
	s_mul_i32 s12, s33, s21
	s_waitcnt lgkmcnt(0)
	v_cmp_lt_i32_e32 vcc_lo, -1, v7
	s_add_u32 s0, s6, s8
	v_mul_u32_u24_e32 v6, 0x290, v88
	s_addc_u32 s5, s7, s9
	s_lshl_b64 s[6:7], s[12:13], 2
	v_add_nc_u32_e32 v4, s1, v80
	s_add_u32 s0, s0, s6
	s_addc_u32 s1, s5, s7
	s_and_b32 s5, vcc_lo, s2
	s_delay_alu instid0(SALU_CYCLE_1)
	s_and_saveexec_b32 s2, s5
	s_cbranch_execz .LBB40_83
; %bb.82:
	v_add_f32_e32 v2, 0, v2
	v_mul_lo_u32 v7, v7, s10
	v_mul_lo_u32 v8, v88, s21
	s_delay_alu instid0(VALU_DEP_3) | instskip(NEXT) | instid1(VALU_DEP_1)
	v_dual_add_f32 v2, v2, v3 :: v_dual_mov_b32 v3, 0
	v_add_f32_e32 v0, v2, v0
	s_delay_alu instid0(VALU_DEP_3) | instskip(NEXT) | instid1(VALU_DEP_2)
	v_add3_u32 v2, v4, v8, v7
	v_add_f32_e32 v7, v0, v1
	s_delay_alu instid0(VALU_DEP_2) | instskip(NEXT) | instid1(VALU_DEP_2)
	v_lshlrev_b64 v[0:1], 2, v[2:3]
	v_add_f32_e32 v2, v7, v5
	s_delay_alu instid0(VALU_DEP_2) | instskip(NEXT) | instid1(VALU_DEP_3)
	v_add_co_u32 v0, vcc_lo, s0, v0
	v_add_co_ci_u32_e32 v1, vcc_lo, s1, v1, vcc_lo
	global_store_b32 v[0:1], v2, off
.LBB40_83:
	s_or_b32 exec_lo, exec_lo, s2
	v_add_nc_u32_e32 v5, v6, v16
	s_mov_b32 s2, exec_lo
	s_delay_alu instid0(VALU_DEP_1)
	v_dual_mov_b32 v7, -1 :: v_dual_add_nc_u32 v0, 0xc00, v5
	ds_load_2addr_b32 v[2:3], v0 offset0:68 offset1:100
	ds_load_2addr_b32 v[0:1], v0 offset0:132 offset1:164
	ds_load_b32 v6, v5 offset:3856
	v_cmpx_gt_u32_e32 6, v88
	s_cbranch_execz .LBB40_85
; %bb.84:
	ds_load_b32 v7, v89 offset:20
.LBB40_85:
	s_or_b32 exec_lo, exec_lo, s2
	s_waitcnt lgkmcnt(0)
	v_cmp_lt_i32_e32 vcc_lo, -1, v7
	s_and_b32 s3, vcc_lo, s3
	s_delay_alu instid0(SALU_CYCLE_1)
	s_and_saveexec_b32 s2, s3
	s_cbranch_execz .LBB40_87
; %bb.86:
	v_add_f32_e32 v2, 0, v2
	v_mul_lo_u32 v7, v7, s10
	v_mul_lo_u32 v8, v90, s21
	s_delay_alu instid0(VALU_DEP_3) | instskip(NEXT) | instid1(VALU_DEP_1)
	v_dual_add_f32 v2, v2, v3 :: v_dual_mov_b32 v3, 0
	v_add_f32_e32 v0, v2, v0
	s_delay_alu instid0(VALU_DEP_3) | instskip(NEXT) | instid1(VALU_DEP_2)
	v_add3_u32 v2, v4, v8, v7
	v_add_f32_e32 v7, v0, v1
	s_delay_alu instid0(VALU_DEP_2) | instskip(NEXT) | instid1(VALU_DEP_2)
	v_lshlrev_b64 v[0:1], 2, v[2:3]
	v_add_f32_e32 v2, v7, v6
	s_delay_alu instid0(VALU_DEP_2) | instskip(NEXT) | instid1(VALU_DEP_3)
	v_add_co_u32 v0, vcc_lo, s0, v0
	v_add_co_ci_u32_e32 v1, vcc_lo, s1, v1, vcc_lo
	global_store_b32 v[0:1], v2, off
.LBB40_87:
	s_or_b32 exec_lo, exec_lo, s2
	v_cmp_eq_u32_e32 vcc_lo, 0, v88
	s_and_b32 exec_lo, exec_lo, vcc_lo
	s_cbranch_execz .LBB40_90
; %bb.88:
	v_mov_b32_e32 v0, 0x100
	ds_load_b32 v0, v0 offset:40
	s_waitcnt lgkmcnt(0)
	v_readfirstlane_b32 s2, v0
	s_delay_alu instid0(VALU_DEP_1) | instskip(SKIP_1) | instid1(SALU_CYCLE_1)
	s_cmp_gt_i32 s2, -1
	s_cselect_b32 s2, -1, 0
	s_and_b32 s2, s2, s4
	s_delay_alu instid0(SALU_CYCLE_1)
	s_and_b32 exec_lo, exec_lo, s2
	s_cbranch_execz .LBB40_90
; %bb.89:
	v_add_nc_u32_e32 v3, 0x1800, v5
	v_mul_lo_u32 v0, v0, s10
	ds_load_2addr_b32 v[1:2], v3 offset0:120 offset1:152
	ds_load_2addr_b32 v[6:7], v3 offset0:184 offset1:216
	ds_load_b32 v3, v5 offset:7136
	v_mul_lo_u32 v5, v91, s21
	s_delay_alu instid0(VALU_DEP_1) | instskip(SKIP_2) | instid1(VALU_DEP_1)
	v_add3_u32 v0, v4, v5, v0
	s_waitcnt lgkmcnt(2)
	v_add_f32_e32 v1, 0, v1
	v_add_f32_e32 v2, v1, v2
	s_waitcnt lgkmcnt(1)
	s_delay_alu instid0(VALU_DEP_1) | instskip(NEXT) | instid1(VALU_DEP_1)
	v_dual_add_f32 v2, v2, v6 :: v_dual_mov_b32 v1, 0
	v_add_f32_e32 v2, v2, v7
	s_delay_alu instid0(VALU_DEP_2) | instskip(SKIP_1) | instid1(VALU_DEP_2)
	v_lshlrev_b64 v[0:1], 2, v[0:1]
	s_waitcnt lgkmcnt(0)
	v_add_f32_e32 v2, v2, v3
	s_delay_alu instid0(VALU_DEP_2) | instskip(NEXT) | instid1(VALU_DEP_3)
	v_add_co_u32 v0, vcc_lo, s0, v0
	v_add_co_ci_u32_e32 v1, vcc_lo, s1, v1, vcc_lo
	global_store_b32 v[0:1], v2, off
.LBB40_90:
	s_nop 0
	s_sendmsg sendmsg(MSG_DEALLOC_VGPRS)
	s_endpgm
	.section	.rodata,"a",@progbits
	.p2align	6, 0x0
	.amdhsa_kernel _ZL9mul_mat_fI7__half2Li32ELi11ELi5ELb1EEvPKT_PKfPKiPfiiiiiiiiiiiiiiii
		.amdhsa_group_segment_fixed_size 256
		.amdhsa_private_segment_fixed_size 0
		.amdhsa_kernarg_size 352
		.amdhsa_user_sgpr_count 13
		.amdhsa_user_sgpr_dispatch_ptr 0
		.amdhsa_user_sgpr_queue_ptr 0
		.amdhsa_user_sgpr_kernarg_segment_ptr 1
		.amdhsa_user_sgpr_dispatch_id 0
		.amdhsa_user_sgpr_private_segment_size 0
		.amdhsa_wavefront_size32 1
		.amdhsa_uses_dynamic_stack 0
		.amdhsa_enable_private_segment 0
		.amdhsa_system_sgpr_workgroup_id_x 1
		.amdhsa_system_sgpr_workgroup_id_y 1
		.amdhsa_system_sgpr_workgroup_id_z 1
		.amdhsa_system_sgpr_workgroup_info 0
		.amdhsa_system_vgpr_workitem_id 2
		.amdhsa_next_free_vgpr 123
		.amdhsa_next_free_sgpr 74
		.amdhsa_reserve_vcc 1
		.amdhsa_float_round_mode_32 0
		.amdhsa_float_round_mode_16_64 0
		.amdhsa_float_denorm_mode_32 3
		.amdhsa_float_denorm_mode_16_64 3
		.amdhsa_dx10_clamp 1
		.amdhsa_ieee_mode 1
		.amdhsa_fp16_overflow 0
		.amdhsa_workgroup_processor_mode 1
		.amdhsa_memory_ordered 1
		.amdhsa_forward_progress 0
		.amdhsa_shared_vgpr_count 0
		.amdhsa_exception_fp_ieee_invalid_op 0
		.amdhsa_exception_fp_denorm_src 0
		.amdhsa_exception_fp_ieee_div_zero 0
		.amdhsa_exception_fp_ieee_overflow 0
		.amdhsa_exception_fp_ieee_underflow 0
		.amdhsa_exception_fp_ieee_inexact 0
		.amdhsa_exception_int_div_zero 0
	.end_amdhsa_kernel
	.section	.text._ZL9mul_mat_fI7__half2Li32ELi11ELi5ELb1EEvPKT_PKfPKiPfiiiiiiiiiiiiiiii,"axG",@progbits,_ZL9mul_mat_fI7__half2Li32ELi11ELi5ELb1EEvPKT_PKfPKiPfiiiiiiiiiiiiiiii,comdat
.Lfunc_end40:
	.size	_ZL9mul_mat_fI7__half2Li32ELi11ELi5ELb1EEvPKT_PKfPKiPfiiiiiiiiiiiiiiii, .Lfunc_end40-_ZL9mul_mat_fI7__half2Li32ELi11ELi5ELb1EEvPKT_PKfPKiPfiiiiiiiiiiiiiiii
                                        ; -- End function
	.section	.AMDGPU.csdata,"",@progbits
; Kernel info:
; codeLenInByte = 6712
; NumSgprs: 76
; NumVgprs: 123
; ScratchSize: 0
; MemoryBound: 0
; FloatMode: 240
; IeeeMode: 1
; LDSByteSize: 256 bytes/workgroup (compile time only)
; SGPRBlocks: 9
; VGPRBlocks: 15
; NumSGPRsForWavesPerEU: 76
; NumVGPRsForWavesPerEU: 123
; Occupancy: 10
; WaveLimiterHint : 0
; COMPUTE_PGM_RSRC2:SCRATCH_EN: 0
; COMPUTE_PGM_RSRC2:USER_SGPR: 13
; COMPUTE_PGM_RSRC2:TRAP_HANDLER: 0
; COMPUTE_PGM_RSRC2:TGID_X_EN: 1
; COMPUTE_PGM_RSRC2:TGID_Y_EN: 1
; COMPUTE_PGM_RSRC2:TGID_Z_EN: 1
; COMPUTE_PGM_RSRC2:TIDIG_COMP_CNT: 2
	.section	.text._ZL9mul_mat_fI7__half2Li32ELi11ELi5ELb0EEvPKT_PKfPKiPfiiiiiiiiiiiiiiii,"axG",@progbits,_ZL9mul_mat_fI7__half2Li32ELi11ELi5ELb0EEvPKT_PKfPKiPfiiiiiiiiiiiiiiii,comdat
	.globl	_ZL9mul_mat_fI7__half2Li32ELi11ELi5ELb0EEvPKT_PKfPKiPfiiiiiiiiiiiiiiii ; -- Begin function _ZL9mul_mat_fI7__half2Li32ELi11ELi5ELb0EEvPKT_PKfPKiPfiiiiiiiiiiiiiiii
	.p2align	8
	.type	_ZL9mul_mat_fI7__half2Li32ELi11ELi5ELb0EEvPKT_PKfPKiPfiiiiiiiiiiiiiiii,@function
_ZL9mul_mat_fI7__half2Li32ELi11ELi5ELb0EEvPKT_PKfPKiPfiiiiiiiiiiiiiiii: ; @_ZL9mul_mat_fI7__half2Li32ELi11ELi5ELb0EEvPKT_PKfPKiPfiiiiiiiiiiiiiiii
; %bb.0:
	s_clause 0x2
	s_load_b256 s[4:11], s[0:1], 0x40
	s_load_b32 s22, s[0:1], 0x20
	s_load_b128 s[16:19], s[0:1], 0x2c
	v_bfe_u32 v72, v0, 10, 10
	v_and_b32_e32 v73, 0x3ff, v0
	s_mov_b32 s12, 0
	s_ashr_i32 s24, s15, 31
	s_waitcnt lgkmcnt(0)
	s_mov_b32 s19, exec_lo
	v_and_b32_e32 v75, 15, v73
	s_abs_i32 s2, s4
	s_abs_i32 s23, s8
	v_cvt_f32_u32_e32 v1, s2
	v_cvt_f32_u32_e32 v2, s23
	s_delay_alu instid0(VALU_DEP_2) | instskip(NEXT) | instid1(VALU_DEP_1)
	v_rcp_iflag_f32_e32 v1, v1
	v_rcp_iflag_f32_e32 v2, v2
	v_lshlrev_b32_e32 v74, 5, v72
	s_waitcnt_depctr 0xfff
	v_dual_mul_f32 v0, 0x4f7ffffe, v1 :: v_dual_mul_f32 v1, 0x4f7ffffe, v2
	v_add_nc_u32_e32 v76, v74, v73
	s_delay_alu instid0(VALU_DEP_2) | instskip(NEXT) | instid1(VALU_DEP_3)
	v_cvt_u32_f32_e32 v0, v0
	v_cvt_u32_f32_e32 v1, v1
	s_delay_alu instid0(VALU_DEP_2) | instskip(NEXT) | instid1(VALU_DEP_2)
	v_readfirstlane_b32 s25, v0
	v_readfirstlane_b32 s3, v1
	v_cmpx_le_i32_e64 s22, v76
	s_xor_b32 s19, exec_lo, s19
; %bb.1:
	v_and_b32_e32 v75, 15, v73
                                        ; implicit-def: $vgpr76
; %bb.2:
	s_or_saveexec_b32 s19, s19
	s_load_b64 s[20:21], s[0:1], 0x18
	v_dual_mov_b32 v15, s12 :: v_dual_mov_b32 v14, s12
	v_dual_mov_b32 v13, s12 :: v_dual_mov_b32 v12, s12
	;; [unrolled: 1-line block ×8, first 2 shown]
	s_lshl_b32 s12, s13, 5
	s_xor_b32 exec_lo, exec_lo, s19
	s_cbranch_execz .LBB41_6
; %bb.3:
	s_sub_i32 s13, 0, s2
	s_sub_i32 s26, 0, s23
	s_mul_i32 s13, s13, s25
	s_mul_i32 s26, s26, s3
	s_mul_hi_u32 s13, s25, s13
	s_mul_hi_u32 s26, s3, s26
	s_abs_i32 s27, s14
	s_add_i32 s25, s25, s13
	s_add_i32 s26, s3, s26
	s_mul_hi_u32 s3, s27, s25
	s_ashr_i32 s25, s14, 31
	s_ashr_i32 s4, s4, 31
	s_mul_i32 s28, s3, s2
	s_xor_b32 s4, s25, s4
	s_sub_i32 s25, s27, s28
	s_abs_i32 s13, s15
	s_ashr_i32 s8, s8, 31
	s_add_i32 s27, s3, 1
	s_sub_i32 s28, s25, s2
	s_cmp_ge_u32 s25, s2
	s_mul_hi_u32 s26, s13, s26
	s_cselect_b32 s3, s27, s3
	s_cselect_b32 s25, s28, s25
	s_add_i32 s27, s3, 1
	s_cmp_ge_u32 s25, s2
	s_mul_i32 s28, s14, s6
	s_cselect_b32 s25, s27, s3
	s_load_b128 s[0:3], s[0:1], 0x0
	s_xor_b32 s25, s25, s4
	s_xor_b32 s8, s24, s8
	s_sub_i32 s4, s25, s4
	s_mul_i32 s25, s26, s23
	s_add_i32 s24, s26, 1
	s_sub_i32 s13, s13, s25
	s_mul_i32 s4, s4, s5
	s_sub_i32 s25, s13, s23
	s_cmp_ge_u32 s13, s23
	s_mul_hi_i32 s27, s10, s15
	s_cselect_b32 s24, s24, s26
	s_cselect_b32 s13, s25, s13
	s_add_i32 s25, s24, 1
	s_cmp_ge_u32 s13, s23
	s_mul_i32 s26, s10, s15
	s_cselect_b32 s13, s25, s24
	s_ashr_i32 s5, s4, 31
	s_xor_b32 s13, s13, s8
	v_lshlrev_b32_e32 v3, 7, v72
	s_sub_i32 s8, s13, s8
	v_mad_u32_u24 v1, 0x900, v72, 0
	s_mul_hi_i32 s25, s8, s9
	s_mul_i32 s24, s8, s9
	s_mul_i32 s8, s12, s16
	s_lshl_b64 s[24:25], s[24:25], 2
	v_dual_mov_b32 v79, 0 :: v_dual_lshlrev_b32 v0, 2, v73
	s_waitcnt lgkmcnt(0)
	s_add_u32 s13, s0, s24
	s_addc_u32 s23, s1, s25
	s_ashr_i32 s9, s8, 31
	s_lshl_b64 s[4:5], s[4:5], 2
	s_lshl_b64 s[8:9], s[8:9], 2
	v_lshlrev_b32_e32 v5, 8, v72
	s_add_u32 s30, s4, s8
	s_addc_u32 s31, s5, s9
	s_add_u32 s6, s30, s13
	s_addc_u32 s8, s31, s23
	s_ashr_i32 s29, s28, 31
	s_lshl_b64 s[4:5], s[26:27], 2
	s_lshl_b64 s[26:27], s[28:29], 2
	v_add_nc_u32_e32 v77, v1, v0
	s_add_u32 s13, s2, s26
	s_addc_u32 s23, s3, s27
	s_add_u32 s9, s13, s4
	s_addc_u32 s10, s23, s5
	s_ashr_i32 s3, s16, 31
	s_mov_b32 s2, s16
	s_ashr_i32 s27, s17, 31
	s_lshl_b64 s[2:3], s[2:3], 2
	s_add_u32 s24, s30, s24
	s_addc_u32 s25, s31, s25
	v_add_co_u32 v3, s24, s24, v3
	s_delay_alu instid0(VALU_DEP_1) | instskip(SKIP_1) | instid1(VALU_DEP_3)
	v_add_co_ci_u32_e64 v4, null, s25, 0, s24
	v_lshlrev_b32_e32 v6, 3, v73
	v_add_co_u32 v0, vcc_lo, v3, v0
	s_delay_alu instid0(VALU_DEP_3) | instskip(SKIP_1) | instid1(VALU_DEP_3)
	v_add_co_ci_u32_e32 v3, vcc_lo, 0, v4, vcc_lo
	v_add_co_u32 v4, s4, s4, v5
	v_add_co_u32 v16, vcc_lo, s0, v0
	v_add_co_ci_u32_e64 v5, null, s5, 0, s4
	s_delay_alu instid0(VALU_DEP_4) | instskip(NEXT) | instid1(VALU_DEP_4)
	v_add_co_ci_u32_e32 v17, vcc_lo, s1, v3, vcc_lo
	v_add_co_u32 v0, vcc_lo, v4, v6
	s_delay_alu instid0(VALU_DEP_3) | instskip(SKIP_1) | instid1(VALU_DEP_3)
	v_add_co_ci_u32_e32 v3, vcc_lo, 0, v5, vcc_lo
	v_mul_u32_u24_e32 v2, 0x90, v75
	v_add_co_u32 v18, vcc_lo, s13, v0
	v_mov_b32_e32 v0, 0
	s_delay_alu instid0(VALU_DEP_4) | instskip(NEXT) | instid1(VALU_DEP_4)
	v_add_co_ci_u32_e32 v19, vcc_lo, s23, v3, vcc_lo
	v_add_nc_u32_e32 v78, v1, v2
	s_mov_b32 s26, s17
	s_delay_alu instid0(VALU_DEP_3)
	v_mov_b32_e32 v3, v0
	v_mov_b32_e32 v1, v0
	;; [unrolled: 1-line block ×15, first 2 shown]
	s_lshl_b64 s[4:5], s[26:27], 3
	s_mul_i32 s1, s16, 31
	s_lshl_b32 s13, s17, 1
	s_mul_i32 s23, s17, 3
	s_lshl_b32 s24, s17, 2
	s_mul_i32 s25, s17, 5
	s_mul_i32 s26, s17, 6
	;; [unrolled: 1-line block ×3, first 2 shown]
	s_lshl_b32 s28, s17, 3
	s_mul_i32 s29, s17, 9
	s_mul_i32 s17, s17, 10
	s_lshl_b32 s30, s16, 1
	s_mul_i32 s31, s16, 3
	s_lshl_b32 s33, s16, 2
	s_mul_i32 s34, s16, 5
	s_mul_i32 s35, s16, 6
	;; [unrolled: 1-line block ×3, first 2 shown]
	s_lshl_b32 s37, s16, 3
	s_mul_i32 s38, s16, 9
	s_mul_i32 s39, s16, 10
	;; [unrolled: 1-line block ×7, first 2 shown]
	s_lshl_b32 s45, s16, 4
	s_mul_i32 s46, s16, 17
	s_mul_i32 s47, s16, 18
	;; [unrolled: 1-line block ×14, first 2 shown]
	s_mov_b32 s16, 0
.LBB41_4:                               ; =>This Inner Loop Header: Depth=1
	v_add_nc_u32_e32 v20, s30, v76
	v_add_nc_u32_e32 v22, s31, v76
	;; [unrolled: 1-line block ×4, first 2 shown]
	v_add_co_u32 v106, vcc_lo, v16, s2
	v_ashrrev_i32_e32 v21, 31, v20
	v_ashrrev_i32_e32 v23, 31, v22
	;; [unrolled: 1-line block ×3, first 2 shown]
	v_add_nc_u32_e32 v28, s35, v76
	v_add_co_ci_u32_e32 v107, vcc_lo, s3, v17, vcc_lo
	v_lshlrev_b64 v[20:21], 2, v[20:21]
	v_add_co_u32 v110, vcc_lo, v18, s4
	v_lshlrev_b64 v[22:23], 2, v[22:23]
	v_ashrrev_i32_e32 v27, 31, v26
	v_add_nc_u32_e32 v30, s36, v76
	v_add_co_ci_u32_e32 v111, vcc_lo, s5, v19, vcc_lo
	v_lshlrev_b64 v[24:25], 2, v[24:25]
	v_add_co_u32 v20, vcc_lo, s6, v20
	v_ashrrev_i32_e32 v29, 31, v28
	v_add_nc_u32_e32 v32, s37, v76
	v_add_co_ci_u32_e32 v21, vcc_lo, s8, v21, vcc_lo
	v_lshlrev_b64 v[26:27], 2, v[26:27]
	v_add_co_u32 v22, vcc_lo, s6, v22
	;; [unrolled: 5-line block ×34, first 2 shown]
	v_ashrrev_i32_e32 v103, 31, v102
	v_add_co_ci_u32_e32 v95, vcc_lo, s10, v95, vcc_lo
	v_lshlrev_b64 v[100:101], 3, v[100:101]
	v_add_co_u32 v96, vcc_lo, s9, v96
	v_ashrrev_i32_e32 v105, 31, v104
	v_add_co_ci_u32_e32 v97, vcc_lo, s10, v97, vcc_lo
	v_lshlrev_b64 v[102:103], 3, v[102:103]
	v_add_co_u32 v98, vcc_lo, s9, v98
	v_add_co_ci_u32_e32 v99, vcc_lo, s10, v99, vcc_lo
	global_load_b64 v[108:109], v[18:19], off
	global_load_b32 v112, v[16:17], off
	v_lshlrev_b64 v[104:105], 3, v[104:105]
	v_add_co_u32 v100, vcc_lo, s9, v100
	v_add_co_ci_u32_e32 v101, vcc_lo, s10, v101, vcc_lo
	global_load_b32 v113, v[106:107], off
	global_load_b64 v[106:107], v[110:111], off
	v_add_co_u32 v102, vcc_lo, s9, v102
	v_add_co_ci_u32_e32 v103, vcc_lo, s10, v103, vcc_lo
	v_add_co_u32 v104, vcc_lo, s9, v104
	v_add_co_ci_u32_e32 v105, vcc_lo, s10, v105, vcc_lo
	s_clause 0xd
	global_load_b32 v110, v[20:21], off
	global_load_b32 v111, v[22:23], off
	global_load_b32 v114, v[24:25], off
	global_load_b32 v115, v[26:27], off
	global_load_b32 v116, v[28:29], off
	global_load_b32 v117, v[30:31], off
	global_load_b32 v118, v[32:33], off
	global_load_b32 v119, v[34:35], off
	global_load_b32 v120, v[36:37], off
	global_load_b32 v38, v[38:39], off
	global_load_b32 v39, v[40:41], off
	global_load_b32 v40, v[42:43], off
	global_load_b32 v41, v[44:45], off
	global_load_b32 v42, v[46:47], off
	s_clause 0x8
	global_load_b64 v[20:21], v[88:89], off
	global_load_b64 v[22:23], v[90:91], off
	;; [unrolled: 1-line block ×9, first 2 shown]
	s_clause 0xf
	global_load_b32 v88, v[48:49], off
	global_load_b32 v89, v[50:51], off
	;; [unrolled: 1-line block ×16, first 2 shown]
	v_add_nc_u32_e32 v76, 0xa0, v76
	v_add_co_u32 v16, vcc_lo, 0x280, v16
	v_add_co_ci_u32_e32 v17, vcc_lo, 0, v17, vcc_lo
	v_add_co_u32 v18, vcc_lo, 0x500, v18
	s_delay_alu instid0(VALU_DEP_4) | instskip(SKIP_1) | instid1(VALU_DEP_2)
	v_cmp_le_i32_e64 s0, s22, v76
	v_add_co_ci_u32_e32 v19, vcc_lo, 0, v19, vcc_lo
	s_or_b32 s16, s0, s16
	s_waitcnt vmcnt(24)
	v_cvt_f16_f32_e32 v70, v20
	v_cvt_f16_f32_e32 v71, v21
	s_waitcnt vmcnt(23)
	v_cvt_f16_f32_e32 v96, v22
	v_cvt_f16_f32_e32 v97, v23
	;; [unrolled: 3-line block ×4, first 2 shown]
	v_cvt_f16_f32_e32 v43, v108
	v_cvt_f16_f32_e32 v44, v109
	ds_store_b32 v77, v112
	s_waitcnt vmcnt(20)
	v_cvt_f16_f32_e32 v102, v28
	v_cvt_f16_f32_e32 v103, v29
	s_waitcnt vmcnt(19)
	v_cvt_f16_f32_e32 v104, v30
	ds_store_b32 v77, v113 offset:144
	v_cvt_f16_f32_e32 v45, v106
	v_cvt_f16_f32_e32 v46, v107
	v_pack_b32_f16 v68, v43, v44
	ds_store_b32 v77, v110 offset:288
	ds_store_b32 v77, v111 offset:432
	;; [unrolled: 1-line block ×14, first 2 shown]
	v_cvt_f16_f32_e32 v105, v31
	s_waitcnt vmcnt(18)
	v_cvt_f16_f32_e32 v106, v32
	v_pack_b32_f16 v69, v45, v46
	v_cvt_f16_f32_e32 v107, v33
	s_waitcnt vmcnt(17)
	v_cvt_f16_f32_e32 v108, v34
	v_cvt_f16_f32_e32 v109, v35
	s_waitcnt vmcnt(16)
	v_cvt_f16_f32_e32 v110, v36
	v_cvt_f16_f32_e32 v111, v37
	ds_load_b128 v[20:23], v78
	ds_load_b128 v[24:27], v78 offset:16
	ds_load_b128 v[28:31], v78 offset:32
	;; [unrolled: 1-line block ×7, first 2 shown]
	s_waitcnt vmcnt(15)
	ds_store_b32 v77, v88
	s_waitcnt vmcnt(14)
	ds_store_b32 v77, v89 offset:144
	s_waitcnt vmcnt(13)
	ds_store_b32 v77, v52 offset:288
	;; [unrolled: 2-line block ×15, first 2 shown]
	ds_load_b128 v[52:55], v78
	ds_load_b128 v[56:59], v78 offset:16
	ds_load_b128 v[60:63], v78 offset:32
	;; [unrolled: 1-line block ×7, first 2 shown]
	ds_store_b32 v77, v68
	v_pack_b32_f16 v68, v70, v71
	v_pack_b32_f16 v70, v96, v97
	;; [unrolled: 1-line block ×9, first 2 shown]
	ds_store_b32 v77, v69 offset:144
	ds_store_b32 v77, v68 offset:288
	;; [unrolled: 1-line block ×15, first 2 shown]
	ds_load_b128 v[96:99], v78
	ds_load_b128 v[100:103], v78 offset:16
	ds_load_b128 v[104:107], v78 offset:32
	;; [unrolled: 1-line block ×5, first 2 shown]
	s_waitcnt lgkmcnt(4)
	v_wmma_f32_16x16x16_f16 v[8:15], v[20:27], v[96:103], v[8:15]
	ds_load_b128 v[20:23], v78 offset:96
	ds_load_b128 v[24:27], v78 offset:112
	v_wmma_f32_16x16x16_f16 v[0:7], v[52:59], v[96:103], v[0:7]
	s_waitcnt lgkmcnt(4)
	v_wmma_f32_16x16x16_f16 v[8:15], v[28:35], v[104:111], v[8:15]
	s_delay_alu instid0(VALU_DEP_2) | instskip(SKIP_1) | instid1(VALU_DEP_2)
	v_wmma_f32_16x16x16_f16 v[0:7], v[60:67], v[104:111], v[0:7]
	s_waitcnt lgkmcnt(2)
	v_wmma_f32_16x16x16_f16 v[8:15], v[36:43], v[112:119], v[8:15]
	s_delay_alu instid0(VALU_DEP_2) | instskip(SKIP_1) | instid1(VALU_DEP_2)
	v_wmma_f32_16x16x16_f16 v[0:7], v[80:87], v[112:119], v[0:7]
	s_waitcnt lgkmcnt(0)
	v_wmma_f32_16x16x16_f16 v[8:15], v[44:51], v[20:27], v[8:15]
	s_delay_alu instid0(VALU_DEP_2)
	v_wmma_f32_16x16x16_f16 v[0:7], v[88:95], v[20:27], v[0:7]
	s_and_not1_b32 exec_lo, exec_lo, s16
	s_cbranch_execnz .LBB41_4
; %bb.5:
	s_or_b32 exec_lo, exec_lo, s16
.LBB41_6:
	s_delay_alu instid0(SALU_CYCLE_1)
	s_or_b32 exec_lo, exec_lo, s19
	v_lshrrev_b32_e32 v16, 2, v73
	v_mad_u32_u24 v17, 0x290, v75, 0
	v_lshlrev_b32_e32 v18, 2, v74
	s_waitcnt lgkmcnt(0)
	s_barrier
	v_and_b32_e32 v16, 0xfc, v16
	buffer_gl0_inv
	s_mul_hi_i32 s1, s11, s15
	s_mul_i32 s0, s11, s15
	s_mul_i32 s2, s14, s7
	v_add3_u32 v17, v17, v16, v18
	v_lshl_add_u32 v16, v73, 2, 0
	s_lshl_b64 s[0:1], s[0:1], 2
	ds_store_2addr_b32 v17, v8, v9 offset1:2
	ds_store_2addr_b32 v17, v10, v11 offset0:4 offset1:6
	ds_store_2addr_b32 v17, v12, v13 offset0:8 offset1:10
	ds_store_2addr_b32 v17, v14, v15 offset0:12 offset1:14
	ds_store_2addr_b32 v17, v0, v1 offset0:16 offset1:18
	ds_store_2addr_b32 v17, v2, v3 offset0:20 offset1:22
	ds_store_2addr_b32 v17, v4, v5 offset0:24 offset1:26
	v_mad_u32_u24 v10, 0x290, v72, v16
	ds_store_2addr_b32 v17, v6, v7 offset0:28 offset1:30
	s_waitcnt lgkmcnt(0)
	s_barrier
	buffer_gl0_inv
	v_add_nc_u32_e32 v1, 0xc00, v10
	s_add_u32 s4, s20, s0
	s_addc_u32 s5, s21, s1
	ds_load_2addr_b32 v[2:3], v10 offset1:32
	ds_load_2addr_b32 v[4:5], v1 offset0:52 offset1:84
	ds_load_2addr_b32 v[6:7], v10 offset0:64 offset1:96
	ds_load_b32 v12, v10 offset:512
	ds_load_b32 v10, v10 offset:3792
	s_ashr_i32 s3, s2, 31
	s_delay_alu instid0(SALU_CYCLE_1)
	s_lshl_b64 s[0:1], s[2:3], 2
	s_mov_b32 s2, exec_lo
	s_add_u32 s0, s4, s0
	s_addc_u32 s1, s5, s1
	s_waitcnt lgkmcnt(3)
	v_dual_add_f32 v11, 0, v2 :: v_dual_add_f32 v4, 0, v4
	ds_load_2addr_b32 v[8:9], v1 offset0:116 offset1:148
	v_add_f32_e32 v11, v11, v3
	s_waitcnt lgkmcnt(3)
	s_delay_alu instid0(VALU_DEP_1) | instskip(NEXT) | instid1(VALU_DEP_1)
	v_dual_add_f32 v5, v4, v5 :: v_dual_add_f32 v6, v11, v6
	v_dual_add_f32 v7, v6, v7 :: v_dual_add_nc_u32 v0, s12, v73
	s_delay_alu instid0(VALU_DEP_1) | instskip(SKIP_1) | instid1(VALU_DEP_2)
	v_mad_u64_u32 v[1:2], null, v72, s18, v[0:1]
	s_waitcnt lgkmcnt(2)
	v_dual_mov_b32 v2, 0 :: v_dual_add_f32 v7, v7, v12
	s_waitcnt lgkmcnt(0)
	v_add_f32_e32 v8, v5, v8
	s_delay_alu instid0(VALU_DEP_2) | instskip(SKIP_2) | instid1(VALU_DEP_4)
	v_mad_u64_u32 v[3:4], null, s18, 5, v[1:2]
	v_mov_b32_e32 v4, v2
	v_lshlrev_b64 v[5:6], 2, v[1:2]
	v_add_f32_e32 v1, v8, v9
	s_delay_alu instid0(VALU_DEP_3) | instskip(NEXT) | instid1(VALU_DEP_3)
	v_lshlrev_b64 v[3:4], 2, v[3:4]
	v_add_co_u32 v5, vcc_lo, s0, v5
	s_delay_alu instid0(VALU_DEP_4) | instskip(NEXT) | instid1(VALU_DEP_4)
	v_add_co_ci_u32_e32 v6, vcc_lo, s1, v6, vcc_lo
	v_add_f32_e32 v1, v1, v10
	s_delay_alu instid0(VALU_DEP_4)
	v_add_co_u32 v3, vcc_lo, s0, v3
	v_add_co_ci_u32_e32 v4, vcc_lo, s1, v4, vcc_lo
	s_clause 0x1
	global_store_b32 v[5:6], v7, off
	global_store_b32 v[3:4], v1, off
	v_cmpx_eq_u32_e32 0, v72
	s_cbranch_execz .LBB41_8
; %bb.7:
	v_add_nc_u32_e32 v1, 0x1800, v16
	ds_load_2addr_b32 v[3:4], v1 offset0:104 offset1:136
	ds_load_2addr_b32 v[5:6], v1 offset0:168 offset1:200
	ds_load_b32 v7, v16 offset:7072
	s_waitcnt lgkmcnt(2)
	v_add_f32_e32 v1, 0, v3
	s_delay_alu instid0(VALU_DEP_1) | instskip(NEXT) | instid1(VALU_DEP_1)
	v_add_f32_e32 v1, v1, v4
	v_mad_u64_u32 v[3:4], null, s18, 10, v[0:1]
	s_waitcnt lgkmcnt(1)
	v_add_f32_e32 v0, v1, v5
	v_mov_b32_e32 v4, v2
	s_delay_alu instid0(VALU_DEP_2) | instskip(NEXT) | instid1(VALU_DEP_2)
	v_add_f32_e32 v2, v0, v6
	v_lshlrev_b64 v[0:1], 2, v[3:4]
	s_waitcnt lgkmcnt(0)
	s_delay_alu instid0(VALU_DEP_2) | instskip(NEXT) | instid1(VALU_DEP_2)
	v_add_f32_e32 v2, v2, v7
	v_add_co_u32 v0, vcc_lo, s0, v0
	s_delay_alu instid0(VALU_DEP_3)
	v_add_co_ci_u32_e32 v1, vcc_lo, s1, v1, vcc_lo
	global_store_b32 v[0:1], v2, off
.LBB41_8:
	s_nop 0
	s_sendmsg sendmsg(MSG_DEALLOC_VGPRS)
	s_endpgm
	.section	.rodata,"a",@progbits
	.p2align	6, 0x0
	.amdhsa_kernel _ZL9mul_mat_fI7__half2Li32ELi11ELi5ELb0EEvPKT_PKfPKiPfiiiiiiiiiiiiiiii
		.amdhsa_group_segment_fixed_size 0
		.amdhsa_private_segment_fixed_size 0
		.amdhsa_kernarg_size 96
		.amdhsa_user_sgpr_count 13
		.amdhsa_user_sgpr_dispatch_ptr 0
		.amdhsa_user_sgpr_queue_ptr 0
		.amdhsa_user_sgpr_kernarg_segment_ptr 1
		.amdhsa_user_sgpr_dispatch_id 0
		.amdhsa_user_sgpr_private_segment_size 0
		.amdhsa_wavefront_size32 1
		.amdhsa_uses_dynamic_stack 0
		.amdhsa_enable_private_segment 0
		.amdhsa_system_sgpr_workgroup_id_x 1
		.amdhsa_system_sgpr_workgroup_id_y 1
		.amdhsa_system_sgpr_workgroup_id_z 1
		.amdhsa_system_sgpr_workgroup_info 0
		.amdhsa_system_vgpr_workitem_id 1
		.amdhsa_next_free_vgpr 121
		.amdhsa_next_free_sgpr 60
		.amdhsa_reserve_vcc 1
		.amdhsa_float_round_mode_32 0
		.amdhsa_float_round_mode_16_64 0
		.amdhsa_float_denorm_mode_32 3
		.amdhsa_float_denorm_mode_16_64 3
		.amdhsa_dx10_clamp 1
		.amdhsa_ieee_mode 1
		.amdhsa_fp16_overflow 0
		.amdhsa_workgroup_processor_mode 1
		.amdhsa_memory_ordered 1
		.amdhsa_forward_progress 0
		.amdhsa_shared_vgpr_count 0
		.amdhsa_exception_fp_ieee_invalid_op 0
		.amdhsa_exception_fp_denorm_src 0
		.amdhsa_exception_fp_ieee_div_zero 0
		.amdhsa_exception_fp_ieee_overflow 0
		.amdhsa_exception_fp_ieee_underflow 0
		.amdhsa_exception_fp_ieee_inexact 0
		.amdhsa_exception_int_div_zero 0
	.end_amdhsa_kernel
	.section	.text._ZL9mul_mat_fI7__half2Li32ELi11ELi5ELb0EEvPKT_PKfPKiPfiiiiiiiiiiiiiiii,"axG",@progbits,_ZL9mul_mat_fI7__half2Li32ELi11ELi5ELb0EEvPKT_PKfPKiPfiiiiiiiiiiiiiiii,comdat
.Lfunc_end41:
	.size	_ZL9mul_mat_fI7__half2Li32ELi11ELi5ELb0EEvPKT_PKfPKiPfiiiiiiiiiiiiiiii, .Lfunc_end41-_ZL9mul_mat_fI7__half2Li32ELi11ELi5ELb0EEvPKT_PKfPKiPfiiiiiiiiiiiiiiii
                                        ; -- End function
	.section	.AMDGPU.csdata,"",@progbits
; Kernel info:
; codeLenInByte = 3984
; NumSgprs: 62
; NumVgprs: 121
; ScratchSize: 0
; MemoryBound: 0
; FloatMode: 240
; IeeeMode: 1
; LDSByteSize: 0 bytes/workgroup (compile time only)
; SGPRBlocks: 7
; VGPRBlocks: 15
; NumSGPRsForWavesPerEU: 62
; NumVGPRsForWavesPerEU: 121
; Occupancy: 10
; WaveLimiterHint : 0
; COMPUTE_PGM_RSRC2:SCRATCH_EN: 0
; COMPUTE_PGM_RSRC2:USER_SGPR: 13
; COMPUTE_PGM_RSRC2:TRAP_HANDLER: 0
; COMPUTE_PGM_RSRC2:TGID_X_EN: 1
; COMPUTE_PGM_RSRC2:TGID_Y_EN: 1
; COMPUTE_PGM_RSRC2:TGID_Z_EN: 1
; COMPUTE_PGM_RSRC2:TIDIG_COMP_CNT: 1
	.section	.text._ZL13mul_mat_f_idsI7__half2Li32ELi11ELi6EEvPKT_PKfPKiS7_S7_Pfiiiiiiiiiiiiii15HIP_vector_typeIjLj3EESA_,"axG",@progbits,_ZL13mul_mat_f_idsI7__half2Li32ELi11ELi6EEvPKT_PKfPKiS7_S7_Pfiiiiiiiiiiiiii15HIP_vector_typeIjLj3EESA_,comdat
	.globl	_ZL13mul_mat_f_idsI7__half2Li32ELi11ELi6EEvPKT_PKfPKiS7_S7_Pfiiiiiiiiiiiiii15HIP_vector_typeIjLj3EESA_ ; -- Begin function _ZL13mul_mat_f_idsI7__half2Li32ELi11ELi6EEvPKT_PKfPKiS7_S7_Pfiiiiiiiiiiiiii15HIP_vector_typeIjLj3EESA_
	.p2align	8
	.type	_ZL13mul_mat_f_idsI7__half2Li32ELi11ELi6EEvPKT_PKfPKiS7_S7_Pfiiiiiiiiiiiiii15HIP_vector_typeIjLj3EESA_,@function
_ZL13mul_mat_f_idsI7__half2Li32ELi11ELi6EEvPKT_PKfPKiS7_S7_Pfiiiiiiiiiiiiii15HIP_vector_typeIjLj3EESA_: ; @_ZL13mul_mat_f_idsI7__half2Li32ELi11ELi6EEvPKT_PKfPKiS7_S7_Pfiiiiiiiiiiiiii15HIP_vector_typeIjLj3EESA_
; %bb.0:
	s_load_b64 s[4:5], s[0:1], 0x20
	s_mov_b32 s2, s15
	s_ashr_i32 s15, s14, 31
	s_delay_alu instid0(SALU_CYCLE_1)
	s_lshl_b64 s[6:7], s[14:15], 2
	s_waitcnt lgkmcnt(0)
	s_add_u32 s4, s4, s6
	s_addc_u32 s5, s5, s7
	s_load_b64 s[30:31], s[4:5], 0x0
	s_waitcnt lgkmcnt(0)
	s_sub_i32 s33, s31, s30
	s_delay_alu instid0(SALU_CYCLE_1) | instskip(NEXT) | instid1(SALU_CYCLE_1)
	s_add_i32 s3, s33, 10
	s_mul_hi_i32 s3, s3, 0x2e8ba2e9
	s_delay_alu instid0(SALU_CYCLE_1) | instskip(SKIP_1) | instid1(SALU_CYCLE_1)
	s_lshr_b32 s4, s3, 31
	s_ashr_i32 s3, s3, 1
	s_add_i32 s3, s3, s4
	s_delay_alu instid0(SALU_CYCLE_1)
	s_cmp_ge_i32 s2, s3
	s_cbranch_scc1 .LBB42_47
; %bb.1:
	s_clause 0x4
	s_load_b128 s[8:11], s[0:1], 0x30
	s_load_b64 s[24:25], s[0:1], 0x40
	s_load_b128 s[4:7], s[0:1], 0x4c
	s_load_b128 s[16:19], s[0:1], 0x68
	s_load_b64 s[26:27], s[0:1], 0x78
	v_bfe_u32 v105, v0, 10, 10
	v_and_b32_e32 v106, 0x3ff, v0
	s_ashr_i32 s31, s30, 31
	s_waitcnt lgkmcnt(0)
	s_mov_b32 s7, exec_lo
                                        ; implicit-def: $sgpr3
	v_lshlrev_b32_e32 v107, 5, v105
	v_and_b32_e32 v108, 15, v106
	s_delay_alu instid0(VALU_DEP_2) | instskip(NEXT) | instid1(VALU_DEP_1)
	v_add_nc_u32_e32 v80, v107, v106
	v_cmpx_le_i32_e64 s8, v80
	s_xor_b32 s7, exec_lo, s7
; %bb.2:
	v_and_b32_e32 v108, 15, v106
	s_mov_b32 s3, 0
                                        ; implicit-def: $vgpr80
; %bb.3:
	s_or_saveexec_b32 s36, s7
	s_clause 0x1
	s_load_b64 s[34:35], s[0:1], 0x18
	s_load_b64 s[28:29], s[0:1], 0x28
	v_dual_mov_b32 v7, s3 :: v_dual_mov_b32 v6, s3
	v_dual_mov_b32 v5, s3 :: v_dual_mov_b32 v4, s3
	;; [unrolled: 1-line block ×8, first 2 shown]
	s_lshl_b32 s7, s13, 5
	s_mul_i32 s2, s2, 11
	s_xor_b32 exec_lo, exec_lo, s36
	s_cbranch_execz .LBB42_40
; %bb.4:
	s_clause 0x1
	s_load_b128 s[20:23], s[0:1], 0x0
	s_load_b64 s[12:13], s[0:1], 0x10
	s_mul_i32 s0, s7, s11
	s_mul_i32 s14, s14, s4
	s_ashr_i32 s1, s0, 31
	s_ashr_i32 s15, s14, 31
	s_lshl_b64 s[0:1], s[0:1], 2
	s_lshl_b64 s[14:15], s[14:15], 2
	v_dual_mov_b32 v8, 0 :: v_dual_lshlrev_b32 v3, 7, v105
	s_add_u32 s0, s14, s0
	s_addc_u32 s47, s15, s1
	v_mad_u32_u24 v0, 0x900, v105, 0
	v_dual_mov_b32 v110, 0 :: v_dual_lshlrev_b32 v1, 2, v106
	v_mul_u32_u24_e32 v2, 0x90, v108
	s_mov_b32 s41, 0
	s_mul_i32 s45, s11, 3
	s_delay_alu instid0(VALU_DEP_2)
	v_dual_mov_b32 v10, v110 :: v_dual_add_nc_u32 v109, v0, v1
	s_waitcnt lgkmcnt(0)
	s_add_u32 s1, s0, s20
	s_addc_u32 s4, s47, s21
	s_lshl_b64 s[14:15], s[30:31], 2
	v_add_co_u32 v3, s0, s0, v3
	s_add_u32 s14, s12, s14
	s_addc_u32 s15, s13, s15
	s_cmp_lt_i32 s2, s33
	v_add_co_ci_u32_e64 v4, null, s47, 0, s0
	s_cselect_b32 s37, -1, 0
	s_ashr_i32 s3, s2, 31
	v_add_co_u32 v1, vcc_lo, v3, v1
	s_lshl_b64 s[12:13], s[2:3], 2
	v_add_co_ci_u32_e32 v3, vcc_lo, 0, v4, vcc_lo
	s_add_u32 s12, s14, s12
	s_addc_u32 s13, s15, s13
	s_add_i32 s3, s2, 1
	v_add_co_u32 v81, vcc_lo, s20, v1
	s_cmp_lt_i32 s3, s33
	v_add_co_ci_u32_e32 v82, vcc_lo, s21, v3, vcc_lo
	s_cselect_b32 s3, -1, 0
	s_add_i32 s14, s2, 2
	v_dual_mov_b32 v12, v110 :: v_dual_add_nc_u32 v111, v0, v2
	s_cmp_lt_i32 s14, s33
	v_dual_mov_b32 v9, v110 :: v_dual_mov_b32 v0, 0
	s_cselect_b32 s38, -1, 0
	s_add_i32 s14, s2, 3
	v_mov_b32_e32 v11, v110
	s_cmp_lt_i32 s14, s33
	v_mov_b32_e32 v13, v110
	s_cselect_b32 s39, -1, 0
	s_add_i32 s14, s2, 4
	v_mov_b32_e32 v14, v110
	s_cmp_lt_i32 s14, s33
	v_mov_b32_e32 v15, v110
	;; [unrolled: 5-line block ×5, first 2 shown]
	s_cselect_b32 s44, -1, 0
	s_add_i32 s15, s2, 8
	v_mov_b32_e32 v7, v110
	s_cmp_lt_i32 s15, s33
	s_mov_b32 s14, s11
	s_cselect_b32 s46, -1, 0
	s_add_i32 s15, s2, 9
	s_mul_i32 s49, s11, 5
	s_cmp_lt_i32 s15, s33
	s_mul_i32 s50, s11, 6
	s_cselect_b32 s47, -1, 0
	s_add_i32 s0, s2, 10
	s_mul_i32 s51, s11, 7
	s_cmp_lt_i32 s0, s33
	s_mul_i32 s53, s11, 9
	s_cselect_b32 s20, -1, 0
	s_ashr_i32 s15, s11, 31
	s_lshl_b32 s21, s11, 1
	s_lshl_b32 s48, s11, 2
	s_lshl_b64 s[14:15], s[14:15], 2
	s_lshl_b32 s52, s11, 3
	s_mul_i32 s54, s11, 10
	s_mul_i32 s55, s11, 11
	;; [unrolled: 1-line block ×6, first 2 shown]
	s_lshl_b32 s60, s11, 4
	s_mul_i32 s61, s11, 17
	s_mul_i32 s62, s11, 18
	;; [unrolled: 1-line block ×15, first 2 shown]
	s_branch .LBB42_6
.LBB42_5:                               ;   in Loop: Header=BB42_6 Depth=1
	s_waitcnt vmcnt(0)
	v_cvt_f16_f32_e32 v83, v83
	v_cvt_f16_f32_e32 v84, v84
	;; [unrolled: 1-line block ×8, first 2 shown]
	v_pack_b32_f16 v83, v83, v84
	v_pack_b32_f16 v84, v87, v88
	v_cvt_f16_f32_e32 v87, v89
	v_cvt_f16_f32_e32 v88, v90
	v_pack_b32_f16 v85, v85, v86
	v_pack_b32_f16 v86, v91, v92
	v_cvt_f16_f32_e32 v89, v95
	v_cvt_f16_f32_e32 v90, v96
	;; [unrolled: 1-line block ×4, first 2 shown]
	ds_store_2addr_b32 v109, v83, v84 offset1:36
	ds_store_2addr_b32 v109, v85, v86 offset0:72 offset1:108
	v_pack_b32_f16 v83, v87, v88
	v_cvt_f16_f32_e32 v86, v99
	v_cvt_f16_f32_e32 v87, v100
	v_pack_b32_f16 v84, v89, v90
	v_pack_b32_f16 v85, v91, v92
	v_cvt_f16_f32_e32 v88, v97
	v_cvt_f16_f32_e32 v89, v98
	;; [unrolled: 1-line block ×6, first 2 shown]
	v_pack_b32_f16 v86, v86, v87
	v_pack_b32_f16 v87, v88, v89
	;; [unrolled: 1-line block ×3, first 2 shown]
	v_add_nc_u32_e32 v89, 0x400, v109
	v_pack_b32_f16 v90, v92, v93
	ds_store_2addr_b32 v109, v83, v84 offset0:144 offset1:180
	v_add_nc_u32_e32 v83, 0x600, v109
	ds_store_2addr_b32 v109, v85, v86 offset0:216 offset1:252
	ds_store_2addr_b32 v89, v87, v88 offset0:32 offset1:68
	;; [unrolled: 1-line block ×5, first 2 shown]
	ds_load_b128 v[83:86], v111
	ds_load_b128 v[87:90], v111 offset:16
	ds_load_b128 v[91:94], v111 offset:32
	;; [unrolled: 1-line block ×5, first 2 shown]
	v_add_nc_u32_e32 v80, 0xc0, v80
	v_add_co_u32 v81, s0, 0x300, v81
	s_delay_alu instid0(VALU_DEP_1) | instskip(NEXT) | instid1(VALU_DEP_3)
	v_add_co_ci_u32_e64 v82, s0, 0, v82, s0
	v_cmp_le_i32_e32 vcc_lo, s8, v80
	s_or_b32 s41, vcc_lo, s41
	s_waitcnt lgkmcnt(4)
	v_wmma_f32_16x16x16_f16 v[8:15], v[48:55], v[83:90], v[8:15]
	ds_load_b128 v[48:51], v111 offset:96
	ds_load_b128 v[52:55], v111 offset:112
	v_wmma_f32_16x16x16_f16 v[0:7], v[72:79], v[83:90], v[0:7]
	s_waitcnt lgkmcnt(4)
	v_wmma_f32_16x16x16_f16 v[8:15], v[32:39], v[91:98], v[8:15]
	s_delay_alu instid0(VALU_DEP_2) | instskip(SKIP_1) | instid1(VALU_DEP_2)
	v_wmma_f32_16x16x16_f16 v[0:7], v[64:71], v[91:98], v[0:7]
	s_waitcnt lgkmcnt(2)
	v_wmma_f32_16x16x16_f16 v[8:15], v[24:31], v[112:119], v[8:15]
	s_delay_alu instid0(VALU_DEP_2) | instskip(SKIP_1) | instid1(VALU_DEP_2)
	v_wmma_f32_16x16x16_f16 v[0:7], v[56:63], v[112:119], v[0:7]
	s_waitcnt lgkmcnt(0)
	v_wmma_f32_16x16x16_f16 v[8:15], v[16:23], v[48:55], v[8:15]
	s_delay_alu instid0(VALU_DEP_2)
	v_wmma_f32_16x16x16_f16 v[0:7], v[40:47], v[48:55], v[0:7]
	s_and_not1_b32 exec_lo, exec_lo, s41
	s_cbranch_execz .LBB42_39
.LBB42_6:                               ; =>This Inner Loop Header: Depth=1
	v_dual_mov_b32 v83, 0 :: v_dual_add_nc_u32 v16, s21, v80
	v_add_nc_u32_e32 v22, s48, v80
	v_add_nc_u32_e32 v18, s45, v80
	v_add_co_u32 v20, vcc_lo, v81, s14
	s_delay_alu instid0(VALU_DEP_4)
	v_ashrrev_i32_e32 v17, 31, v16
	v_add_co_ci_u32_e32 v21, vcc_lo, s15, v82, vcc_lo
	v_ashrrev_i32_e32 v23, 31, v22
	v_ashrrev_i32_e32 v19, 31, v18
	v_add_nc_u32_e32 v24, s49, v80
	v_lshlrev_b64 v[16:17], 2, v[16:17]
	s_clause 0x1
	global_load_b32 v38, v[81:82], off
	global_load_b32 v39, v[20:21], off
	v_lshlrev_b64 v[20:21], 2, v[22:23]
	v_add_nc_u32_e32 v22, s50, v80
	v_lshlrev_b64 v[18:19], 2, v[18:19]
	v_ashrrev_i32_e32 v25, 31, v24
	v_add_nc_u32_e32 v26, s51, v80
	v_add_co_u32 v16, vcc_lo, s1, v16
	v_ashrrev_i32_e32 v23, 31, v22
	v_add_co_ci_u32_e32 v17, vcc_lo, s4, v17, vcc_lo
	v_add_nc_u32_e32 v28, s52, v80
	v_add_co_u32 v18, vcc_lo, s1, v18
	v_lshlrev_b64 v[24:25], 2, v[24:25]
	v_ashrrev_i32_e32 v27, 31, v26
	v_add_co_ci_u32_e32 v19, vcc_lo, s4, v19, vcc_lo
	v_add_nc_u32_e32 v30, s53, v80
	v_add_co_u32 v20, vcc_lo, s1, v20
	v_lshlrev_b64 v[22:23], 2, v[22:23]
	v_ashrrev_i32_e32 v29, 31, v28
	v_add_co_ci_u32_e32 v21, vcc_lo, s4, v21, vcc_lo
	v_add_co_u32 v24, vcc_lo, s1, v24
	v_lshlrev_b64 v[26:27], 2, v[26:27]
	v_ashrrev_i32_e32 v31, 31, v30
	v_add_co_ci_u32_e32 v25, vcc_lo, s4, v25, vcc_lo
	v_add_co_u32 v22, vcc_lo, s1, v22
	v_lshlrev_b64 v[28:29], 2, v[28:29]
	v_add_co_ci_u32_e32 v23, vcc_lo, s4, v23, vcc_lo
	v_add_nc_u32_e32 v32, s54, v80
	v_add_co_u32 v26, vcc_lo, s1, v26
	v_lshlrev_b64 v[30:31], 2, v[30:31]
	v_add_co_ci_u32_e32 v27, vcc_lo, s4, v27, vcc_lo
	v_add_nc_u32_e32 v34, s55, v80
	v_add_co_u32 v28, vcc_lo, s1, v28
	v_ashrrev_i32_e32 v33, 31, v32
	v_add_co_ci_u32_e32 v29, vcc_lo, s4, v29, vcc_lo
	v_add_nc_u32_e32 v36, s56, v80
	v_add_co_u32 v30, vcc_lo, s1, v30
	v_ashrrev_i32_e32 v35, 31, v34
	v_add_co_ci_u32_e32 v31, vcc_lo, s4, v31, vcc_lo
	s_clause 0x7
	global_load_b32 v40, v[16:17], off
	global_load_b32 v41, v[18:19], off
	global_load_b32 v42, v[20:21], off
	global_load_b32 v43, v[24:25], off
	global_load_b32 v44, v[22:23], off
	global_load_b32 v45, v[26:27], off
	global_load_b32 v46, v[28:29], off
	global_load_b32 v47, v[30:31], off
	v_add_nc_u32_e32 v18, s57, v80
	v_lshlrev_b64 v[32:33], 2, v[32:33]
	v_ashrrev_i32_e32 v37, 31, v36
	v_add_nc_u32_e32 v24, s58, v80
	v_lshlrev_b64 v[16:17], 2, v[34:35]
	v_ashrrev_i32_e32 v19, 31, v18
	v_add_nc_u32_e32 v26, s59, v80
	v_add_co_u32 v20, vcc_lo, s1, v32
	v_lshlrev_b64 v[22:23], 2, v[36:37]
	v_ashrrev_i32_e32 v25, 31, v24
	v_add_co_ci_u32_e32 v21, vcc_lo, s4, v33, vcc_lo
	v_add_nc_u32_e32 v28, s60, v80
	v_add_co_u32 v16, vcc_lo, s1, v16
	v_lshlrev_b64 v[18:19], 2, v[18:19]
	v_ashrrev_i32_e32 v27, 31, v26
	v_add_co_ci_u32_e32 v17, vcc_lo, s4, v17, vcc_lo
	v_add_nc_u32_e32 v30, s61, v80
	v_add_co_u32 v22, vcc_lo, s1, v22
	v_lshlrev_b64 v[24:25], 2, v[24:25]
	v_ashrrev_i32_e32 v29, 31, v28
	v_add_co_ci_u32_e32 v23, vcc_lo, s4, v23, vcc_lo
	v_add_co_u32 v18, vcc_lo, s1, v18
	v_lshlrev_b64 v[26:27], 2, v[26:27]
	v_ashrrev_i32_e32 v31, 31, v30
	v_add_co_ci_u32_e32 v19, vcc_lo, s4, v19, vcc_lo
	v_add_co_u32 v24, vcc_lo, s1, v24
	v_lshlrev_b64 v[28:29], 2, v[28:29]
	v_add_co_ci_u32_e32 v25, vcc_lo, s4, v25, vcc_lo
	v_add_nc_u32_e32 v32, s62, v80
	v_add_co_u32 v26, vcc_lo, s1, v26
	v_lshlrev_b64 v[30:31], 2, v[30:31]
	v_add_co_ci_u32_e32 v27, vcc_lo, s4, v27, vcc_lo
	v_add_nc_u32_e32 v34, s63, v80
	v_add_co_u32 v28, vcc_lo, s1, v28
	v_ashrrev_i32_e32 v33, 31, v32
	v_add_co_ci_u32_e32 v29, vcc_lo, s4, v29, vcc_lo
	v_add_nc_u32_e32 v36, s64, v80
	v_add_co_u32 v30, vcc_lo, s1, v30
	v_ashrrev_i32_e32 v35, 31, v34
	v_add_co_ci_u32_e32 v31, vcc_lo, s4, v31, vcc_lo
	s_clause 0x7
	global_load_b32 v48, v[20:21], off
	global_load_b32 v49, v[16:17], off
	global_load_b32 v50, v[22:23], off
	global_load_b32 v51, v[18:19], off
	global_load_b32 v52, v[24:25], off
	global_load_b32 v53, v[26:27], off
	global_load_b32 v56, v[28:29], off
	global_load_b32 v57, v[30:31], off
	v_add_nc_u32_e32 v18, s65, v80
	v_lshlrev_b64 v[32:33], 2, v[32:33]
	v_ashrrev_i32_e32 v37, 31, v36
	v_add_nc_u32_e32 v24, s66, v80
	v_lshlrev_b64 v[16:17], 2, v[34:35]
	v_ashrrev_i32_e32 v19, 31, v18
	v_add_nc_u32_e32 v26, s67, v80
	v_add_co_u32 v20, vcc_lo, s1, v32
	v_lshlrev_b64 v[22:23], 2, v[36:37]
	;; [unrolled: 49-line block ×3, first 2 shown]
	v_ashrrev_i32_e32 v25, 31, v24
	v_add_co_ci_u32_e32 v21, vcc_lo, s4, v33, vcc_lo
	v_add_co_u32 v16, vcc_lo, s1, v16
	v_lshlrev_b64 v[18:19], 2, v[18:19]
	v_ashrrev_i32_e32 v27, 31, v26
	v_add_co_ci_u32_e32 v17, vcc_lo, s4, v17, vcc_lo
	v_add_co_u32 v22, vcc_lo, s1, v22
	v_lshlrev_b64 v[24:25], 2, v[24:25]
	v_add_co_ci_u32_e32 v23, vcc_lo, s4, v23, vcc_lo
	v_add_co_u32 v18, vcc_lo, s1, v18
	v_lshlrev_b64 v[26:27], 2, v[26:27]
	v_add_co_ci_u32_e32 v19, vcc_lo, s4, v19, vcc_lo
	v_add_co_u32 v24, vcc_lo, s1, v24
	v_add_co_ci_u32_e32 v25, vcc_lo, s4, v25, vcc_lo
	s_delay_alu instid0(VALU_DEP_4)
	v_add_co_u32 v26, vcc_lo, s1, v26
	v_add_co_ci_u32_e32 v27, vcc_lo, s4, v27, vcc_lo
	s_clause 0x5
	global_load_b32 v66, v[20:21], off
	global_load_b32 v67, v[16:17], off
	;; [unrolled: 1-line block ×6, first 2 shown]
	v_mov_b32_e32 v84, 0
	s_and_not1_b32 vcc_lo, exec_lo, s37
	s_waitcnt vmcnt(31)
	ds_store_b32 v109, v38
	s_waitcnt vmcnt(30)
	ds_store_b32 v109, v39 offset:144
	s_waitcnt vmcnt(29)
	ds_store_b32 v109, v40 offset:288
	;; [unrolled: 2-line block ×15, first 2 shown]
	ds_load_b128 v[48:51], v111
	ds_load_b128 v[52:55], v111 offset:16
	ds_load_b128 v[32:35], v111 offset:32
	;; [unrolled: 1-line block ×7, first 2 shown]
	s_waitcnt vmcnt(15)
	ds_store_b32 v109, v56
	s_waitcnt vmcnt(14)
	ds_store_b32 v109, v57 offset:144
	s_waitcnt vmcnt(13)
	ds_store_b32 v109, v58 offset:288
	;; [unrolled: 2-line block ×15, first 2 shown]
	ds_load_b128 v[72:75], v111
	ds_load_b128 v[76:79], v111 offset:16
	ds_load_b128 v[64:67], v111 offset:32
	;; [unrolled: 1-line block ×7, first 2 shown]
	s_cbranch_vccnz .LBB42_9
; %bb.7:                                ;   in Loop: Header=BB42_6 Depth=1
	s_load_b32 s0, s[12:13], 0x0
	v_dual_mov_b32 v84, 0 :: v_dual_mov_b32 v83, 0
	s_waitcnt lgkmcnt(0)
	s_mul_hi_u32 s75, s0, s16
	s_delay_alu instid0(SALU_CYCLE_1) | instskip(NEXT) | instid1(SALU_CYCLE_1)
	s_add_i32 s75, s0, s75
	s_lshr_b32 s75, s75, s17
	s_delay_alu instid0(SALU_CYCLE_1)
	s_cmp_ge_i32 s75, s9
	s_cbranch_scc1 .LBB42_9
; %bb.8:                                ;   in Loop: Header=BB42_6 Depth=1
	v_mad_u64_u32 v[83:84], null, s75, s24, v[80:81]
	s_mul_i32 s75, s75, s18
	s_delay_alu instid0(SALU_CYCLE_1) | instskip(NEXT) | instid1(SALU_CYCLE_1)
	s_sub_i32 s0, s0, s75
	s_mul_i32 s0, s0, s5
	s_delay_alu instid0(VALU_DEP_1) | instid1(SALU_CYCLE_1)
	v_lshl_add_u32 v83, v83, 1, s0
	s_delay_alu instid0(VALU_DEP_1) | instskip(NEXT) | instid1(VALU_DEP_1)
	v_ashrrev_i32_e32 v84, 31, v83
	v_lshlrev_b64 v[83:84], 2, v[83:84]
	s_delay_alu instid0(VALU_DEP_1) | instskip(NEXT) | instid1(VALU_DEP_2)
	v_add_co_u32 v83, vcc_lo, s22, v83
	v_add_co_ci_u32_e32 v84, vcc_lo, s23, v84, vcc_lo
	global_load_b64 v[83:84], v[83:84], off
.LBB42_9:                               ;   in Loop: Header=BB42_6 Depth=1
	v_dual_mov_b32 v85, 0 :: v_dual_mov_b32 v88, 0
	v_mov_b32_e32 v87, 0
	s_and_not1_b32 vcc_lo, exec_lo, s3
	s_cbranch_vccnz .LBB42_12
; %bb.10:                               ;   in Loop: Header=BB42_6 Depth=1
	s_load_b32 s0, s[12:13], 0x4
	v_dual_mov_b32 v88, 0 :: v_dual_mov_b32 v87, 0
	s_waitcnt lgkmcnt(0)
	s_mul_hi_u32 s75, s0, s16
	s_delay_alu instid0(SALU_CYCLE_1) | instskip(NEXT) | instid1(SALU_CYCLE_1)
	s_add_i32 s75, s0, s75
	s_lshr_b32 s75, s75, s17
	s_delay_alu instid0(SALU_CYCLE_1)
	s_cmp_ge_i32 s75, s9
	s_cbranch_scc1 .LBB42_12
; %bb.11:                               ;   in Loop: Header=BB42_6 Depth=1
	v_mad_u64_u32 v[86:87], null, s75, s24, v[80:81]
	s_mul_i32 s75, s75, s18
	s_delay_alu instid0(SALU_CYCLE_1) | instskip(NEXT) | instid1(SALU_CYCLE_1)
	s_sub_i32 s0, s0, s75
	s_mul_i32 s0, s0, s5
	s_delay_alu instid0(VALU_DEP_1) | instid1(SALU_CYCLE_1)
	v_lshl_add_u32 v86, v86, 1, s0
	s_delay_alu instid0(VALU_DEP_1) | instskip(NEXT) | instid1(VALU_DEP_1)
	v_ashrrev_i32_e32 v87, 31, v86
	v_lshlrev_b64 v[86:87], 2, v[86:87]
	s_delay_alu instid0(VALU_DEP_1) | instskip(NEXT) | instid1(VALU_DEP_2)
	v_add_co_u32 v86, vcc_lo, s22, v86
	v_add_co_ci_u32_e32 v87, vcc_lo, s23, v87, vcc_lo
	global_load_b64 v[87:88], v[86:87], off
.LBB42_12:                              ;   in Loop: Header=BB42_6 Depth=1
	v_mov_b32_e32 v86, 0
	s_and_not1_b32 vcc_lo, exec_lo, s38
	s_cbranch_vccnz .LBB42_15
; %bb.13:                               ;   in Loop: Header=BB42_6 Depth=1
	s_load_b32 s0, s[12:13], 0x8
	v_dual_mov_b32 v86, 0 :: v_dual_mov_b32 v85, 0
	s_waitcnt lgkmcnt(0)
	s_mul_hi_u32 s75, s0, s16
	s_delay_alu instid0(SALU_CYCLE_1) | instskip(NEXT) | instid1(SALU_CYCLE_1)
	s_add_i32 s75, s0, s75
	s_lshr_b32 s75, s75, s17
	s_delay_alu instid0(SALU_CYCLE_1)
	s_cmp_ge_i32 s75, s9
	s_cbranch_scc1 .LBB42_15
; %bb.14:                               ;   in Loop: Header=BB42_6 Depth=1
	v_mad_u64_u32 v[85:86], null, s75, s24, v[80:81]
	s_mul_i32 s75, s75, s18
	s_delay_alu instid0(SALU_CYCLE_1) | instskip(NEXT) | instid1(SALU_CYCLE_1)
	s_sub_i32 s0, s0, s75
	s_mul_i32 s0, s0, s5
	s_delay_alu instid0(VALU_DEP_1) | instid1(SALU_CYCLE_1)
	v_lshl_add_u32 v85, v85, 1, s0
	s_delay_alu instid0(VALU_DEP_1) | instskip(NEXT) | instid1(VALU_DEP_1)
	v_ashrrev_i32_e32 v86, 31, v85
	v_lshlrev_b64 v[85:86], 2, v[85:86]
	s_delay_alu instid0(VALU_DEP_1) | instskip(NEXT) | instid1(VALU_DEP_2)
	v_add_co_u32 v85, vcc_lo, s22, v85
	v_add_co_ci_u32_e32 v86, vcc_lo, s23, v86, vcc_lo
	global_load_b64 v[85:86], v[85:86], off
.LBB42_15:                              ;   in Loop: Header=BB42_6 Depth=1
	v_dual_mov_b32 v89, 0 :: v_dual_mov_b32 v92, 0
	v_mov_b32_e32 v91, 0
	s_and_not1_b32 vcc_lo, exec_lo, s39
	s_cbranch_vccnz .LBB42_18
; %bb.16:                               ;   in Loop: Header=BB42_6 Depth=1
	s_load_b32 s0, s[12:13], 0xc
	v_dual_mov_b32 v92, 0 :: v_dual_mov_b32 v91, 0
	s_waitcnt lgkmcnt(0)
	s_mul_hi_u32 s75, s0, s16
	s_delay_alu instid0(SALU_CYCLE_1) | instskip(NEXT) | instid1(SALU_CYCLE_1)
	s_add_i32 s75, s0, s75
	s_lshr_b32 s75, s75, s17
	s_delay_alu instid0(SALU_CYCLE_1)
	s_cmp_ge_i32 s75, s9
	s_cbranch_scc1 .LBB42_18
; %bb.17:                               ;   in Loop: Header=BB42_6 Depth=1
	v_mad_u64_u32 v[90:91], null, s75, s24, v[80:81]
	s_mul_i32 s75, s75, s18
	s_delay_alu instid0(SALU_CYCLE_1) | instskip(NEXT) | instid1(SALU_CYCLE_1)
	s_sub_i32 s0, s0, s75
	s_mul_i32 s0, s0, s5
	s_delay_alu instid0(VALU_DEP_1) | instid1(SALU_CYCLE_1)
	v_lshl_add_u32 v90, v90, 1, s0
	s_delay_alu instid0(VALU_DEP_1) | instskip(NEXT) | instid1(VALU_DEP_1)
	v_ashrrev_i32_e32 v91, 31, v90
	v_lshlrev_b64 v[90:91], 2, v[90:91]
	s_delay_alu instid0(VALU_DEP_1) | instskip(NEXT) | instid1(VALU_DEP_2)
	v_add_co_u32 v90, vcc_lo, s22, v90
	v_add_co_ci_u32_e32 v91, vcc_lo, s23, v91, vcc_lo
	global_load_b64 v[91:92], v[90:91], off
.LBB42_18:                              ;   in Loop: Header=BB42_6 Depth=1
	v_mov_b32_e32 v90, 0
	s_and_not1_b32 vcc_lo, exec_lo, s40
	s_cbranch_vccnz .LBB42_21
; %bb.19:                               ;   in Loop: Header=BB42_6 Depth=1
	s_load_b32 s0, s[12:13], 0x10
	v_dual_mov_b32 v90, 0 :: v_dual_mov_b32 v89, 0
	s_waitcnt lgkmcnt(0)
	s_mul_hi_u32 s75, s0, s16
	s_delay_alu instid0(SALU_CYCLE_1) | instskip(NEXT) | instid1(SALU_CYCLE_1)
	s_add_i32 s75, s0, s75
	s_lshr_b32 s75, s75, s17
	s_delay_alu instid0(SALU_CYCLE_1)
	s_cmp_ge_i32 s75, s9
	s_cbranch_scc1 .LBB42_21
; %bb.20:                               ;   in Loop: Header=BB42_6 Depth=1
	v_mad_u64_u32 v[89:90], null, s75, s24, v[80:81]
	s_mul_i32 s75, s75, s18
	s_delay_alu instid0(SALU_CYCLE_1) | instskip(NEXT) | instid1(SALU_CYCLE_1)
	s_sub_i32 s0, s0, s75
	s_mul_i32 s0, s0, s5
	s_delay_alu instid0(VALU_DEP_1) | instid1(SALU_CYCLE_1)
	v_lshl_add_u32 v89, v89, 1, s0
	s_delay_alu instid0(VALU_DEP_1) | instskip(NEXT) | instid1(VALU_DEP_1)
	v_ashrrev_i32_e32 v90, 31, v89
	v_lshlrev_b64 v[89:90], 2, v[89:90]
	s_delay_alu instid0(VALU_DEP_1) | instskip(NEXT) | instid1(VALU_DEP_2)
	v_add_co_u32 v89, vcc_lo, s22, v89
	v_add_co_ci_u32_e32 v90, vcc_lo, s23, v90, vcc_lo
	global_load_b64 v[89:90], v[89:90], off
.LBB42_21:                              ;   in Loop: Header=BB42_6 Depth=1
	;; [unrolled: 61-line block ×4, first 2 shown]
	v_dual_mov_b32 v101, 0 :: v_dual_mov_b32 v104, 0
	v_mov_b32_e32 v103, 0
	s_and_not1_b32 vcc_lo, exec_lo, s47
	s_cbranch_vccnz .LBB42_36
; %bb.34:                               ;   in Loop: Header=BB42_6 Depth=1
	s_load_b32 s0, s[12:13], 0x24
	v_dual_mov_b32 v104, 0 :: v_dual_mov_b32 v103, 0
	s_waitcnt lgkmcnt(0)
	s_mul_hi_u32 s75, s0, s16
	s_delay_alu instid0(SALU_CYCLE_1) | instskip(NEXT) | instid1(SALU_CYCLE_1)
	s_add_i32 s75, s0, s75
	s_lshr_b32 s75, s75, s17
	s_delay_alu instid0(SALU_CYCLE_1)
	s_cmp_ge_i32 s75, s9
	s_cbranch_scc1 .LBB42_36
; %bb.35:                               ;   in Loop: Header=BB42_6 Depth=1
	v_mad_u64_u32 v[102:103], null, s75, s24, v[80:81]
	s_mul_i32 s75, s75, s18
	s_delay_alu instid0(SALU_CYCLE_1) | instskip(NEXT) | instid1(SALU_CYCLE_1)
	s_sub_i32 s0, s0, s75
	s_mul_i32 s0, s0, s5
	s_delay_alu instid0(VALU_DEP_1) | instid1(SALU_CYCLE_1)
	v_lshl_add_u32 v102, v102, 1, s0
	s_delay_alu instid0(VALU_DEP_1) | instskip(NEXT) | instid1(VALU_DEP_1)
	v_ashrrev_i32_e32 v103, 31, v102
	v_lshlrev_b64 v[102:103], 2, v[102:103]
	s_delay_alu instid0(VALU_DEP_1) | instskip(NEXT) | instid1(VALU_DEP_2)
	v_add_co_u32 v102, vcc_lo, s22, v102
	v_add_co_ci_u32_e32 v103, vcc_lo, s23, v103, vcc_lo
	global_load_b64 v[103:104], v[102:103], off
.LBB42_36:                              ;   in Loop: Header=BB42_6 Depth=1
	v_mov_b32_e32 v102, 0
	s_and_not1_b32 vcc_lo, exec_lo, s20
	s_cbranch_vccnz .LBB42_5
; %bb.37:                               ;   in Loop: Header=BB42_6 Depth=1
	s_load_b32 s0, s[12:13], 0x28
	v_dual_mov_b32 v102, 0 :: v_dual_mov_b32 v101, 0
	s_waitcnt lgkmcnt(0)
	s_mul_hi_u32 s75, s0, s16
	s_delay_alu instid0(SALU_CYCLE_1) | instskip(NEXT) | instid1(SALU_CYCLE_1)
	s_add_i32 s75, s0, s75
	s_lshr_b32 s75, s75, s17
	s_delay_alu instid0(SALU_CYCLE_1)
	s_cmp_ge_i32 s75, s9
	s_cbranch_scc1 .LBB42_5
; %bb.38:                               ;   in Loop: Header=BB42_6 Depth=1
	v_mad_u64_u32 v[101:102], null, s75, s24, v[80:81]
	s_mul_i32 s75, s75, s18
	s_delay_alu instid0(SALU_CYCLE_1) | instskip(NEXT) | instid1(SALU_CYCLE_1)
	s_sub_i32 s0, s0, s75
	s_mul_i32 s0, s0, s5
	s_delay_alu instid0(VALU_DEP_1) | instid1(SALU_CYCLE_1)
	v_lshl_add_u32 v101, v101, 1, s0
	s_delay_alu instid0(VALU_DEP_1) | instskip(NEXT) | instid1(VALU_DEP_1)
	v_ashrrev_i32_e32 v102, 31, v101
	v_lshlrev_b64 v[101:102], 2, v[101:102]
	s_delay_alu instid0(VALU_DEP_1) | instskip(NEXT) | instid1(VALU_DEP_2)
	v_add_co_u32 v101, vcc_lo, s22, v101
	v_add_co_ci_u32_e32 v102, vcc_lo, s23, v102, vcc_lo
	global_load_b64 v[101:102], v[101:102], off
	s_branch .LBB42_5
.LBB42_39:
	s_or_b32 exec_lo, exec_lo, s41
.LBB42_40:
	s_delay_alu instid0(SALU_CYCLE_1)
	s_or_b32 exec_lo, exec_lo, s36
	v_lshrrev_b32_e32 v16, 2, v106
	v_mad_u32_u24 v17, 0x310, v108, 0
	v_lshlrev_b32_e32 v18, 2, v107
	s_waitcnt lgkmcnt(0)
	s_barrier
	v_and_b32_e32 v16, 0xfc, v16
	buffer_gl0_inv
	s_lshl_b64 s[4:5], s[30:31], 2
	v_cmp_gt_u32_e64 s0, 11, v105
	s_add_u32 s1, s34, s4
	v_add3_u32 v16, v17, v16, v18
	s_addc_u32 s3, s35, s5
	s_cmp_gt_i32 s10, 0
	ds_store_2addr_b32 v16, v8, v9 offset1:2
	ds_store_2addr_b32 v16, v10, v11 offset0:4 offset1:6
	ds_store_2addr_b32 v16, v12, v13 offset0:8 offset1:10
	;; [unrolled: 1-line block ×6, first 2 shown]
	v_add_nc_u32_e32 v0, s2, v105
	s_cselect_b32 s4, -1, 0
	v_lshl_add_u32 v3, v106, 2, 0
	v_add_nc_u32_e32 v2, s7, v106
	v_mul_u32_u24_e32 v4, 0x310, v105
	v_cmp_gt_i32_e32 vcc_lo, s33, v0
	ds_store_2addr_b32 v16, v6, v7 offset0:28 offset1:30
	s_waitcnt lgkmcnt(0)
	s_barrier
	buffer_gl0_inv
	s_and_b32 s5, s4, vcc_lo
	s_delay_alu instid0(SALU_CYCLE_1) | instskip(NEXT) | instid1(SALU_CYCLE_1)
	s_and_b32 s5, s0, s5
	s_and_saveexec_b32 s0, s5
	s_cbranch_execz .LBB42_43
; %bb.41:
	v_ashrrev_i32_e32 v1, 31, v0
	s_delay_alu instid0(VALU_DEP_1) | instskip(NEXT) | instid1(VALU_DEP_1)
	v_lshlrev_b64 v[5:6], 2, v[0:1]
	v_add_co_u32 v5, vcc_lo, s1, v5
	s_delay_alu instid0(VALU_DEP_2) | instskip(SKIP_3) | instid1(VALU_DEP_1)
	v_add_co_ci_u32_e32 v6, vcc_lo, s3, v6, vcc_lo
	global_load_b32 v1, v[5:6], off
	s_waitcnt vmcnt(0)
	v_mul_hi_u32 v5, v1, s19
	v_add_nc_u32_e32 v5, v1, v5
	s_delay_alu instid0(VALU_DEP_1) | instskip(NEXT) | instid1(VALU_DEP_1)
	v_lshrrev_b32_e32 v5, s26, v5
	v_cmp_gt_i32_e32 vcc_lo, s9, v5
	s_and_b32 exec_lo, exec_lo, vcc_lo
	s_cbranch_execz .LBB42_43
; %bb.42:
	v_add_nc_u32_e32 v10, v3, v4
	v_mul_lo_u32 v12, v5, s27
	v_mul_lo_u32 v5, v5, s25
	ds_load_2addr_b32 v[6:7], v10 offset1:32
	ds_load_2addr_b32 v[8:9], v10 offset0:64 offset1:96
	ds_load_2addr_b32 v[10:11], v10 offset0:128 offset1:160
	v_sub_nc_u32_e32 v1, v1, v12
	s_delay_alu instid0(VALU_DEP_1) | instskip(NEXT) | instid1(VALU_DEP_1)
	v_mul_lo_u32 v1, v1, s6
	v_add3_u32 v5, v2, v5, v1
	s_waitcnt lgkmcnt(2)
	v_add_f32_e32 v6, 0, v6
	s_delay_alu instid0(VALU_DEP_1) | instskip(SKIP_1) | instid1(VALU_DEP_1)
	v_add_f32_e32 v6, v6, v7
	s_waitcnt lgkmcnt(1)
	v_dual_add_f32 v7, v6, v8 :: v_dual_mov_b32 v6, 0
	s_delay_alu instid0(VALU_DEP_1) | instskip(NEXT) | instid1(VALU_DEP_2)
	v_add_f32_e32 v7, v7, v9
	v_lshlrev_b64 v[5:6], 2, v[5:6]
	s_waitcnt lgkmcnt(0)
	s_delay_alu instid0(VALU_DEP_2) | instskip(NEXT) | instid1(VALU_DEP_2)
	v_add_f32_e32 v1, v7, v10
	v_add_co_u32 v5, vcc_lo, s28, v5
	s_delay_alu instid0(VALU_DEP_3) | instskip(NEXT) | instid1(VALU_DEP_3)
	v_add_co_ci_u32_e32 v6, vcc_lo, s29, v6, vcc_lo
	v_add_f32_e32 v1, v1, v11
	global_store_b32 v[5:6], v1, off
.LBB42_43:
	s_or_b32 exec_lo, exec_lo, s0
	s_delay_alu instid0(SALU_CYCLE_1)
	s_mov_b32 s0, exec_lo
	v_cmpx_gt_u32_e32 5, v105
	s_cbranch_execz .LBB42_47
; %bb.44:
	v_add_nc_u32_e32 v0, 6, v0
	s_delay_alu instid0(VALU_DEP_1) | instskip(SKIP_1) | instid1(SALU_CYCLE_1)
	v_cmp_gt_i32_e32 vcc_lo, s33, v0
	s_and_b32 s0, s4, vcc_lo
	s_and_b32 exec_lo, exec_lo, s0
	s_cbranch_execz .LBB42_47
; %bb.45:
	s_ashr_i32 s0, s2, 31
	v_add_co_u32 v0, s2, v105, s2
	s_delay_alu instid0(VALU_DEP_1) | instskip(NEXT) | instid1(VALU_DEP_1)
	v_add_co_ci_u32_e64 v1, null, 0, s0, s2
	v_lshlrev_b64 v[0:1], 2, v[0:1]
	s_delay_alu instid0(VALU_DEP_1) | instskip(NEXT) | instid1(VALU_DEP_2)
	v_add_co_u32 v0, vcc_lo, s1, v0
	v_add_co_ci_u32_e32 v1, vcc_lo, s3, v1, vcc_lo
	global_load_b32 v0, v[0:1], off offset:24
	s_waitcnt vmcnt(0)
	v_mul_hi_u32 v1, v0, s19
	s_delay_alu instid0(VALU_DEP_1) | instskip(NEXT) | instid1(VALU_DEP_1)
	v_add_nc_u32_e32 v1, v0, v1
	v_lshrrev_b32_e32 v5, s26, v1
	v_mov_b32_e32 v1, 0
	s_delay_alu instid0(VALU_DEP_2)
	v_cmp_gt_i32_e32 vcc_lo, s9, v5
	s_and_b32 exec_lo, exec_lo, vcc_lo
	s_cbranch_execz .LBB42_47
; %bb.46:
	v_add_nc_u32_e32 v8, v4, v3
	v_mul_lo_u32 v10, v5, s27
	s_delay_alu instid0(VALU_DEP_2) | instskip(SKIP_3) | instid1(VALU_DEP_1)
	v_add_nc_u32_e32 v6, 0x1000, v8
	ds_load_2addr_b32 v[3:4], v6 offset0:152 offset1:184
	ds_load_2addr_b32 v[6:7], v6 offset0:216 offset1:248
	v_sub_nc_u32_e32 v0, v0, v10
	v_mul_lo_u32 v0, v0, s6
	s_waitcnt lgkmcnt(1)
	v_add_f32_e32 v3, 0, v3
	s_delay_alu instid0(VALU_DEP_1) | instskip(SKIP_3) | instid1(VALU_DEP_3)
	v_add_f32_e32 v3, v3, v4
	v_add_nc_u32_e32 v8, 0x1400, v8
	v_mul_lo_u32 v4, v5, s25
	s_waitcnt lgkmcnt(0)
	v_add_f32_e32 v3, v3, v6
	ds_load_2addr_b32 v[8:9], v8 offset0:24 offset1:56
	v_add3_u32 v0, v2, v4, v0
	v_add_f32_e32 v3, v3, v7
	s_delay_alu instid0(VALU_DEP_2) | instskip(NEXT) | instid1(VALU_DEP_1)
	v_lshlrev_b64 v[0:1], 2, v[0:1]
	v_add_co_u32 v0, vcc_lo, s28, v0
	s_delay_alu instid0(VALU_DEP_2) | instskip(SKIP_2) | instid1(VALU_DEP_1)
	v_add_co_ci_u32_e32 v1, vcc_lo, s29, v1, vcc_lo
	s_waitcnt lgkmcnt(0)
	v_add_f32_e32 v2, v3, v8
	v_add_f32_e32 v2, v2, v9
	global_store_b32 v[0:1], v2, off
.LBB42_47:
	s_nop 0
	s_sendmsg sendmsg(MSG_DEALLOC_VGPRS)
	s_endpgm
	.section	.rodata,"a",@progbits
	.p2align	6, 0x0
	.amdhsa_kernel _ZL13mul_mat_f_idsI7__half2Li32ELi11ELi6EEvPKT_PKfPKiS7_S7_Pfiiiiiiiiiiiiii15HIP_vector_typeIjLj3EESA_
		.amdhsa_group_segment_fixed_size 0
		.amdhsa_private_segment_fixed_size 0
		.amdhsa_kernarg_size 128
		.amdhsa_user_sgpr_count 13
		.amdhsa_user_sgpr_dispatch_ptr 0
		.amdhsa_user_sgpr_queue_ptr 0
		.amdhsa_user_sgpr_kernarg_segment_ptr 1
		.amdhsa_user_sgpr_dispatch_id 0
		.amdhsa_user_sgpr_private_segment_size 0
		.amdhsa_wavefront_size32 1
		.amdhsa_uses_dynamic_stack 0
		.amdhsa_enable_private_segment 0
		.amdhsa_system_sgpr_workgroup_id_x 1
		.amdhsa_system_sgpr_workgroup_id_y 1
		.amdhsa_system_sgpr_workgroup_id_z 1
		.amdhsa_system_sgpr_workgroup_info 0
		.amdhsa_system_vgpr_workitem_id 1
		.amdhsa_next_free_vgpr 120
		.amdhsa_next_free_sgpr 76
		.amdhsa_reserve_vcc 1
		.amdhsa_float_round_mode_32 0
		.amdhsa_float_round_mode_16_64 0
		.amdhsa_float_denorm_mode_32 3
		.amdhsa_float_denorm_mode_16_64 3
		.amdhsa_dx10_clamp 1
		.amdhsa_ieee_mode 1
		.amdhsa_fp16_overflow 0
		.amdhsa_workgroup_processor_mode 1
		.amdhsa_memory_ordered 1
		.amdhsa_forward_progress 0
		.amdhsa_shared_vgpr_count 0
		.amdhsa_exception_fp_ieee_invalid_op 0
		.amdhsa_exception_fp_denorm_src 0
		.amdhsa_exception_fp_ieee_div_zero 0
		.amdhsa_exception_fp_ieee_overflow 0
		.amdhsa_exception_fp_ieee_underflow 0
		.amdhsa_exception_fp_ieee_inexact 0
		.amdhsa_exception_int_div_zero 0
	.end_amdhsa_kernel
	.section	.text._ZL13mul_mat_f_idsI7__half2Li32ELi11ELi6EEvPKT_PKfPKiS7_S7_Pfiiiiiiiiiiiiii15HIP_vector_typeIjLj3EESA_,"axG",@progbits,_ZL13mul_mat_f_idsI7__half2Li32ELi11ELi6EEvPKT_PKfPKiS7_S7_Pfiiiiiiiiiiiiii15HIP_vector_typeIjLj3EESA_,comdat
.Lfunc_end42:
	.size	_ZL13mul_mat_f_idsI7__half2Li32ELi11ELi6EEvPKT_PKfPKiS7_S7_Pfiiiiiiiiiiiiii15HIP_vector_typeIjLj3EESA_, .Lfunc_end42-_ZL13mul_mat_f_idsI7__half2Li32ELi11ELi6EEvPKT_PKfPKiS7_S7_Pfiiiiiiiiiiiiii15HIP_vector_typeIjLj3EESA_
                                        ; -- End function
	.section	.AMDGPU.csdata,"",@progbits
; Kernel info:
; codeLenInByte = 5236
; NumSgprs: 78
; NumVgprs: 120
; ScratchSize: 0
; MemoryBound: 0
; FloatMode: 240
; IeeeMode: 1
; LDSByteSize: 0 bytes/workgroup (compile time only)
; SGPRBlocks: 9
; VGPRBlocks: 14
; NumSGPRsForWavesPerEU: 78
; NumVGPRsForWavesPerEU: 120
; Occupancy: 12
; WaveLimiterHint : 1
; COMPUTE_PGM_RSRC2:SCRATCH_EN: 0
; COMPUTE_PGM_RSRC2:USER_SGPR: 13
; COMPUTE_PGM_RSRC2:TRAP_HANDLER: 0
; COMPUTE_PGM_RSRC2:TGID_X_EN: 1
; COMPUTE_PGM_RSRC2:TGID_Y_EN: 1
; COMPUTE_PGM_RSRC2:TGID_Z_EN: 1
; COMPUTE_PGM_RSRC2:TIDIG_COMP_CNT: 1
	.section	.text._ZL9mul_mat_fI7__half2Li32ELi11ELi6ELb1EEvPKT_PKfPKiPfiiiiiiiiiiiiiiii,"axG",@progbits,_ZL9mul_mat_fI7__half2Li32ELi11ELi6ELb1EEvPKT_PKfPKiPfiiiiiiiiiiiiiiii,comdat
	.globl	_ZL9mul_mat_fI7__half2Li32ELi11ELi6ELb1EEvPKT_PKfPKiPfiiiiiiiiiiiiiiii ; -- Begin function _ZL9mul_mat_fI7__half2Li32ELi11ELi6ELb1EEvPKT_PKfPKiPfiiiiiiiiiiiiiiii
	.p2align	8
	.type	_ZL9mul_mat_fI7__half2Li32ELi11ELi6ELb1EEvPKT_PKfPKiPfiiiiiiiiiiiiiiii,@function
_ZL9mul_mat_fI7__half2Li32ELi11ELi6ELb1EEvPKT_PKfPKiPfiiiiiiiiiiiiiiii: ; @_ZL9mul_mat_fI7__half2Li32ELi11ELi6ELb1EEvPKT_PKfPKiPfiiiiiiiiiiiiiiii
; %bb.0:
	s_clause 0x1
	s_load_b256 s[16:23], s[0:1], 0x20
	s_load_b64 s[24:25], s[0:1], 0x10
	v_and_b32_e32 v80, 0x3ff, v0
	v_bfe_u32 v88, v0, 10, 10
	s_load_b128 s[8:11], s[0:1], 0x44
	s_delay_alu instid0(VALU_DEP_2) | instskip(NEXT) | instid1(VALU_DEP_2)
	v_cmp_eq_u32_e32 vcc_lo, 0, v80
	v_lshl_add_u32 v89, v88, 2, 0x100
	s_waitcnt lgkmcnt(0)
	s_add_i32 s2, s17, 10
	s_delay_alu instid0(SALU_CYCLE_1) | instskip(NEXT) | instid1(SALU_CYCLE_1)
	s_mul_hi_i32 s2, s2, 0x2e8ba2e9
	s_lshr_b32 s3, s2, 31
	s_ashr_i32 s2, s2, 1
	s_delay_alu instid0(SALU_CYCLE_1)
	s_add_i32 s2, s2, s3
	s_load_b32 s3, s[0:1], 0x64
	v_cvt_f32_u32_e32 v1, s2
	s_add_u32 s6, s0, 0x60
	s_addc_u32 s7, s1, 0
	s_sub_i32 s5, 0, s2
	s_delay_alu instid0(VALU_DEP_1) | instskip(SKIP_2) | instid1(VALU_DEP_1)
	v_rcp_iflag_f32_e32 v1, v1
	s_waitcnt_depctr 0xfff
	v_mul_f32_e32 v1, 0x4f7ffffe, v1
	v_cvt_u32_f32_e32 v1, v1
	s_delay_alu instid0(VALU_DEP_1) | instskip(NEXT) | instid1(VALU_DEP_1)
	v_readfirstlane_b32 s4, v1
	s_mul_i32 s5, s5, s4
	s_delay_alu instid0(SALU_CYCLE_1) | instskip(NEXT) | instid1(SALU_CYCLE_1)
	s_mul_hi_u32 s5, s4, s5
	s_add_i32 s4, s4, s5
	s_waitcnt lgkmcnt(0)
	s_mul_hi_u32 s4, s3, s4
	s_delay_alu instid0(SALU_CYCLE_1) | instskip(NEXT) | instid1(SALU_CYCLE_1)
	s_mul_i32 s5, s4, s2
	s_sub_i32 s3, s3, s5
	s_add_i32 s5, s4, 1
	s_sub_i32 s12, s3, s2
	s_cmp_ge_u32 s3, s2
	s_cselect_b32 s4, s5, s4
	s_cselect_b32 s3, s12, s3
	s_add_i32 s5, s4, 1
	s_cmp_ge_u32 s3, s2
	s_cselect_b32 s2, s5, s4
	s_abs_i32 s28, s11
	v_cvt_f32_u32_e32 v1, s2
	v_cvt_f32_u32_e32 v2, s28
	s_sub_i32 s4, 0, s2
	s_sub_i32 s26, 0, s28
	s_delay_alu instid0(VALU_DEP_2) | instskip(NEXT) | instid1(VALU_DEP_1)
	v_rcp_iflag_f32_e32 v1, v1
	v_rcp_iflag_f32_e32 v2, v2
	s_waitcnt_depctr 0xfff
	v_dual_mul_f32 v1, 0x4f7ffffe, v1 :: v_dual_mul_f32 v2, 0x4f7ffffe, v2
	s_delay_alu instid0(VALU_DEP_1) | instskip(NEXT) | instid1(VALU_DEP_1)
	v_cvt_u32_f32_e32 v1, v1
	v_readfirstlane_b32 s3, v1
	s_delay_alu instid0(VALU_DEP_3) | instskip(NEXT) | instid1(VALU_DEP_2)
	v_cvt_u32_f32_e32 v1, v2
	s_mul_i32 s4, s4, s3
	s_delay_alu instid0(VALU_DEP_1) | instskip(SKIP_1) | instid1(SALU_CYCLE_1)
	v_readfirstlane_b32 s29, v1
	s_mul_hi_u32 s4, s3, s4
	s_add_i32 s3, s3, s4
	s_delay_alu instid0(SALU_CYCLE_1)
	s_mul_hi_u32 s3, s14, s3
	s_and_saveexec_b32 s4, vcc_lo
	s_cbranch_execz .LBB43_2
; %bb.1:
	v_mov_b32_e32 v1, -1
	ds_store_b32 v89, v1
.LBB43_2:
	s_or_b32 exec_lo, exec_lo, s4
	s_mul_i32 s4, s3, s2
	s_add_i32 s5, s3, 1
	s_sub_i32 s4, s14, s4
	v_mov_b32_e32 v3, 0
	s_sub_i32 s12, s4, s2
	s_cmp_ge_u32 s4, s2
	s_mul_i32 s26, s26, s29
	s_cselect_b32 s3, s5, s3
	s_cselect_b32 s4, s12, s4
	s_add_i32 s5, s3, 1
	s_cmp_ge_u32 s4, s2
	v_cmp_gt_i32_e64 s4, s18, v80
	s_cselect_b32 s3, s5, s3
	s_delay_alu instid0(SALU_CYCLE_1)
	s_mul_i32 s12, s3, 11
	s_mul_i32 s3, s3, s2
	v_add_nc_u32_e32 v1, s12, v88
	s_mul_hi_i32 s31, s12, s23
	s_mul_i32 s30, s12, s23
	s_sub_i32 s14, s14, s3
	s_lshl_b64 s[30:31], s[30:31], 2
	v_cmp_gt_i32_e64 s2, s17, v1
	s_add_u32 s30, s24, s30
	s_addc_u32 s31, s25, s31
	s_delay_alu instid0(VALU_DEP_1)
	s_and_saveexec_b32 s24, s2
	s_cbranch_execz .LBB43_10
; %bb.3:
	v_mov_b32_e32 v3, 0
	s_and_saveexec_b32 s25, s4
	s_cbranch_execz .LBB43_9
; %bb.4:
	v_mul_lo_u32 v1, v88, s23
	v_dual_mov_b32 v3, 0 :: v_dual_mov_b32 v6, v80
	s_lshl_b32 s33, s22, 5
	s_mov_b32 s27, 0
	s_delay_alu instid0(VALU_DEP_2) | instskip(NEXT) | instid1(VALU_DEP_1)
	v_ashrrev_i32_e32 v2, 31, v1
	v_lshlrev_b64 v[4:5], 2, v[1:2]
	v_mul_lo_u32 v1, v80, s22
	s_delay_alu instid0(VALU_DEP_2) | instskip(NEXT) | instid1(VALU_DEP_1)
	v_add_co_u32 v4, s3, s30, v4
	v_add_co_ci_u32_e64 v5, s3, s31, v5, s3
	s_set_inst_prefetch_distance 0x1
	s_branch .LBB43_6
	.p2align	6
.LBB43_5:                               ;   in Loop: Header=BB43_6 Depth=1
	s_or_b32 exec_lo, exec_lo, s34
	v_add_nc_u32_e32 v6, 32, v6
	s_xor_b32 s3, s3, -1
	v_add_nc_u32_e32 v1, s33, v1
	s_delay_alu instid0(VALU_DEP_2) | instskip(NEXT) | instid1(VALU_DEP_1)
	v_cmp_le_i32_e64 s5, s18, v6
	s_or_b32 s3, s3, s5
	s_delay_alu instid0(SALU_CYCLE_1) | instskip(NEXT) | instid1(SALU_CYCLE_1)
	s_and_b32 s3, exec_lo, s3
	s_or_b32 s27, s3, s27
	s_delay_alu instid0(SALU_CYCLE_1)
	s_and_not1_b32 exec_lo, exec_lo, s27
	s_cbranch_execz .LBB43_8
.LBB43_6:                               ; =>This Inner Loop Header: Depth=1
	s_delay_alu instid0(VALU_DEP_3) | instskip(SKIP_1) | instid1(VALU_DEP_1)
	v_ashrrev_i32_e32 v2, 31, v1
	s_mov_b32 s34, exec_lo
	v_lshlrev_b64 v[7:8], 2, v[1:2]
	s_delay_alu instid0(VALU_DEP_1) | instskip(NEXT) | instid1(VALU_DEP_1)
	v_add_co_u32 v7, s3, v4, v7
	v_add_co_ci_u32_e64 v8, s3, v5, v8, s3
	global_load_b32 v2, v[7:8], off
	s_waitcnt vmcnt(0)
	v_cmp_ne_u32_e64 s3, s14, v2
	v_cmpx_eq_u32_e64 s14, v2
	s_cbranch_execz .LBB43_5
; %bb.7:                                ;   in Loop: Header=BB43_6 Depth=1
	v_mov_b32_e32 v3, 1
	ds_store_b32 v89, v6
	s_branch .LBB43_5
.LBB43_8:
	s_set_inst_prefetch_distance 0x2
	s_or_b32 exec_lo, exec_lo, s27
.LBB43_9:
	s_delay_alu instid0(SALU_CYCLE_1)
	s_or_b32 exec_lo, exec_lo, s25
.LBB43_10:
	s_delay_alu instid0(SALU_CYCLE_1)
	s_or_b32 exec_lo, exec_lo, s24
	s_mul_hi_u32 s5, s29, s26
	s_and_saveexec_b32 s3, vcc_lo
	s_cbranch_execz .LBB43_12
; %bb.11:
	v_mov_b32_e32 v1, -1
	ds_store_b32 v89, v1 offset:24
.LBB43_12:
	s_or_b32 exec_lo, exec_lo, s3
	s_load_b128 s[24:27], s[0:1], 0x54
	v_add_nc_u32_e32 v90, 6, v88
	s_waitcnt lgkmcnt(0)
	s_abs_i32 s27, s15
	s_add_i32 s29, s29, s5
	s_delay_alu instid0(VALU_DEP_1) | instskip(NEXT) | instid1(VALU_DEP_1)
	v_add_nc_u32_e32 v1, s12, v90
	v_cmp_gt_i32_e64 s3, s17, v1
	s_delay_alu instid0(VALU_DEP_1)
	s_and_saveexec_b32 s5, s3
	s_cbranch_execz .LBB43_20
; %bb.13:
	s_and_saveexec_b32 s33, s4
	s_cbranch_execz .LBB43_19
; %bb.14:
	v_mul_lo_u32 v1, v90, s23
	v_mov_b32_e32 v6, v80
	s_lshl_b32 s23, s22, 5
	s_delay_alu instid0(VALU_DEP_2) | instskip(NEXT) | instid1(VALU_DEP_1)
	v_ashrrev_i32_e32 v2, 31, v1
	v_lshlrev_b64 v[4:5], 2, v[1:2]
	v_mul_lo_u32 v1, v80, s22
	s_mov_b32 s22, 0
	s_delay_alu instid0(VALU_DEP_2) | instskip(NEXT) | instid1(VALU_DEP_3)
	v_add_co_u32 v4, vcc_lo, s30, v4
	v_add_co_ci_u32_e32 v5, vcc_lo, s31, v5, vcc_lo
	s_set_inst_prefetch_distance 0x1
	s_branch .LBB43_16
	.p2align	6
.LBB43_15:                              ;   in Loop: Header=BB43_16 Depth=1
	s_or_b32 exec_lo, exec_lo, s30
	v_add_nc_u32_e32 v6, 32, v6
	s_xor_b32 s30, vcc_lo, -1
	v_add_nc_u32_e32 v1, s23, v1
	s_delay_alu instid0(VALU_DEP_2) | instskip(NEXT) | instid1(VALU_DEP_1)
	v_cmp_le_i32_e64 s4, s18, v6
	s_or_b32 s4, s30, s4
	s_delay_alu instid0(SALU_CYCLE_1) | instskip(NEXT) | instid1(SALU_CYCLE_1)
	s_and_b32 s4, exec_lo, s4
	s_or_b32 s22, s4, s22
	s_delay_alu instid0(SALU_CYCLE_1)
	s_and_not1_b32 exec_lo, exec_lo, s22
	s_cbranch_execz .LBB43_18
.LBB43_16:                              ; =>This Inner Loop Header: Depth=1
	s_delay_alu instid0(VALU_DEP_3) | instskip(SKIP_1) | instid1(VALU_DEP_1)
	v_ashrrev_i32_e32 v2, 31, v1
	s_mov_b32 s30, exec_lo
	v_lshlrev_b64 v[7:8], 2, v[1:2]
	s_delay_alu instid0(VALU_DEP_1) | instskip(NEXT) | instid1(VALU_DEP_2)
	v_add_co_u32 v7, vcc_lo, v4, v7
	v_add_co_ci_u32_e32 v8, vcc_lo, v5, v8, vcc_lo
	global_load_b32 v2, v[7:8], off
	s_waitcnt vmcnt(0)
	v_cmp_ne_u32_e32 vcc_lo, s14, v2
	v_cmpx_eq_u32_e64 s14, v2
	s_cbranch_execz .LBB43_15
; %bb.17:                               ;   in Loop: Header=BB43_16 Depth=1
	v_mov_b32_e32 v3, 1
	ds_store_b32 v89, v6 offset:24
	s_branch .LBB43_15
.LBB43_18:
	s_set_inst_prefetch_distance 0x2
	s_or_b32 exec_lo, exec_lo, s22
.LBB43_19:
	s_delay_alu instid0(SALU_CYCLE_1)
	s_or_b32 exec_lo, exec_lo, s33
.LBB43_20:
	s_delay_alu instid0(SALU_CYCLE_1)
	s_or_b32 exec_lo, exec_lo, s5
	v_cmp_ne_u32_e32 vcc_lo, 0, v3
	s_load_b64 s[30:31], s[6:7], 0xc
	s_clause 0x1
	s_load_b128 s[4:7], s[0:1], 0x0
	s_load_b64 s[22:23], s[0:1], 0x18
	v_cndmask_b32_e64 v1, 0, 1, vcc_lo
	s_delay_alu instid0(VALU_DEP_1) | instskip(NEXT) | instid1(VALU_DEP_1)
	v_or_b32_dpp v1, v1, v1 row_shl:1 row_mask:0xf bank_mask:0xf bound_ctrl:1
	v_or_b32_dpp v1, v1, v1 row_shl:2 row_mask:0xf bank_mask:0xf bound_ctrl:1
	s_delay_alu instid0(VALU_DEP_1)
	v_or_b32_dpp v1, v1, v1 row_shl:4 row_mask:0xf bank_mask:0xf bound_ctrl:1
	s_waitcnt lgkmcnt(0)
	s_lshr_b32 s1, s30, 16
	s_and_b32 s0, s30, 0xffff
	s_and_b32 s30, s31, 0xffff
	s_mul_i32 s18, s1, s0
	v_or_b32_dpp v1, v1, v1 row_shl:8 row_mask:0xf bank_mask:0xf bound_ctrl:1
	s_bfe_i32 s18, s18, 0x180000
	s_delay_alu instid0(SALU_CYCLE_1) | instskip(NEXT) | instid1(SALU_CYCLE_1)
	s_mul_i32 s18, s18, s30
	s_add_i32 s18, s18, 31
	s_delay_alu instid0(VALU_DEP_1) | instskip(SKIP_1) | instid1(SALU_CYCLE_1)
	v_mov_b32_dpp v1, v1 row_share:0 row_mask:0xf bank_mask:0xf bound_ctrl:1
	s_and_not1_b32 s18, s18, 31
	s_cmp_lg_u32 s18, 32
	s_mul_hi_u32 s18, s27, s29
	s_delay_alu instid0(VALU_DEP_1) | instskip(NEXT) | instid1(VALU_DEP_1)
	v_permlanex16_b32 v2, v1, 0, 0 op_sel:[0,1]
	v_or_b32_e32 v2, v2, v1
	s_cbranch_scc0 .LBB43_29
; %bb.21:
	v_bfe_u32 v0, v0, 20, 10
	s_delay_alu instid0(VALU_DEP_1) | instskip(NEXT) | instid1(VALU_DEP_1)
	v_mad_u32_u24 v3, v0, s1, v88
	v_mad_u64_u32 v[0:1], null, v3, s0, v[80:81]
	v_mbcnt_lo_u32_b32 v1, -1, 0
	s_mov_b32 s0, exec_lo
	s_delay_alu instid0(VALU_DEP_2) | instskip(NEXT) | instid1(VALU_DEP_1)
	v_lshrrev_b32_e32 v3, 5, v0
	v_or_b32_e32 v3, v1, v3
	s_delay_alu instid0(VALU_DEP_1)
	v_cmpx_eq_u32_e32 0, v3
	s_cbranch_execz .LBB43_23
; %bb.22:
	v_mov_b32_e32 v3, 0
	ds_store_b32 v3, v2
.LBB43_23:
	s_or_b32 exec_lo, exec_lo, s0
	v_cmp_eq_u32_e32 vcc_lo, 0, v1
	v_cmp_lt_u32_e64 s0, 31, v0
	s_mov_b32 s1, 0
	s_waitcnt lgkmcnt(0)
	s_barrier
	buffer_gl0_inv
	s_and_b32 s29, s0, vcc_lo
	s_delay_alu instid0(SALU_CYCLE_1)
	s_and_saveexec_b32 s0, s29
	s_cbranch_execz .LBB43_28
; %bb.24:
	s_mov_b32 s29, exec_lo
.LBB43_25:                              ; =>This Inner Loop Header: Depth=1
	s_delay_alu instid0(SALU_CYCLE_1) | instskip(NEXT) | instid1(SALU_CYCLE_1)
	s_ctz_i32_b32 s30, s29
	v_readlane_b32 s31, v2, s30
	s_lshl_b32 s30, 1, s30
	s_delay_alu instid0(SALU_CYCLE_1) | instskip(NEXT) | instid1(VALU_DEP_1)
	s_and_not1_b32 s29, s29, s30
	s_or_b32 s1, s1, s31
	s_cmp_lg_u32 s29, 0
	s_cbranch_scc1 .LBB43_25
; %bb.26:
	v_mbcnt_lo_u32_b32 v0, exec_lo, 0
	s_mov_b32 s29, exec_lo
	s_delay_alu instid0(VALU_DEP_1)
	v_cmpx_eq_u32_e32 0, v0
	s_xor_b32 s29, exec_lo, s29
	s_cbranch_execz .LBB43_28
; %bb.27:
	v_dual_mov_b32 v0, 0 :: v_dual_mov_b32 v1, s1
	ds_or_b32 v0, v1
.LBB43_28:
	s_or_b32 exec_lo, exec_lo, s0
	v_mov_b32_e32 v0, 0
	s_waitcnt lgkmcnt(0)
	s_barrier
	buffer_gl0_inv
	ds_load_b32 v2, v0
	s_waitcnt lgkmcnt(0)
	s_barrier
	buffer_gl0_inv
.LBB43_29:
	s_ashr_i32 s0, s15, 31
	s_ashr_i32 s29, s11, 31
	s_mov_b32 s1, exec_lo
	v_cmpx_ne_u32_e32 0, v2
	s_cbranch_execz .LBB43_76
; %bb.30:
	v_lshlrev_b32_e32 v91, 5, v88
	v_and_b32_e32 v92, 15, v80
	s_mov_b32 s11, exec_lo
                                        ; implicit-def: $sgpr1
	s_delay_alu instid0(VALU_DEP_2) | instskip(NEXT) | instid1(VALU_DEP_1)
	v_add_nc_u32_e32 v93, v91, v80
	v_cmpx_le_i32_e64 s16, v93
	s_xor_b32 s11, exec_lo, s11
; %bb.31:
	v_and_b32_e32 v92, 15, v80
	s_mov_b32 s1, 0
                                        ; implicit-def: $vgpr93
; %bb.32:
	s_or_saveexec_b32 s11, s11
	v_dual_mov_b32 v15, s1 :: v_dual_mov_b32 v14, s1
	v_dual_mov_b32 v13, s1 :: v_dual_mov_b32 v12, s1
	;; [unrolled: 1-line block ×8, first 2 shown]
	s_lshl_b32 s1, s13, 5
	s_xor_b32 exec_lo, exec_lo, s11
	s_cbranch_execz .LBB43_69
; %bb.33:
	s_mul_i32 s13, s18, s28
	s_xor_b32 s0, s0, s29
	s_sub_i32 s13, s27, s13
	s_add_i32 s27, s18, 1
	s_sub_i32 s29, s13, s28
	s_cmp_ge_u32 s13, s28
	s_mul_i32 s30, s1, s19
	s_cselect_b32 s18, s27, s18
	s_cselect_b32 s13, s29, s13
	s_add_i32 s27, s18, 1
	s_cmp_ge_u32 s13, s28
	s_mul_i32 s28, s14, s8
	s_cselect_b32 s13, s27, s18
	s_ashr_i32 s29, s28, 31
	s_xor_b32 s13, s13, s0
	s_mul_hi_i32 s37, s25, s15
	s_sub_i32 s0, s13, s0
	s_mul_i32 s36, s25, s15
	s_mul_hi_i32 s35, s0, s24
	s_mul_i32 s34, s0, s24
	s_mul_hi_i32 s25, s20, s12
	s_lshl_b64 s[42:43], s[34:35], 2
	s_mul_i32 s24, s20, s12
	s_add_u32 s0, s4, s42
	s_addc_u32 s8, s5, s43
	s_lshl_b64 s[44:45], s[28:29], 2
	v_dual_mov_b32 v95, 0 :: v_dual_lshlrev_b32 v2, 1, v80
	s_add_u32 s0, s0, s44
	s_addc_u32 s13, s8, s45
	s_ashr_i32 s31, s30, 31
	s_delay_alu instid0(VALU_DEP_1)
	v_lshl_add_u32 v81, v88, 6, v2
	s_lshl_b64 s[46:47], s[30:31], 2
	v_dual_mov_b32 v97, 0x100 :: v_dual_lshlrev_b32 v2, 2, v93
	s_add_u32 s8, s0, s46
	s_addc_u32 s13, s13, s47
	s_lshl_b64 s[28:29], s[36:37], 2
	s_lshl_b64 s[24:25], s[24:25], 3
	s_add_u32 s0, s6, s28
	s_addc_u32 s6, s7, s29
	s_add_u32 s14, s0, s24
	s_addc_u32 s18, s6, s25
	s_cmp_lt_i32 s12, s17
	s_movk_i32 s6, 0x900
	s_cselect_b32 s24, -1, 0
	s_add_i32 s0, s12, 1
	v_mad_u32_u24 v1, v88, s6, 0x100
	s_cmp_lt_i32 s0, s17
	s_mov_b32 s6, s19
	s_cselect_b32 s25, -1, 0
	s_add_i32 s0, s12, 2
	v_mul_u32_u24_e32 v0, 0x90, v92
	s_cmp_lt_i32 s0, s17
	v_lshl_add_u32 v94, v80, 2, v1
	s_cselect_b32 s27, -1, 0
	s_add_i32 s0, s12, 3
	s_lshl_b32 s28, s20, 2
	s_cmp_lt_i32 s0, s17
	v_dual_mov_b32 v1, v95 :: v_dual_add_nc_u32 v96, v1, v0
	s_cselect_b32 s29, -1, 0
	s_add_i32 s0, s12, 4
	v_dual_mov_b32 v0, 0 :: v_dual_mov_b32 v3, v95
	s_cmp_lt_i32 s0, s17
	v_mov_b32_e32 v4, v95
	s_cselect_b32 s30, -1, 0
	s_add_i32 s0, s12, 5
	s_lshl_b32 s31, s20, 3
	s_cmp_lt_i32 s0, s17
	v_dual_mov_b32 v5, v95 :: v_dual_mov_b32 v8, 0
	s_cselect_b32 s33, -1, 0
	s_add_i32 s0, s12, 6
	v_mov_b32_e32 v6, v95
	s_cmp_lt_i32 s0, s17
	v_mov_b32_e32 v7, v95
	s_cselect_b32 s34, -1, 0
	s_add_i32 s0, s12, 7
	v_mov_b32_e32 v9, v95
	s_cmp_lt_i32 s0, s17
	v_mov_b32_e32 v10, v95
	;; [unrolled: 5-line block ×3, first 2 shown]
	s_cselect_b32 s38, -1, 0
	s_add_i32 s0, s12, 9
	s_lshl_b32 s39, s20, 4
	s_cmp_lt_i32 s0, s17
	v_mov_b32_e32 v13, v95
	s_cselect_b32 s40, -1, 0
	s_add_i32 s0, s12, 10
	v_mov_b32_e32 v14, v95
	s_cmp_lt_i32 s0, s17
	v_mov_b32_e32 v15, v95
	s_cselect_b32 s17, -1, 0
	s_ashr_i32 s7, s19, 31
	s_mul_i32 s36, s20, 6
	s_lshl_b64 s[6:7], s[6:7], 2
	s_add_u32 s0, s42, s46
	s_addc_u32 s41, s43, s47
	s_add_u32 s0, s0, s44
	s_addc_u32 s41, s41, s45
	;; [unrolled: 2-line block ×3, first 2 shown]
	v_add_co_u32 v82, s0, s0, v2
	s_delay_alu instid0(VALU_DEP_1)
	v_add_co_ci_u32_e64 v83, null, s4, 0, s0
	v_mov_b32_e32 v2, v95
	s_mul_i32 s37, s20, 10
	s_mul_i32 s4, s20, 20
	;; [unrolled: 1-line block ×5, first 2 shown]
	s_lshl_b32 s20, s20, 1
	s_lshl_b32 s43, s19, 1
	s_mul_i32 s44, s19, 3
	s_lshl_b32 s45, s19, 2
	s_mul_i32 s46, s19, 5
	s_mul_i32 s47, s19, 6
	;; [unrolled: 1-line block ×3, first 2 shown]
	s_lshl_b32 s49, s19, 3
	s_mul_i32 s50, s19, 9
	s_mul_i32 s51, s19, 10
	;; [unrolled: 1-line block ×7, first 2 shown]
	s_lshl_b32 s57, s19, 4
	s_mul_i32 s58, s19, 17
	s_mul_i32 s59, s19, 18
	;; [unrolled: 1-line block ×15, first 2 shown]
	s_mov_b32 s19, 0
	s_branch .LBB43_35
.LBB43_34:                              ;   in Loop: Header=BB43_35 Depth=1
	s_waitcnt vmcnt(0)
	v_cvt_f16_f32_e32 v84, v84
	v_cvt_f16_f32_e32 v85, v85
	v_add_nc_u32_e32 v86, 0x400, v94
	v_add_nc_u32_e32 v87, 0x800, v94
	;; [unrolled: 1-line block ×3, first 2 shown]
	v_add_co_u32 v82, s0, 0x300, v82
	v_pack_b32_f16 v84, v84, v85
	ds_store_2addr_b32 v86, v95, v95 offset0:192 offset1:228
	ds_store_2addr_b32 v87, v95, v95 offset0:8 offset1:44
	;; [unrolled: 1-line block ×3, first 2 shown]
	ds_load_b128 v[98:101], v96 offset:64
	ds_load_b128 v[102:105], v96 offset:80
	;; [unrolled: 1-line block ×6, first 2 shown]
	v_cmp_le_i32_e32 vcc_lo, s16, v93
	v_add_nc_u32_e32 v81, 0x180, v81
	v_add_co_ci_u32_e64 v83, s0, 0, v83, s0
	s_or_b32 s19, vcc_lo, s19
	s_waitcnt lgkmcnt(4)
	v_wmma_f32_16x16x16_f16 v[8:15], v[56:63], v[98:105], v[8:15]
	ds_load_b128 v[56:59], v96 offset:160
	ds_load_b128 v[60:63], v96 offset:176
	v_wmma_f32_16x16x16_f16 v[0:7], v[72:79], v[98:105], v[0:7]
	s_waitcnt lgkmcnt(4)
	v_wmma_f32_16x16x16_f16 v[8:15], v[40:47], v[106:113], v[8:15]
	s_delay_alu instid0(VALU_DEP_2) | instskip(SKIP_1) | instid1(VALU_DEP_2)
	v_wmma_f32_16x16x16_f16 v[0:7], v[64:71], v[106:113], v[0:7]
	s_waitcnt lgkmcnt(2)
	v_wmma_f32_16x16x16_f16 v[8:15], v[24:31], v[114:121], v[8:15]
	s_delay_alu instid0(VALU_DEP_2) | instskip(SKIP_1) | instid1(VALU_DEP_2)
	v_wmma_f32_16x16x16_f16 v[0:7], v[48:55], v[114:121], v[0:7]
	s_waitcnt lgkmcnt(0)
	v_wmma_f32_16x16x16_f16 v[8:15], v[16:23], v[56:63], v[8:15]
	s_delay_alu instid0(VALU_DEP_2)
	v_wmma_f32_16x16x16_f16 v[0:7], v[32:39], v[56:63], v[0:7]
	s_and_not1_b32 exec_lo, exec_lo, s19
	s_cbranch_execz .LBB43_68
.LBB43_35:                              ; =>This Inner Loop Header: Depth=1
	v_dual_mov_b32 v85, 0 :: v_dual_add_nc_u32 v16, s43, v93
	v_add_nc_u32_e32 v22, s45, v93
	v_add_nc_u32_e32 v18, s44, v93
	v_add_co_u32 v20, vcc_lo, v82, s6
	s_delay_alu instid0(VALU_DEP_4)
	v_ashrrev_i32_e32 v17, 31, v16
	v_add_co_ci_u32_e32 v21, vcc_lo, s7, v83, vcc_lo
	v_ashrrev_i32_e32 v23, 31, v22
	v_ashrrev_i32_e32 v19, 31, v18
	v_add_nc_u32_e32 v24, s46, v93
	v_lshlrev_b64 v[16:17], 2, v[16:17]
	s_clause 0x1
	global_load_b32 v38, v[82:83], off
	global_load_b32 v39, v[20:21], off
	v_lshlrev_b64 v[20:21], 2, v[22:23]
	v_add_nc_u32_e32 v22, s47, v93
	v_lshlrev_b64 v[18:19], 2, v[18:19]
	v_ashrrev_i32_e32 v25, 31, v24
	v_add_nc_u32_e32 v26, s48, v93
	v_add_co_u32 v16, vcc_lo, s8, v16
	v_ashrrev_i32_e32 v23, 31, v22
	v_add_co_ci_u32_e32 v17, vcc_lo, s13, v17, vcc_lo
	v_add_nc_u32_e32 v28, s49, v93
	v_add_co_u32 v18, vcc_lo, s8, v18
	v_lshlrev_b64 v[24:25], 2, v[24:25]
	v_ashrrev_i32_e32 v27, 31, v26
	v_add_co_ci_u32_e32 v19, vcc_lo, s13, v19, vcc_lo
	v_add_nc_u32_e32 v30, s50, v93
	v_add_co_u32 v20, vcc_lo, s8, v20
	v_lshlrev_b64 v[22:23], 2, v[22:23]
	v_ashrrev_i32_e32 v29, 31, v28
	v_add_co_ci_u32_e32 v21, vcc_lo, s13, v21, vcc_lo
	v_add_co_u32 v24, vcc_lo, s8, v24
	v_lshlrev_b64 v[26:27], 2, v[26:27]
	v_ashrrev_i32_e32 v31, 31, v30
	v_add_co_ci_u32_e32 v25, vcc_lo, s13, v25, vcc_lo
	v_add_co_u32 v22, vcc_lo, s8, v22
	v_lshlrev_b64 v[28:29], 2, v[28:29]
	v_add_co_ci_u32_e32 v23, vcc_lo, s13, v23, vcc_lo
	v_add_nc_u32_e32 v32, s51, v93
	v_add_co_u32 v26, vcc_lo, s8, v26
	v_lshlrev_b64 v[30:31], 2, v[30:31]
	v_add_co_ci_u32_e32 v27, vcc_lo, s13, v27, vcc_lo
	v_add_nc_u32_e32 v34, s52, v93
	v_add_co_u32 v28, vcc_lo, s8, v28
	v_ashrrev_i32_e32 v33, 31, v32
	v_add_co_ci_u32_e32 v29, vcc_lo, s13, v29, vcc_lo
	v_add_nc_u32_e32 v36, s53, v93
	v_add_co_u32 v30, vcc_lo, s8, v30
	v_ashrrev_i32_e32 v35, 31, v34
	v_add_co_ci_u32_e32 v31, vcc_lo, s13, v31, vcc_lo
	s_clause 0x7
	global_load_b32 v40, v[16:17], off
	global_load_b32 v41, v[18:19], off
	global_load_b32 v42, v[20:21], off
	global_load_b32 v43, v[24:25], off
	global_load_b32 v44, v[22:23], off
	global_load_b32 v45, v[26:27], off
	global_load_b32 v46, v[28:29], off
	global_load_b32 v47, v[30:31], off
	v_add_nc_u32_e32 v18, s54, v93
	v_lshlrev_b64 v[32:33], 2, v[32:33]
	v_ashrrev_i32_e32 v37, 31, v36
	v_add_nc_u32_e32 v24, s55, v93
	v_lshlrev_b64 v[16:17], 2, v[34:35]
	v_ashrrev_i32_e32 v19, 31, v18
	v_add_nc_u32_e32 v26, s56, v93
	v_add_co_u32 v20, vcc_lo, s8, v32
	v_lshlrev_b64 v[22:23], 2, v[36:37]
	v_ashrrev_i32_e32 v25, 31, v24
	v_add_co_ci_u32_e32 v21, vcc_lo, s13, v33, vcc_lo
	v_add_nc_u32_e32 v28, s57, v93
	v_add_co_u32 v16, vcc_lo, s8, v16
	v_lshlrev_b64 v[18:19], 2, v[18:19]
	v_ashrrev_i32_e32 v27, 31, v26
	v_add_co_ci_u32_e32 v17, vcc_lo, s13, v17, vcc_lo
	v_add_nc_u32_e32 v30, s58, v93
	v_add_co_u32 v22, vcc_lo, s8, v22
	v_lshlrev_b64 v[24:25], 2, v[24:25]
	v_ashrrev_i32_e32 v29, 31, v28
	v_add_co_ci_u32_e32 v23, vcc_lo, s13, v23, vcc_lo
	v_add_co_u32 v18, vcc_lo, s8, v18
	v_lshlrev_b64 v[26:27], 2, v[26:27]
	v_ashrrev_i32_e32 v31, 31, v30
	v_add_co_ci_u32_e32 v19, vcc_lo, s13, v19, vcc_lo
	v_add_co_u32 v24, vcc_lo, s8, v24
	v_lshlrev_b64 v[28:29], 2, v[28:29]
	v_add_co_ci_u32_e32 v25, vcc_lo, s13, v25, vcc_lo
	v_add_nc_u32_e32 v32, s59, v93
	v_add_co_u32 v26, vcc_lo, s8, v26
	v_lshlrev_b64 v[30:31], 2, v[30:31]
	v_add_co_ci_u32_e32 v27, vcc_lo, s13, v27, vcc_lo
	v_add_nc_u32_e32 v34, s60, v93
	v_add_co_u32 v28, vcc_lo, s8, v28
	v_ashrrev_i32_e32 v33, 31, v32
	v_add_co_ci_u32_e32 v29, vcc_lo, s13, v29, vcc_lo
	v_add_nc_u32_e32 v36, s61, v93
	v_add_co_u32 v30, vcc_lo, s8, v30
	v_ashrrev_i32_e32 v35, 31, v34
	v_add_co_ci_u32_e32 v31, vcc_lo, s13, v31, vcc_lo
	s_clause 0x7
	global_load_b32 v48, v[20:21], off
	global_load_b32 v49, v[16:17], off
	global_load_b32 v50, v[22:23], off
	global_load_b32 v51, v[18:19], off
	global_load_b32 v52, v[24:25], off
	global_load_b32 v53, v[26:27], off
	global_load_b32 v54, v[28:29], off
	global_load_b32 v55, v[30:31], off
	v_add_nc_u32_e32 v18, s62, v93
	v_lshlrev_b64 v[32:33], 2, v[32:33]
	v_ashrrev_i32_e32 v37, 31, v36
	v_add_nc_u32_e32 v24, s63, v93
	v_lshlrev_b64 v[16:17], 2, v[34:35]
	v_ashrrev_i32_e32 v19, 31, v18
	v_add_nc_u32_e32 v26, s64, v93
	v_add_co_u32 v20, vcc_lo, s8, v32
	v_lshlrev_b64 v[22:23], 2, v[36:37]
	;; [unrolled: 49-line block ×3, first 2 shown]
	v_ashrrev_i32_e32 v25, 31, v24
	v_add_co_ci_u32_e32 v21, vcc_lo, s13, v33, vcc_lo
	v_add_co_u32 v16, vcc_lo, s8, v16
	v_lshlrev_b64 v[18:19], 2, v[18:19]
	v_ashrrev_i32_e32 v27, 31, v26
	v_add_co_ci_u32_e32 v17, vcc_lo, s13, v17, vcc_lo
	v_add_co_u32 v22, vcc_lo, s8, v22
	v_lshlrev_b64 v[24:25], 2, v[24:25]
	v_add_co_ci_u32_e32 v23, vcc_lo, s13, v23, vcc_lo
	v_add_co_u32 v18, vcc_lo, s8, v18
	v_lshlrev_b64 v[26:27], 2, v[26:27]
	v_add_co_ci_u32_e32 v19, vcc_lo, s13, v19, vcc_lo
	v_add_co_u32 v24, vcc_lo, s8, v24
	v_add_co_ci_u32_e32 v25, vcc_lo, s13, v25, vcc_lo
	s_delay_alu instid0(VALU_DEP_4)
	v_add_co_u32 v26, vcc_lo, s8, v26
	v_add_co_ci_u32_e32 v27, vcc_lo, s13, v27, vcc_lo
	s_clause 0x5
	global_load_b32 v32, v[20:21], off
	global_load_b32 v33, v[16:17], off
	;; [unrolled: 1-line block ×6, first 2 shown]
	v_mov_b32_e32 v84, 0
	s_and_not1_b32 vcc_lo, exec_lo, s24
	s_waitcnt vmcnt(31)
	ds_store_b32 v94, v38 offset:64
	s_waitcnt vmcnt(30)
	ds_store_b32 v94, v39 offset:208
	;; [unrolled: 2-line block ×16, first 2 shown]
	ds_load_b128 v[56:59], v96 offset:64
	ds_load_b128 v[60:63], v96 offset:80
	;; [unrolled: 1-line block ×8, first 2 shown]
	s_waitcnt vmcnt(15)
	ds_store_b32 v94, v54 offset:64
	s_waitcnt vmcnt(14)
	ds_store_b32 v94, v55 offset:208
	;; [unrolled: 2-line block ×16, first 2 shown]
	ds_load_b128 v[72:75], v96 offset:64
	ds_load_b128 v[76:79], v96 offset:80
	;; [unrolled: 1-line block ×8, first 2 shown]
	s_cbranch_vccnz .LBB43_38
; %bb.36:                               ;   in Loop: Header=BB43_35 Depth=1
	ds_load_b32 v86, v97
	v_dual_mov_b32 v84, 0 :: v_dual_mov_b32 v85, 0
	s_waitcnt lgkmcnt(0)
	v_cmp_gt_i32_e32 vcc_lo, 0, v86
	s_cbranch_vccnz .LBB43_38
; %bb.37:                               ;   in Loop: Header=BB43_35 Depth=1
	v_mad_u64_u32 v[84:85], null, v86, s9, v[81:82]
	s_delay_alu instid0(VALU_DEP_1) | instskip(NEXT) | instid1(VALU_DEP_1)
	v_ashrrev_i32_e32 v85, 31, v84
	v_lshlrev_b64 v[84:85], 2, v[84:85]
	s_delay_alu instid0(VALU_DEP_1) | instskip(NEXT) | instid1(VALU_DEP_2)
	v_add_co_u32 v84, vcc_lo, s14, v84
	v_add_co_ci_u32_e32 v85, vcc_lo, s18, v85, vcc_lo
	global_load_b64 v[84:85], v[84:85], off
.LBB43_38:                              ;   in Loop: Header=BB43_35 Depth=1
	s_waitcnt vmcnt(0)
	v_cvt_f16_f32_e32 v84, v84
	v_cvt_f16_f32_e32 v85, v85
	v_mov_b32_e32 v87, 0
	s_and_not1_b32 vcc_lo, exec_lo, s25
	v_mov_b32_e32 v86, 0
	s_delay_alu instid0(VALU_DEP_3)
	v_pack_b32_f16 v84, v84, v85
	v_mov_b32_e32 v85, 0
	ds_store_b32 v94, v84 offset:64
	s_cbranch_vccnz .LBB43_41
; %bb.39:                               ;   in Loop: Header=BB43_35 Depth=1
	ds_load_b32 v84, v97 offset:4
	v_dual_mov_b32 v86, 0 :: v_dual_mov_b32 v87, 0
	s_waitcnt lgkmcnt(0)
	v_cmp_gt_i32_e32 vcc_lo, 0, v84
	s_cbranch_vccnz .LBB43_41
; %bb.40:                               ;   in Loop: Header=BB43_35 Depth=1
	v_mul_lo_u32 v84, v84, s9
	s_delay_alu instid0(VALU_DEP_1) | instskip(NEXT) | instid1(VALU_DEP_1)
	v_add3_u32 v86, v84, s20, v81
	v_ashrrev_i32_e32 v87, 31, v86
	s_delay_alu instid0(VALU_DEP_1) | instskip(NEXT) | instid1(VALU_DEP_1)
	v_lshlrev_b64 v[86:87], 2, v[86:87]
	v_add_co_u32 v86, vcc_lo, s14, v86
	s_delay_alu instid0(VALU_DEP_2)
	v_add_co_ci_u32_e32 v87, vcc_lo, s18, v87, vcc_lo
	global_load_b64 v[86:87], v[86:87], off
.LBB43_41:                              ;   in Loop: Header=BB43_35 Depth=1
	s_waitcnt vmcnt(0)
	v_cvt_f16_f32_e32 v84, v86
	v_cvt_f16_f32_e32 v86, v87
	s_and_not1_b32 vcc_lo, exec_lo, s27
	s_delay_alu instid0(VALU_DEP_1)
	v_pack_b32_f16 v86, v84, v86
	v_mov_b32_e32 v84, 0
	ds_store_b32 v94, v86 offset:208
	s_cbranch_vccnz .LBB43_44
; %bb.42:                               ;   in Loop: Header=BB43_35 Depth=1
	ds_load_b32 v86, v97 offset:8
	v_dual_mov_b32 v84, 0 :: v_dual_mov_b32 v85, 0
	s_waitcnt lgkmcnt(0)
	v_cmp_gt_i32_e32 vcc_lo, 0, v86
	s_cbranch_vccnz .LBB43_44
; %bb.43:                               ;   in Loop: Header=BB43_35 Depth=1
	v_mul_lo_u32 v84, v86, s9
	s_delay_alu instid0(VALU_DEP_1) | instskip(NEXT) | instid1(VALU_DEP_1)
	v_add3_u32 v84, v84, s28, v81
	v_ashrrev_i32_e32 v85, 31, v84
	s_delay_alu instid0(VALU_DEP_1) | instskip(NEXT) | instid1(VALU_DEP_1)
	v_lshlrev_b64 v[84:85], 2, v[84:85]
	v_add_co_u32 v84, vcc_lo, s14, v84
	s_delay_alu instid0(VALU_DEP_2)
	v_add_co_ci_u32_e32 v85, vcc_lo, s18, v85, vcc_lo
	global_load_b64 v[84:85], v[84:85], off
.LBB43_44:                              ;   in Loop: Header=BB43_35 Depth=1
	s_waitcnt vmcnt(0)
	v_cvt_f16_f32_e32 v84, v84
	v_cvt_f16_f32_e32 v85, v85
	v_mov_b32_e32 v87, 0
	s_and_not1_b32 vcc_lo, exec_lo, s29
	v_mov_b32_e32 v86, 0
	s_delay_alu instid0(VALU_DEP_3)
	v_pack_b32_f16 v84, v84, v85
	v_mov_b32_e32 v85, 0
	ds_store_b32 v94, v84 offset:352
	s_cbranch_vccnz .LBB43_47
; %bb.45:                               ;   in Loop: Header=BB43_35 Depth=1
	ds_load_b32 v84, v97 offset:12
	v_dual_mov_b32 v86, 0 :: v_dual_mov_b32 v87, 0
	s_waitcnt lgkmcnt(0)
	v_cmp_gt_i32_e32 vcc_lo, 0, v84
	s_cbranch_vccnz .LBB43_47
; %bb.46:                               ;   in Loop: Header=BB43_35 Depth=1
	v_mul_lo_u32 v84, v84, s9
	s_delay_alu instid0(VALU_DEP_1) | instskip(NEXT) | instid1(VALU_DEP_1)
	v_add3_u32 v86, v84, s36, v81
	v_ashrrev_i32_e32 v87, 31, v86
	s_delay_alu instid0(VALU_DEP_1) | instskip(NEXT) | instid1(VALU_DEP_1)
	v_lshlrev_b64 v[86:87], 2, v[86:87]
	v_add_co_u32 v86, vcc_lo, s14, v86
	s_delay_alu instid0(VALU_DEP_2)
	v_add_co_ci_u32_e32 v87, vcc_lo, s18, v87, vcc_lo
	global_load_b64 v[86:87], v[86:87], off
.LBB43_47:                              ;   in Loop: Header=BB43_35 Depth=1
	s_waitcnt vmcnt(0)
	v_cvt_f16_f32_e32 v84, v86
	v_cvt_f16_f32_e32 v86, v87
	s_and_not1_b32 vcc_lo, exec_lo, s30
	s_delay_alu instid0(VALU_DEP_1)
	v_pack_b32_f16 v86, v84, v86
	v_mov_b32_e32 v84, 0
	ds_store_b32 v94, v86 offset:496
	s_cbranch_vccnz .LBB43_50
; %bb.48:                               ;   in Loop: Header=BB43_35 Depth=1
	ds_load_b32 v86, v97 offset:16
	v_dual_mov_b32 v84, 0 :: v_dual_mov_b32 v85, 0
	s_waitcnt lgkmcnt(0)
	v_cmp_gt_i32_e32 vcc_lo, 0, v86
	s_cbranch_vccnz .LBB43_50
; %bb.49:                               ;   in Loop: Header=BB43_35 Depth=1
	v_mul_lo_u32 v84, v86, s9
	s_delay_alu instid0(VALU_DEP_1) | instskip(NEXT) | instid1(VALU_DEP_1)
	v_add3_u32 v84, v84, s31, v81
	v_ashrrev_i32_e32 v85, 31, v84
	s_delay_alu instid0(VALU_DEP_1) | instskip(NEXT) | instid1(VALU_DEP_1)
	v_lshlrev_b64 v[84:85], 2, v[84:85]
	v_add_co_u32 v84, vcc_lo, s14, v84
	s_delay_alu instid0(VALU_DEP_2)
	v_add_co_ci_u32_e32 v85, vcc_lo, s18, v85, vcc_lo
	global_load_b64 v[84:85], v[84:85], off
.LBB43_50:                              ;   in Loop: Header=BB43_35 Depth=1
	;; [unrolled: 56-line block ×4, first 2 shown]
	s_waitcnt vmcnt(0)
	v_cvt_f16_f32_e32 v84, v84
	v_cvt_f16_f32_e32 v85, v85
	v_mov_b32_e32 v87, 0
	s_and_not1_b32 vcc_lo, exec_lo, s40
	v_mov_b32_e32 v86, 0
	s_delay_alu instid0(VALU_DEP_3)
	v_pack_b32_f16 v84, v84, v85
	v_mov_b32_e32 v85, 0
	ds_store_b32 v94, v84 offset:1216
	s_cbranch_vccnz .LBB43_65
; %bb.63:                               ;   in Loop: Header=BB43_35 Depth=1
	ds_load_b32 v84, v97 offset:36
	v_dual_mov_b32 v86, 0 :: v_dual_mov_b32 v87, 0
	s_waitcnt lgkmcnt(0)
	v_cmp_gt_i32_e32 vcc_lo, 0, v84
	s_cbranch_vccnz .LBB43_65
; %bb.64:                               ;   in Loop: Header=BB43_35 Depth=1
	v_mul_lo_u32 v84, v84, s9
	s_delay_alu instid0(VALU_DEP_1) | instskip(NEXT) | instid1(VALU_DEP_1)
	v_add3_u32 v86, v84, s5, v81
	v_ashrrev_i32_e32 v87, 31, v86
	s_delay_alu instid0(VALU_DEP_1) | instskip(NEXT) | instid1(VALU_DEP_1)
	v_lshlrev_b64 v[86:87], 2, v[86:87]
	v_add_co_u32 v86, vcc_lo, s14, v86
	s_delay_alu instid0(VALU_DEP_2)
	v_add_co_ci_u32_e32 v87, vcc_lo, s18, v87, vcc_lo
	global_load_b64 v[86:87], v[86:87], off
.LBB43_65:                              ;   in Loop: Header=BB43_35 Depth=1
	s_waitcnt vmcnt(0)
	v_cvt_f16_f32_e32 v84, v86
	v_cvt_f16_f32_e32 v86, v87
	s_and_not1_b32 vcc_lo, exec_lo, s17
	s_delay_alu instid0(VALU_DEP_1)
	v_pack_b32_f16 v86, v84, v86
	v_mov_b32_e32 v84, 0
	ds_store_b32 v94, v86 offset:1360
	s_cbranch_vccnz .LBB43_34
; %bb.66:                               ;   in Loop: Header=BB43_35 Depth=1
	ds_load_b32 v86, v97 offset:40
	v_dual_mov_b32 v84, 0 :: v_dual_mov_b32 v85, 0
	s_waitcnt lgkmcnt(0)
	v_cmp_gt_i32_e32 vcc_lo, 0, v86
	s_cbranch_vccnz .LBB43_34
; %bb.67:                               ;   in Loop: Header=BB43_35 Depth=1
	v_mul_lo_u32 v84, v86, s9
	s_delay_alu instid0(VALU_DEP_1) | instskip(NEXT) | instid1(VALU_DEP_1)
	v_add3_u32 v84, v84, s4, v81
	v_ashrrev_i32_e32 v85, 31, v84
	s_delay_alu instid0(VALU_DEP_1) | instskip(NEXT) | instid1(VALU_DEP_1)
	v_lshlrev_b64 v[84:85], 2, v[84:85]
	v_add_co_u32 v84, vcc_lo, s14, v84
	s_delay_alu instid0(VALU_DEP_2)
	v_add_co_ci_u32_e32 v85, vcc_lo, s18, v85, vcc_lo
	global_load_b64 v[84:85], v[84:85], off
	s_branch .LBB43_34
.LBB43_68:
	s_or_b32 exec_lo, exec_lo, s19
.LBB43_69:
	s_delay_alu instid0(SALU_CYCLE_1) | instskip(SKIP_4) | instid1(VALU_DEP_3)
	s_or_b32 exec_lo, exec_lo, s11
	v_lshrrev_b32_e32 v16, 2, v80
	s_movk_i32 s0, 0x310
	v_lshlrev_b32_e32 v17, 2, v91
	v_mad_u32_u24 v18, v92, s0, 0x100
	v_and_b32_e32 v16, 0xfc, v16
	s_barrier
	buffer_gl0_inv
	s_mov_b32 s0, exec_lo
	v_add3_u32 v17, v18, v16, v17
	v_lshl_add_u32 v16, v80, 2, 0x100
	ds_store_2addr_b32 v17, v8, v9 offset0:16 offset1:18
	ds_store_2addr_b32 v17, v10, v11 offset0:20 offset1:22
	;; [unrolled: 1-line block ×7, first 2 shown]
	v_mad_u32_u24 v0, 0x310, v88, v16
	ds_store_2addr_b32 v17, v6, v7 offset0:44 offset1:46
	v_mov_b32_e32 v7, -1
	s_waitcnt lgkmcnt(0)
	s_barrier
	buffer_gl0_inv
	ds_load_2addr_b32 v[4:5], v0 offset0:16 offset1:48
	ds_load_2addr_b32 v[2:3], v0 offset0:80 offset1:112
	;; [unrolled: 1-line block ×3, first 2 shown]
	v_cmpx_gt_u32_e32 11, v88
	s_cbranch_execz .LBB43_71
; %bb.70:
	ds_load_b32 v7, v89
.LBB43_71:
	s_or_b32 exec_lo, exec_lo, s0
	s_mul_hi_i32 s5, s26, s15
	s_mul_i32 s4, s26, s15
	s_mul_hi_i32 s7, s12, s21
	s_lshl_b64 s[4:5], s[4:5], 2
	s_mul_i32 s6, s12, s21
	s_waitcnt lgkmcnt(0)
	v_cmp_lt_i32_e32 vcc_lo, -1, v7
	s_add_u32 s0, s22, s4
	s_addc_u32 s8, s23, s5
	s_lshl_b64 s[4:5], s[6:7], 2
	v_add_nc_u32_e32 v6, s1, v80
	s_add_u32 s0, s0, s4
	s_addc_u32 s1, s8, s5
	s_and_b32 s4, vcc_lo, s2
	s_delay_alu instid0(SALU_CYCLE_1)
	s_and_saveexec_b32 s2, s4
	s_cbranch_execz .LBB43_73
; %bb.72:
	v_add_f32_e32 v4, 0, v4
	s_delay_alu instid0(VALU_DEP_1) | instskip(SKIP_2) | instid1(VALU_DEP_3)
	v_add_f32_e32 v4, v4, v5
	v_mul_lo_u32 v5, v7, s10
	v_mul_lo_u32 v7, v88, s21
	v_add_f32_e32 v2, v4, v2
	v_mov_b32_e32 v4, 0
	s_delay_alu instid0(VALU_DEP_2) | instskip(NEXT) | instid1(VALU_DEP_4)
	v_add_f32_e32 v2, v2, v3
	v_add3_u32 v3, v6, v7, v5
	s_delay_alu instid0(VALU_DEP_2) | instskip(NEXT) | instid1(VALU_DEP_2)
	v_add_f32_e32 v0, v2, v0
	v_lshlrev_b64 v[2:3], 2, v[3:4]
	s_delay_alu instid0(VALU_DEP_2) | instskip(NEXT) | instid1(VALU_DEP_2)
	v_add_f32_e32 v4, v0, v1
	v_add_co_u32 v0, vcc_lo, s0, v2
	s_delay_alu instid0(VALU_DEP_3)
	v_add_co_ci_u32_e32 v1, vcc_lo, s1, v3, vcc_lo
	global_store_b32 v[0:1], v4, off
.LBB43_73:
	s_or_b32 exec_lo, exec_lo, s2
	v_cmp_gt_u32_e32 vcc_lo, 5, v88
	s_and_b32 exec_lo, exec_lo, vcc_lo
	s_cbranch_execz .LBB43_76
; %bb.74:
	ds_load_b32 v0, v89 offset:24
	s_waitcnt lgkmcnt(0)
	v_cmp_lt_i32_e32 vcc_lo, -1, v0
	s_and_b32 s2, vcc_lo, s3
	s_delay_alu instid0(SALU_CYCLE_1)
	s_and_b32 exec_lo, exec_lo, s2
	s_cbranch_execz .LBB43_76
; %bb.75:
	v_mul_u32_u24_e32 v1, 0x310, v88
	v_mul_lo_u32 v0, v0, s10
	s_delay_alu instid0(VALU_DEP_2) | instskip(NEXT) | instid1(VALU_DEP_1)
	v_add_nc_u32_e32 v5, v1, v16
	v_add_nc_u32_e32 v1, 0x1000, v5
	;; [unrolled: 1-line block ×4, first 2 shown]
	ds_load_2addr_b32 v[1:2], v1 offset0:168 offset1:200
	ds_load_2addr_b32 v[3:4], v3 offset0:104 offset1:136
	;; [unrolled: 1-line block ×3, first 2 shown]
	s_waitcnt lgkmcnt(2)
	v_add_f32_e32 v1, 0, v1
	s_delay_alu instid0(VALU_DEP_1) | instskip(SKIP_2) | instid1(VALU_DEP_2)
	v_add_f32_e32 v1, v1, v2
	v_mul_lo_u32 v2, v90, s21
	s_waitcnt lgkmcnt(1)
	v_add_f32_e32 v3, v1, v3
	v_mov_b32_e32 v1, 0
	s_delay_alu instid0(VALU_DEP_3) | instskip(NEXT) | instid1(VALU_DEP_3)
	v_add3_u32 v0, v6, v2, v0
	v_add_f32_e32 v3, v3, v4
	s_delay_alu instid0(VALU_DEP_2) | instskip(SKIP_1) | instid1(VALU_DEP_2)
	v_lshlrev_b64 v[0:1], 2, v[0:1]
	s_waitcnt lgkmcnt(0)
	v_add_f32_e32 v2, v3, v7
	s_delay_alu instid0(VALU_DEP_1) | instskip(NEXT) | instid1(VALU_DEP_3)
	v_add_f32_e32 v2, v2, v8
	v_add_co_u32 v0, vcc_lo, s0, v0
	s_delay_alu instid0(VALU_DEP_4)
	v_add_co_ci_u32_e32 v1, vcc_lo, s1, v1, vcc_lo
	global_store_b32 v[0:1], v2, off
.LBB43_76:
	s_nop 0
	s_sendmsg sendmsg(MSG_DEALLOC_VGPRS)
	s_endpgm
	.section	.rodata,"a",@progbits
	.p2align	6, 0x0
	.amdhsa_kernel _ZL9mul_mat_fI7__half2Li32ELi11ELi6ELb1EEvPKT_PKfPKiPfiiiiiiiiiiiiiiii
		.amdhsa_group_segment_fixed_size 256
		.amdhsa_private_segment_fixed_size 0
		.amdhsa_kernarg_size 352
		.amdhsa_user_sgpr_count 13
		.amdhsa_user_sgpr_dispatch_ptr 0
		.amdhsa_user_sgpr_queue_ptr 0
		.amdhsa_user_sgpr_kernarg_segment_ptr 1
		.amdhsa_user_sgpr_dispatch_id 0
		.amdhsa_user_sgpr_private_segment_size 0
		.amdhsa_wavefront_size32 1
		.amdhsa_uses_dynamic_stack 0
		.amdhsa_enable_private_segment 0
		.amdhsa_system_sgpr_workgroup_id_x 1
		.amdhsa_system_sgpr_workgroup_id_y 1
		.amdhsa_system_sgpr_workgroup_id_z 1
		.amdhsa_system_sgpr_workgroup_info 0
		.amdhsa_system_vgpr_workitem_id 2
		.amdhsa_next_free_vgpr 122
		.amdhsa_next_free_sgpr 73
		.amdhsa_reserve_vcc 1
		.amdhsa_float_round_mode_32 0
		.amdhsa_float_round_mode_16_64 0
		.amdhsa_float_denorm_mode_32 3
		.amdhsa_float_denorm_mode_16_64 3
		.amdhsa_dx10_clamp 1
		.amdhsa_ieee_mode 1
		.amdhsa_fp16_overflow 0
		.amdhsa_workgroup_processor_mode 1
		.amdhsa_memory_ordered 1
		.amdhsa_forward_progress 0
		.amdhsa_shared_vgpr_count 0
		.amdhsa_exception_fp_ieee_invalid_op 0
		.amdhsa_exception_fp_denorm_src 0
		.amdhsa_exception_fp_ieee_div_zero 0
		.amdhsa_exception_fp_ieee_overflow 0
		.amdhsa_exception_fp_ieee_underflow 0
		.amdhsa_exception_fp_ieee_inexact 0
		.amdhsa_exception_int_div_zero 0
	.end_amdhsa_kernel
	.section	.text._ZL9mul_mat_fI7__half2Li32ELi11ELi6ELb1EEvPKT_PKfPKiPfiiiiiiiiiiiiiiii,"axG",@progbits,_ZL9mul_mat_fI7__half2Li32ELi11ELi6ELb1EEvPKT_PKfPKiPfiiiiiiiiiiiiiiii,comdat
.Lfunc_end43:
	.size	_ZL9mul_mat_fI7__half2Li32ELi11ELi6ELb1EEvPKT_PKfPKiPfiiiiiiiiiiiiiiii, .Lfunc_end43-_ZL9mul_mat_fI7__half2Li32ELi11ELi6ELb1EEvPKT_PKfPKiPfiiiiiiiiiiiiiiii
                                        ; -- End function
	.section	.AMDGPU.csdata,"",@progbits
; Kernel info:
; codeLenInByte = 6244
; NumSgprs: 75
; NumVgprs: 122
; ScratchSize: 0
; MemoryBound: 0
; FloatMode: 240
; IeeeMode: 1
; LDSByteSize: 256 bytes/workgroup (compile time only)
; SGPRBlocks: 9
; VGPRBlocks: 15
; NumSGPRsForWavesPerEU: 75
; NumVGPRsForWavesPerEU: 122
; Occupancy: 10
; WaveLimiterHint : 0
; COMPUTE_PGM_RSRC2:SCRATCH_EN: 0
; COMPUTE_PGM_RSRC2:USER_SGPR: 13
; COMPUTE_PGM_RSRC2:TRAP_HANDLER: 0
; COMPUTE_PGM_RSRC2:TGID_X_EN: 1
; COMPUTE_PGM_RSRC2:TGID_Y_EN: 1
; COMPUTE_PGM_RSRC2:TGID_Z_EN: 1
; COMPUTE_PGM_RSRC2:TIDIG_COMP_CNT: 2
	.section	.text._ZL9mul_mat_fI7__half2Li32ELi11ELi6ELb0EEvPKT_PKfPKiPfiiiiiiiiiiiiiiii,"axG",@progbits,_ZL9mul_mat_fI7__half2Li32ELi11ELi6ELb0EEvPKT_PKfPKiPfiiiiiiiiiiiiiiii,comdat
	.globl	_ZL9mul_mat_fI7__half2Li32ELi11ELi6ELb0EEvPKT_PKfPKiPfiiiiiiiiiiiiiiii ; -- Begin function _ZL9mul_mat_fI7__half2Li32ELi11ELi6ELb0EEvPKT_PKfPKiPfiiiiiiiiiiiiiiii
	.p2align	8
	.type	_ZL9mul_mat_fI7__half2Li32ELi11ELi6ELb0EEvPKT_PKfPKiPfiiiiiiiiiiiiiiii,@function
_ZL9mul_mat_fI7__half2Li32ELi11ELi6ELb0EEvPKT_PKfPKiPfiiiiiiiiiiiiiiii: ; @_ZL9mul_mat_fI7__half2Li32ELi11ELi6ELb0EEvPKT_PKfPKiPfiiiiiiiiiiiiiiii
; %bb.0:
	s_clause 0x2
	s_load_b256 s[4:11], s[0:1], 0x40
	s_load_b32 s22, s[0:1], 0x20
	s_load_b128 s[16:19], s[0:1], 0x2c
	v_bfe_u32 v72, v0, 10, 10
	v_and_b32_e32 v73, 0x3ff, v0
	s_mov_b32 s12, 0
	s_ashr_i32 s24, s15, 31
	s_waitcnt lgkmcnt(0)
	s_mov_b32 s19, exec_lo
	v_and_b32_e32 v75, 15, v73
	s_abs_i32 s2, s4
	s_abs_i32 s23, s8
	v_cvt_f32_u32_e32 v1, s2
	v_cvt_f32_u32_e32 v2, s23
	s_delay_alu instid0(VALU_DEP_2) | instskip(NEXT) | instid1(VALU_DEP_1)
	v_rcp_iflag_f32_e32 v1, v1
	v_rcp_iflag_f32_e32 v2, v2
	v_lshlrev_b32_e32 v74, 5, v72
	s_waitcnt_depctr 0xfff
	v_dual_mul_f32 v0, 0x4f7ffffe, v1 :: v_dual_mul_f32 v1, 0x4f7ffffe, v2
	v_add_nc_u32_e32 v76, v74, v73
	s_delay_alu instid0(VALU_DEP_2) | instskip(NEXT) | instid1(VALU_DEP_3)
	v_cvt_u32_f32_e32 v0, v0
	v_cvt_u32_f32_e32 v1, v1
	s_delay_alu instid0(VALU_DEP_2) | instskip(NEXT) | instid1(VALU_DEP_2)
	v_readfirstlane_b32 s25, v0
	v_readfirstlane_b32 s3, v1
	v_cmpx_le_i32_e64 s22, v76
	s_xor_b32 s19, exec_lo, s19
; %bb.1:
	v_and_b32_e32 v75, 15, v73
                                        ; implicit-def: $vgpr76
; %bb.2:
	s_or_saveexec_b32 s19, s19
	s_load_b64 s[20:21], s[0:1], 0x18
	v_dual_mov_b32 v15, s12 :: v_dual_mov_b32 v14, s12
	v_dual_mov_b32 v13, s12 :: v_dual_mov_b32 v12, s12
	;; [unrolled: 1-line block ×8, first 2 shown]
	s_lshl_b32 s12, s13, 5
	s_xor_b32 exec_lo, exec_lo, s19
	s_cbranch_execz .LBB44_6
; %bb.3:
	s_sub_i32 s13, 0, s2
	s_sub_i32 s26, 0, s23
	s_mul_i32 s13, s13, s25
	s_mul_i32 s26, s26, s3
	s_mul_hi_u32 s13, s25, s13
	s_mul_hi_u32 s26, s3, s26
	s_abs_i32 s27, s14
	s_add_i32 s25, s25, s13
	s_add_i32 s26, s3, s26
	s_mul_hi_u32 s3, s27, s25
	s_ashr_i32 s25, s14, 31
	s_ashr_i32 s4, s4, 31
	s_mul_i32 s28, s3, s2
	s_xor_b32 s4, s25, s4
	s_sub_i32 s25, s27, s28
	s_abs_i32 s13, s15
	s_ashr_i32 s8, s8, 31
	s_add_i32 s27, s3, 1
	s_sub_i32 s28, s25, s2
	s_cmp_ge_u32 s25, s2
	s_mul_hi_u32 s26, s13, s26
	s_cselect_b32 s3, s27, s3
	s_cselect_b32 s25, s28, s25
	s_add_i32 s27, s3, 1
	s_cmp_ge_u32 s25, s2
	s_mul_i32 s28, s14, s6
	s_cselect_b32 s25, s27, s3
	s_load_b128 s[0:3], s[0:1], 0x0
	s_xor_b32 s25, s25, s4
	s_xor_b32 s8, s24, s8
	s_sub_i32 s4, s25, s4
	s_mul_i32 s25, s26, s23
	s_add_i32 s24, s26, 1
	s_sub_i32 s13, s13, s25
	s_mul_i32 s4, s4, s5
	s_sub_i32 s25, s13, s23
	s_cmp_ge_u32 s13, s23
	s_mul_hi_i32 s27, s10, s15
	s_cselect_b32 s24, s24, s26
	s_cselect_b32 s13, s25, s13
	s_add_i32 s25, s24, 1
	s_cmp_ge_u32 s13, s23
	s_mul_i32 s26, s10, s15
	s_cselect_b32 s13, s25, s24
	s_ashr_i32 s5, s4, 31
	s_xor_b32 s13, s13, s8
	v_lshlrev_b32_e32 v3, 7, v72
	s_sub_i32 s8, s13, s8
	v_mad_u32_u24 v1, 0x900, v72, 0
	s_mul_hi_i32 s25, s8, s9
	s_mul_i32 s24, s8, s9
	s_mul_i32 s8, s12, s16
	s_lshl_b64 s[24:25], s[24:25], 2
	v_dual_mov_b32 v79, 0 :: v_dual_lshlrev_b32 v0, 2, v73
	s_waitcnt lgkmcnt(0)
	s_add_u32 s13, s0, s24
	s_addc_u32 s23, s1, s25
	s_ashr_i32 s9, s8, 31
	s_lshl_b64 s[4:5], s[4:5], 2
	s_lshl_b64 s[8:9], s[8:9], 2
	v_lshlrev_b32_e32 v5, 8, v72
	s_add_u32 s30, s4, s8
	s_addc_u32 s31, s5, s9
	s_add_u32 s6, s30, s13
	s_addc_u32 s8, s31, s23
	s_ashr_i32 s29, s28, 31
	s_lshl_b64 s[4:5], s[26:27], 2
	s_lshl_b64 s[26:27], s[28:29], 2
	v_add_nc_u32_e32 v77, v1, v0
	s_add_u32 s13, s2, s26
	s_addc_u32 s23, s3, s27
	s_add_u32 s9, s13, s4
	s_addc_u32 s10, s23, s5
	s_ashr_i32 s3, s16, 31
	s_mov_b32 s2, s16
	s_ashr_i32 s27, s17, 31
	s_lshl_b64 s[2:3], s[2:3], 2
	s_add_u32 s24, s30, s24
	s_addc_u32 s25, s31, s25
	v_add_co_u32 v3, s24, s24, v3
	s_delay_alu instid0(VALU_DEP_1) | instskip(SKIP_1) | instid1(VALU_DEP_3)
	v_add_co_ci_u32_e64 v4, null, s25, 0, s24
	v_lshlrev_b32_e32 v6, 3, v73
	v_add_co_u32 v0, vcc_lo, v3, v0
	s_delay_alu instid0(VALU_DEP_3) | instskip(SKIP_1) | instid1(VALU_DEP_3)
	v_add_co_ci_u32_e32 v3, vcc_lo, 0, v4, vcc_lo
	v_add_co_u32 v4, s4, s4, v5
	v_add_co_u32 v16, vcc_lo, s0, v0
	v_add_co_ci_u32_e64 v5, null, s5, 0, s4
	s_delay_alu instid0(VALU_DEP_4) | instskip(NEXT) | instid1(VALU_DEP_4)
	v_add_co_ci_u32_e32 v17, vcc_lo, s1, v3, vcc_lo
	v_add_co_u32 v0, vcc_lo, v4, v6
	s_delay_alu instid0(VALU_DEP_3) | instskip(SKIP_1) | instid1(VALU_DEP_3)
	v_add_co_ci_u32_e32 v3, vcc_lo, 0, v5, vcc_lo
	v_mul_u32_u24_e32 v2, 0x90, v75
	v_add_co_u32 v18, vcc_lo, s13, v0
	v_mov_b32_e32 v0, 0
	s_delay_alu instid0(VALU_DEP_4) | instskip(NEXT) | instid1(VALU_DEP_4)
	v_add_co_ci_u32_e32 v19, vcc_lo, s23, v3, vcc_lo
	v_add_nc_u32_e32 v78, v1, v2
	s_mov_b32 s26, s17
	s_delay_alu instid0(VALU_DEP_3)
	v_mov_b32_e32 v3, v0
	v_mov_b32_e32 v1, v0
	;; [unrolled: 1-line block ×15, first 2 shown]
	s_lshl_b64 s[4:5], s[26:27], 3
	s_mul_i32 s1, s16, 31
	s_lshl_b32 s13, s17, 1
	s_mul_i32 s23, s17, 3
	s_lshl_b32 s24, s17, 2
	s_mul_i32 s25, s17, 5
	s_mul_i32 s26, s17, 6
	;; [unrolled: 1-line block ×3, first 2 shown]
	s_lshl_b32 s28, s17, 3
	s_mul_i32 s29, s17, 9
	s_mul_i32 s17, s17, 10
	s_lshl_b32 s30, s16, 1
	s_mul_i32 s31, s16, 3
	s_lshl_b32 s33, s16, 2
	s_mul_i32 s34, s16, 5
	s_mul_i32 s35, s16, 6
	;; [unrolled: 1-line block ×3, first 2 shown]
	s_lshl_b32 s37, s16, 3
	s_mul_i32 s38, s16, 9
	s_mul_i32 s39, s16, 10
	;; [unrolled: 1-line block ×7, first 2 shown]
	s_lshl_b32 s45, s16, 4
	s_mul_i32 s46, s16, 17
	s_mul_i32 s47, s16, 18
	;; [unrolled: 1-line block ×14, first 2 shown]
	s_mov_b32 s16, 0
.LBB44_4:                               ; =>This Inner Loop Header: Depth=1
	v_add_nc_u32_e32 v20, s30, v76
	v_add_nc_u32_e32 v22, s31, v76
	v_add_nc_u32_e32 v24, s33, v76
	v_add_nc_u32_e32 v26, s34, v76
	v_add_co_u32 v106, vcc_lo, v16, s2
	v_ashrrev_i32_e32 v21, 31, v20
	v_ashrrev_i32_e32 v23, 31, v22
	;; [unrolled: 1-line block ×3, first 2 shown]
	v_add_nc_u32_e32 v28, s35, v76
	v_add_co_ci_u32_e32 v107, vcc_lo, s3, v17, vcc_lo
	v_lshlrev_b64 v[20:21], 2, v[20:21]
	v_add_co_u32 v110, vcc_lo, v18, s4
	v_lshlrev_b64 v[22:23], 2, v[22:23]
	v_ashrrev_i32_e32 v27, 31, v26
	v_add_nc_u32_e32 v30, s36, v76
	v_add_co_ci_u32_e32 v111, vcc_lo, s5, v19, vcc_lo
	v_lshlrev_b64 v[24:25], 2, v[24:25]
	v_add_co_u32 v20, vcc_lo, s6, v20
	v_ashrrev_i32_e32 v29, 31, v28
	v_add_nc_u32_e32 v32, s37, v76
	v_add_co_ci_u32_e32 v21, vcc_lo, s8, v21, vcc_lo
	v_lshlrev_b64 v[26:27], 2, v[26:27]
	v_add_co_u32 v22, vcc_lo, s6, v22
	;; [unrolled: 5-line block ×34, first 2 shown]
	v_ashrrev_i32_e32 v103, 31, v102
	v_add_co_ci_u32_e32 v95, vcc_lo, s10, v95, vcc_lo
	v_lshlrev_b64 v[100:101], 3, v[100:101]
	v_add_co_u32 v96, vcc_lo, s9, v96
	v_ashrrev_i32_e32 v105, 31, v104
	v_add_co_ci_u32_e32 v97, vcc_lo, s10, v97, vcc_lo
	v_lshlrev_b64 v[102:103], 3, v[102:103]
	v_add_co_u32 v98, vcc_lo, s9, v98
	v_add_co_ci_u32_e32 v99, vcc_lo, s10, v99, vcc_lo
	global_load_b64 v[108:109], v[18:19], off
	global_load_b32 v112, v[16:17], off
	v_lshlrev_b64 v[104:105], 3, v[104:105]
	v_add_co_u32 v100, vcc_lo, s9, v100
	v_add_co_ci_u32_e32 v101, vcc_lo, s10, v101, vcc_lo
	global_load_b32 v113, v[106:107], off
	global_load_b64 v[106:107], v[110:111], off
	v_add_co_u32 v102, vcc_lo, s9, v102
	v_add_co_ci_u32_e32 v103, vcc_lo, s10, v103, vcc_lo
	v_add_co_u32 v104, vcc_lo, s9, v104
	v_add_co_ci_u32_e32 v105, vcc_lo, s10, v105, vcc_lo
	s_clause 0xd
	global_load_b32 v110, v[20:21], off
	global_load_b32 v111, v[22:23], off
	;; [unrolled: 1-line block ×14, first 2 shown]
	s_clause 0x8
	global_load_b64 v[20:21], v[88:89], off
	global_load_b64 v[22:23], v[90:91], off
	;; [unrolled: 1-line block ×9, first 2 shown]
	s_clause 0xf
	global_load_b32 v88, v[48:49], off
	global_load_b32 v89, v[50:51], off
	global_load_b32 v52, v[52:53], off
	global_load_b32 v53, v[54:55], off
	global_load_b32 v54, v[56:57], off
	global_load_b32 v55, v[58:59], off
	global_load_b32 v56, v[60:61], off
	global_load_b32 v57, v[62:63], off
	global_load_b32 v58, v[64:65], off
	global_load_b32 v59, v[66:67], off
	global_load_b32 v60, v[68:69], off
	global_load_b32 v61, v[70:71], off
	global_load_b32 v62, v[80:81], off
	global_load_b32 v63, v[82:83], off
	global_load_b32 v64, v[84:85], off
	global_load_b32 v65, v[86:87], off
	v_add_nc_u32_e32 v76, 0xc0, v76
	v_add_co_u32 v16, vcc_lo, 0x300, v16
	v_add_co_ci_u32_e32 v17, vcc_lo, 0, v17, vcc_lo
	v_add_co_u32 v18, vcc_lo, 0x600, v18
	s_delay_alu instid0(VALU_DEP_4) | instskip(SKIP_1) | instid1(VALU_DEP_2)
	v_cmp_le_i32_e64 s0, s22, v76
	v_add_co_ci_u32_e32 v19, vcc_lo, 0, v19, vcc_lo
	s_or_b32 s16, s0, s16
	s_waitcnt vmcnt(24)
	v_cvt_f16_f32_e32 v70, v20
	v_cvt_f16_f32_e32 v71, v21
	s_waitcnt vmcnt(23)
	v_cvt_f16_f32_e32 v96, v22
	v_cvt_f16_f32_e32 v97, v23
	;; [unrolled: 3-line block ×4, first 2 shown]
	v_cvt_f16_f32_e32 v43, v108
	v_cvt_f16_f32_e32 v44, v109
	ds_store_b32 v77, v112
	s_waitcnt vmcnt(20)
	v_cvt_f16_f32_e32 v102, v28
	v_cvt_f16_f32_e32 v103, v29
	s_waitcnt vmcnt(19)
	v_cvt_f16_f32_e32 v104, v30
	ds_store_b32 v77, v113 offset:144
	v_cvt_f16_f32_e32 v45, v106
	v_cvt_f16_f32_e32 v46, v107
	v_pack_b32_f16 v68, v43, v44
	ds_store_b32 v77, v110 offset:288
	ds_store_b32 v77, v111 offset:432
	ds_store_b32 v77, v114 offset:576
	ds_store_b32 v77, v115 offset:720
	ds_store_b32 v77, v116 offset:864
	ds_store_b32 v77, v117 offset:1008
	ds_store_b32 v77, v118 offset:1152
	ds_store_b32 v77, v119 offset:1296
	ds_store_b32 v77, v120 offset:1440
	ds_store_b32 v77, v38 offset:1584
	ds_store_b32 v77, v39 offset:1728
	ds_store_b32 v77, v40 offset:1872
	ds_store_b32 v77, v41 offset:2016
	ds_store_b32 v77, v42 offset:2160
	v_cvt_f16_f32_e32 v105, v31
	s_waitcnt vmcnt(18)
	v_cvt_f16_f32_e32 v106, v32
	v_pack_b32_f16 v69, v45, v46
	v_cvt_f16_f32_e32 v107, v33
	s_waitcnt vmcnt(17)
	v_cvt_f16_f32_e32 v108, v34
	v_cvt_f16_f32_e32 v109, v35
	s_waitcnt vmcnt(16)
	v_cvt_f16_f32_e32 v110, v36
	v_cvt_f16_f32_e32 v111, v37
	ds_load_b128 v[20:23], v78
	ds_load_b128 v[24:27], v78 offset:16
	ds_load_b128 v[28:31], v78 offset:32
	;; [unrolled: 1-line block ×7, first 2 shown]
	s_waitcnt vmcnt(15)
	ds_store_b32 v77, v88
	s_waitcnt vmcnt(14)
	ds_store_b32 v77, v89 offset:144
	s_waitcnt vmcnt(13)
	ds_store_b32 v77, v52 offset:288
	;; [unrolled: 2-line block ×15, first 2 shown]
	ds_load_b128 v[52:55], v78
	ds_load_b128 v[56:59], v78 offset:16
	ds_load_b128 v[60:63], v78 offset:32
	;; [unrolled: 1-line block ×7, first 2 shown]
	ds_store_b32 v77, v68
	v_pack_b32_f16 v68, v70, v71
	v_pack_b32_f16 v70, v96, v97
	v_pack_b32_f16 v71, v98, v99
	v_pack_b32_f16 v96, v100, v101
	v_pack_b32_f16 v97, v102, v103
	v_pack_b32_f16 v98, v104, v105
	v_pack_b32_f16 v99, v106, v107
	v_pack_b32_f16 v100, v108, v109
	v_pack_b32_f16 v101, v110, v111
	ds_store_b32 v77, v69 offset:144
	ds_store_b32 v77, v68 offset:288
	;; [unrolled: 1-line block ×15, first 2 shown]
	ds_load_b128 v[96:99], v78
	ds_load_b128 v[100:103], v78 offset:16
	ds_load_b128 v[104:107], v78 offset:32
	;; [unrolled: 1-line block ×5, first 2 shown]
	s_waitcnt lgkmcnt(4)
	v_wmma_f32_16x16x16_f16 v[8:15], v[20:27], v[96:103], v[8:15]
	ds_load_b128 v[20:23], v78 offset:96
	ds_load_b128 v[24:27], v78 offset:112
	v_wmma_f32_16x16x16_f16 v[0:7], v[52:59], v[96:103], v[0:7]
	s_waitcnt lgkmcnt(4)
	v_wmma_f32_16x16x16_f16 v[8:15], v[28:35], v[104:111], v[8:15]
	s_delay_alu instid0(VALU_DEP_2) | instskip(SKIP_1) | instid1(VALU_DEP_2)
	v_wmma_f32_16x16x16_f16 v[0:7], v[60:67], v[104:111], v[0:7]
	s_waitcnt lgkmcnt(2)
	v_wmma_f32_16x16x16_f16 v[8:15], v[36:43], v[112:119], v[8:15]
	s_delay_alu instid0(VALU_DEP_2) | instskip(SKIP_1) | instid1(VALU_DEP_2)
	v_wmma_f32_16x16x16_f16 v[0:7], v[80:87], v[112:119], v[0:7]
	s_waitcnt lgkmcnt(0)
	v_wmma_f32_16x16x16_f16 v[8:15], v[44:51], v[20:27], v[8:15]
	s_delay_alu instid0(VALU_DEP_2)
	v_wmma_f32_16x16x16_f16 v[0:7], v[88:95], v[20:27], v[0:7]
	s_and_not1_b32 exec_lo, exec_lo, s16
	s_cbranch_execnz .LBB44_4
; %bb.5:
	s_or_b32 exec_lo, exec_lo, s16
.LBB44_6:
	s_delay_alu instid0(SALU_CYCLE_1)
	s_or_b32 exec_lo, exec_lo, s19
	v_lshrrev_b32_e32 v16, 2, v73
	v_mad_u32_u24 v17, 0x310, v75, 0
	v_lshlrev_b32_e32 v18, 2, v74
	s_waitcnt lgkmcnt(0)
	s_barrier
	v_and_b32_e32 v16, 0xfc, v16
	buffer_gl0_inv
	s_mul_hi_i32 s1, s11, s15
	s_mul_i32 s0, s11, s15
	s_mul_i32 s2, s14, s7
	v_add3_u32 v17, v17, v16, v18
	v_lshl_add_u32 v16, v73, 2, 0
	s_lshl_b64 s[0:1], s[0:1], 2
	ds_store_2addr_b32 v17, v8, v9 offset1:2
	ds_store_2addr_b32 v17, v10, v11 offset0:4 offset1:6
	ds_store_2addr_b32 v17, v12, v13 offset0:8 offset1:10
	;; [unrolled: 1-line block ×6, first 2 shown]
	v_mad_u32_u24 v4, 0x310, v72, v16
	ds_store_2addr_b32 v17, v6, v7 offset0:28 offset1:30
	s_waitcnt lgkmcnt(0)
	s_barrier
	buffer_gl0_inv
	ds_load_2addr_b32 v[0:1], v4 offset1:32
	ds_load_2addr_b32 v[2:3], v4 offset0:64 offset1:96
	ds_load_2addr_b32 v[4:5], v4 offset0:128 offset1:160
	v_mul_lo_u32 v6, v72, s18
	s_add_u32 s4, s20, s0
	s_addc_u32 s5, s21, s1
	s_ashr_i32 s3, s2, 31
	s_delay_alu instid0(SALU_CYCLE_1)
	s_lshl_b64 s[0:1], s[2:3], 2
	s_mov_b32 s2, exec_lo
	s_add_u32 s0, s4, s0
	s_addc_u32 s1, s5, s1
	s_waitcnt lgkmcnt(2)
	v_add_f32_e32 v0, 0, v0
	s_delay_alu instid0(VALU_DEP_1) | instskip(SKIP_1) | instid1(VALU_DEP_1)
	v_dual_add_f32 v0, v0, v1 :: v_dual_mov_b32 v1, 0
	s_waitcnt lgkmcnt(1)
	v_add_f32_e32 v0, v0, v2
	s_delay_alu instid0(VALU_DEP_1) | instskip(SKIP_2) | instid1(VALU_DEP_2)
	v_add_f32_e32 v2, v0, v3
	v_add3_u32 v0, s12, v73, v6
	s_waitcnt lgkmcnt(0)
	v_add_f32_e32 v4, v2, v4
	s_delay_alu instid0(VALU_DEP_2) | instskip(NEXT) | instid1(VALU_DEP_2)
	v_lshlrev_b64 v[2:3], 2, v[0:1]
	v_add_f32_e32 v4, v4, v5
	s_delay_alu instid0(VALU_DEP_2) | instskip(NEXT) | instid1(VALU_DEP_3)
	v_add_co_u32 v2, vcc_lo, s0, v2
	v_add_co_ci_u32_e32 v3, vcc_lo, s1, v3, vcc_lo
	global_store_b32 v[2:3], v4, off
	v_cmpx_gt_u32_e32 5, v72
	s_cbranch_execz .LBB44_8
; %bb.7:
	v_mul_u32_u24_e32 v2, 0x310, v72
	s_delay_alu instid0(VALU_DEP_1) | instskip(NEXT) | instid1(VALU_DEP_1)
	v_add_nc_u32_e32 v6, v2, v16
	v_add_nc_u32_e32 v4, 0x1000, v6
	ds_load_2addr_b32 v[2:3], v4 offset0:152 offset1:184
	ds_load_2addr_b32 v[4:5], v4 offset0:216 offset1:248
	s_waitcnt lgkmcnt(1)
	v_add_f32_e32 v2, 0, v2
	s_delay_alu instid0(VALU_DEP_1) | instskip(SKIP_1) | instid1(VALU_DEP_1)
	v_add_f32_e32 v2, v2, v3
	s_waitcnt lgkmcnt(0)
	v_add_f32_e32 v4, v2, v4
	v_mad_u64_u32 v[2:3], null, s18, 6, v[0:1]
	v_dual_mov_b32 v3, v1 :: v_dual_add_nc_u32 v6, 0x1400, v6
	s_delay_alu instid0(VALU_DEP_3) | instskip(SKIP_4) | instid1(VALU_DEP_2)
	v_add_f32_e32 v0, v4, v5
	ds_load_2addr_b32 v[6:7], v6 offset0:24 offset1:56
	s_waitcnt lgkmcnt(0)
	v_add_f32_e32 v4, v0, v6
	v_lshlrev_b64 v[0:1], 2, v[2:3]
	v_add_f32_e32 v2, v4, v7
	s_delay_alu instid0(VALU_DEP_2) | instskip(NEXT) | instid1(VALU_DEP_3)
	v_add_co_u32 v0, vcc_lo, s0, v0
	v_add_co_ci_u32_e32 v1, vcc_lo, s1, v1, vcc_lo
	global_store_b32 v[0:1], v2, off
.LBB44_8:
	s_nop 0
	s_sendmsg sendmsg(MSG_DEALLOC_VGPRS)
	s_endpgm
	.section	.rodata,"a",@progbits
	.p2align	6, 0x0
	.amdhsa_kernel _ZL9mul_mat_fI7__half2Li32ELi11ELi6ELb0EEvPKT_PKfPKiPfiiiiiiiiiiiiiiii
		.amdhsa_group_segment_fixed_size 0
		.amdhsa_private_segment_fixed_size 0
		.amdhsa_kernarg_size 96
		.amdhsa_user_sgpr_count 13
		.amdhsa_user_sgpr_dispatch_ptr 0
		.amdhsa_user_sgpr_queue_ptr 0
		.amdhsa_user_sgpr_kernarg_segment_ptr 1
		.amdhsa_user_sgpr_dispatch_id 0
		.amdhsa_user_sgpr_private_segment_size 0
		.amdhsa_wavefront_size32 1
		.amdhsa_uses_dynamic_stack 0
		.amdhsa_enable_private_segment 0
		.amdhsa_system_sgpr_workgroup_id_x 1
		.amdhsa_system_sgpr_workgroup_id_y 1
		.amdhsa_system_sgpr_workgroup_id_z 1
		.amdhsa_system_sgpr_workgroup_info 0
		.amdhsa_system_vgpr_workitem_id 1
		.amdhsa_next_free_vgpr 121
		.amdhsa_next_free_sgpr 60
		.amdhsa_reserve_vcc 1
		.amdhsa_float_round_mode_32 0
		.amdhsa_float_round_mode_16_64 0
		.amdhsa_float_denorm_mode_32 3
		.amdhsa_float_denorm_mode_16_64 3
		.amdhsa_dx10_clamp 1
		.amdhsa_ieee_mode 1
		.amdhsa_fp16_overflow 0
		.amdhsa_workgroup_processor_mode 1
		.amdhsa_memory_ordered 1
		.amdhsa_forward_progress 0
		.amdhsa_shared_vgpr_count 0
		.amdhsa_exception_fp_ieee_invalid_op 0
		.amdhsa_exception_fp_denorm_src 0
		.amdhsa_exception_fp_ieee_div_zero 0
		.amdhsa_exception_fp_ieee_overflow 0
		.amdhsa_exception_fp_ieee_underflow 0
		.amdhsa_exception_fp_ieee_inexact 0
		.amdhsa_exception_int_div_zero 0
	.end_amdhsa_kernel
	.section	.text._ZL9mul_mat_fI7__half2Li32ELi11ELi6ELb0EEvPKT_PKfPKiPfiiiiiiiiiiiiiiii,"axG",@progbits,_ZL9mul_mat_fI7__half2Li32ELi11ELi6ELb0EEvPKT_PKfPKiPfiiiiiiiiiiiiiiii,comdat
.Lfunc_end44:
	.size	_ZL9mul_mat_fI7__half2Li32ELi11ELi6ELb0EEvPKT_PKfPKiPfiiiiiiiiiiiiiiii, .Lfunc_end44-_ZL9mul_mat_fI7__half2Li32ELi11ELi6ELb0EEvPKT_PKfPKiPfiiiiiiiiiiiiiiii
                                        ; -- End function
	.section	.AMDGPU.csdata,"",@progbits
; Kernel info:
; codeLenInByte = 3908
; NumSgprs: 62
; NumVgprs: 121
; ScratchSize: 0
; MemoryBound: 0
; FloatMode: 240
; IeeeMode: 1
; LDSByteSize: 0 bytes/workgroup (compile time only)
; SGPRBlocks: 7
; VGPRBlocks: 15
; NumSGPRsForWavesPerEU: 62
; NumVGPRsForWavesPerEU: 121
; Occupancy: 10
; WaveLimiterHint : 0
; COMPUTE_PGM_RSRC2:SCRATCH_EN: 0
; COMPUTE_PGM_RSRC2:USER_SGPR: 13
; COMPUTE_PGM_RSRC2:TRAP_HANDLER: 0
; COMPUTE_PGM_RSRC2:TGID_X_EN: 1
; COMPUTE_PGM_RSRC2:TGID_Y_EN: 1
; COMPUTE_PGM_RSRC2:TGID_Z_EN: 1
; COMPUTE_PGM_RSRC2:TIDIG_COMP_CNT: 1
	.section	.text._ZL13mul_mat_f_idsI7__half2Li32ELi11ELi7EEvPKT_PKfPKiS7_S7_Pfiiiiiiiiiiiiii15HIP_vector_typeIjLj3EESA_,"axG",@progbits,_ZL13mul_mat_f_idsI7__half2Li32ELi11ELi7EEvPKT_PKfPKiS7_S7_Pfiiiiiiiiiiiiii15HIP_vector_typeIjLj3EESA_,comdat
	.globl	_ZL13mul_mat_f_idsI7__half2Li32ELi11ELi7EEvPKT_PKfPKiS7_S7_Pfiiiiiiiiiiiiii15HIP_vector_typeIjLj3EESA_ ; -- Begin function _ZL13mul_mat_f_idsI7__half2Li32ELi11ELi7EEvPKT_PKfPKiS7_S7_Pfiiiiiiiiiiiiii15HIP_vector_typeIjLj3EESA_
	.p2align	8
	.type	_ZL13mul_mat_f_idsI7__half2Li32ELi11ELi7EEvPKT_PKfPKiS7_S7_Pfiiiiiiiiiiiiii15HIP_vector_typeIjLj3EESA_,@function
_ZL13mul_mat_f_idsI7__half2Li32ELi11ELi7EEvPKT_PKfPKiS7_S7_Pfiiiiiiiiiiiiii15HIP_vector_typeIjLj3EESA_: ; @_ZL13mul_mat_f_idsI7__half2Li32ELi11ELi7EEvPKT_PKfPKiS7_S7_Pfiiiiiiiiiiiiii15HIP_vector_typeIjLj3EESA_
; %bb.0:
	s_load_b64 s[4:5], s[0:1], 0x20
	s_mov_b32 s2, s15
	s_ashr_i32 s15, s14, 31
	s_delay_alu instid0(SALU_CYCLE_1)
	s_lshl_b64 s[6:7], s[14:15], 2
	s_waitcnt lgkmcnt(0)
	s_add_u32 s4, s4, s6
	s_addc_u32 s5, s5, s7
	s_load_b64 s[30:31], s[4:5], 0x0
	s_waitcnt lgkmcnt(0)
	s_sub_i32 s33, s31, s30
	s_delay_alu instid0(SALU_CYCLE_1) | instskip(NEXT) | instid1(SALU_CYCLE_1)
	s_add_i32 s3, s33, 10
	s_mul_hi_i32 s3, s3, 0x2e8ba2e9
	s_delay_alu instid0(SALU_CYCLE_1) | instskip(SKIP_1) | instid1(SALU_CYCLE_1)
	s_lshr_b32 s4, s3, 31
	s_ashr_i32 s3, s3, 1
	s_add_i32 s3, s3, s4
	s_delay_alu instid0(SALU_CYCLE_1)
	s_cmp_ge_i32 s2, s3
	s_cbranch_scc1 .LBB45_47
; %bb.1:
	s_clause 0x4
	s_load_b128 s[8:11], s[0:1], 0x30
	s_load_b64 s[24:25], s[0:1], 0x40
	s_load_b128 s[4:7], s[0:1], 0x4c
	s_load_b128 s[16:19], s[0:1], 0x68
	s_load_b64 s[26:27], s[0:1], 0x78
	v_bfe_u32 v105, v0, 10, 10
	v_and_b32_e32 v106, 0x3ff, v0
	s_ashr_i32 s31, s30, 31
	s_waitcnt lgkmcnt(0)
	s_mov_b32 s7, exec_lo
                                        ; implicit-def: $sgpr3
	v_lshlrev_b32_e32 v107, 5, v105
	v_and_b32_e32 v108, 15, v106
	s_delay_alu instid0(VALU_DEP_2) | instskip(NEXT) | instid1(VALU_DEP_1)
	v_add_nc_u32_e32 v80, v107, v106
	v_cmpx_le_i32_e64 s8, v80
	s_xor_b32 s7, exec_lo, s7
; %bb.2:
	v_and_b32_e32 v108, 15, v106
	s_mov_b32 s3, 0
                                        ; implicit-def: $vgpr80
; %bb.3:
	s_or_saveexec_b32 s36, s7
	s_clause 0x1
	s_load_b64 s[34:35], s[0:1], 0x18
	s_load_b64 s[28:29], s[0:1], 0x28
	v_dual_mov_b32 v7, s3 :: v_dual_mov_b32 v6, s3
	v_dual_mov_b32 v5, s3 :: v_dual_mov_b32 v4, s3
	v_dual_mov_b32 v3, s3 :: v_dual_mov_b32 v2, s3
	v_dual_mov_b32 v1, s3 :: v_dual_mov_b32 v0, s3
	v_dual_mov_b32 v15, s3 :: v_dual_mov_b32 v14, s3
	v_dual_mov_b32 v13, s3 :: v_dual_mov_b32 v12, s3
	v_dual_mov_b32 v11, s3 :: v_dual_mov_b32 v10, s3
	v_dual_mov_b32 v9, s3 :: v_dual_mov_b32 v8, s3
	s_lshl_b32 s7, s13, 5
	s_mul_i32 s2, s2, 11
	s_xor_b32 exec_lo, exec_lo, s36
	s_cbranch_execz .LBB45_40
; %bb.4:
	s_clause 0x1
	s_load_b128 s[20:23], s[0:1], 0x0
	s_load_b64 s[12:13], s[0:1], 0x10
	s_mul_i32 s0, s7, s11
	s_mul_i32 s14, s14, s4
	s_ashr_i32 s1, s0, 31
	s_ashr_i32 s15, s14, 31
	s_lshl_b64 s[0:1], s[0:1], 2
	s_lshl_b64 s[14:15], s[14:15], 2
	v_dual_mov_b32 v8, 0 :: v_dual_lshlrev_b32 v3, 7, v105
	s_add_u32 s0, s14, s0
	s_addc_u32 s47, s15, s1
	v_mad_u32_u24 v0, 0x900, v105, 0
	v_dual_mov_b32 v110, 0 :: v_dual_lshlrev_b32 v1, 2, v106
	v_mul_u32_u24_e32 v2, 0x90, v108
	s_mov_b32 s41, 0
	s_mul_i32 s45, s11, 3
	s_delay_alu instid0(VALU_DEP_2)
	v_dual_mov_b32 v10, v110 :: v_dual_add_nc_u32 v109, v0, v1
	s_waitcnt lgkmcnt(0)
	s_add_u32 s1, s0, s20
	s_addc_u32 s4, s47, s21
	s_lshl_b64 s[14:15], s[30:31], 2
	v_add_co_u32 v3, s0, s0, v3
	s_add_u32 s14, s12, s14
	s_addc_u32 s15, s13, s15
	s_cmp_lt_i32 s2, s33
	v_add_co_ci_u32_e64 v4, null, s47, 0, s0
	s_cselect_b32 s37, -1, 0
	s_ashr_i32 s3, s2, 31
	v_add_co_u32 v1, vcc_lo, v3, v1
	s_lshl_b64 s[12:13], s[2:3], 2
	v_add_co_ci_u32_e32 v3, vcc_lo, 0, v4, vcc_lo
	s_add_u32 s12, s14, s12
	s_addc_u32 s13, s15, s13
	s_add_i32 s3, s2, 1
	v_add_co_u32 v81, vcc_lo, s20, v1
	s_cmp_lt_i32 s3, s33
	v_add_co_ci_u32_e32 v82, vcc_lo, s21, v3, vcc_lo
	s_cselect_b32 s3, -1, 0
	s_add_i32 s14, s2, 2
	v_dual_mov_b32 v12, v110 :: v_dual_add_nc_u32 v111, v0, v2
	s_cmp_lt_i32 s14, s33
	v_dual_mov_b32 v9, v110 :: v_dual_mov_b32 v0, 0
	s_cselect_b32 s38, -1, 0
	s_add_i32 s14, s2, 3
	v_mov_b32_e32 v11, v110
	s_cmp_lt_i32 s14, s33
	v_mov_b32_e32 v13, v110
	s_cselect_b32 s39, -1, 0
	s_add_i32 s14, s2, 4
	v_mov_b32_e32 v14, v110
	s_cmp_lt_i32 s14, s33
	v_mov_b32_e32 v15, v110
	;; [unrolled: 5-line block ×5, first 2 shown]
	s_cselect_b32 s44, -1, 0
	s_add_i32 s15, s2, 8
	v_mov_b32_e32 v7, v110
	s_cmp_lt_i32 s15, s33
	s_mov_b32 s14, s11
	s_cselect_b32 s46, -1, 0
	s_add_i32 s15, s2, 9
	s_mul_i32 s49, s11, 5
	s_cmp_lt_i32 s15, s33
	s_mul_i32 s50, s11, 6
	s_cselect_b32 s47, -1, 0
	s_add_i32 s0, s2, 10
	s_mul_i32 s51, s11, 7
	s_cmp_lt_i32 s0, s33
	s_mul_i32 s53, s11, 9
	s_cselect_b32 s20, -1, 0
	s_ashr_i32 s15, s11, 31
	s_lshl_b32 s21, s11, 1
	s_lshl_b32 s48, s11, 2
	s_lshl_b64 s[14:15], s[14:15], 2
	s_lshl_b32 s52, s11, 3
	s_mul_i32 s54, s11, 10
	s_mul_i32 s55, s11, 11
	;; [unrolled: 1-line block ×6, first 2 shown]
	s_lshl_b32 s60, s11, 4
	s_mul_i32 s61, s11, 17
	s_mul_i32 s62, s11, 18
	;; [unrolled: 1-line block ×15, first 2 shown]
	s_branch .LBB45_6
.LBB45_5:                               ;   in Loop: Header=BB45_6 Depth=1
	s_waitcnt vmcnt(0)
	v_cvt_f16_f32_e32 v83, v83
	v_cvt_f16_f32_e32 v84, v84
	;; [unrolled: 1-line block ×8, first 2 shown]
	v_pack_b32_f16 v83, v83, v84
	v_pack_b32_f16 v84, v87, v88
	v_cvt_f16_f32_e32 v87, v89
	v_cvt_f16_f32_e32 v88, v90
	v_pack_b32_f16 v85, v85, v86
	v_pack_b32_f16 v86, v91, v92
	v_cvt_f16_f32_e32 v89, v95
	v_cvt_f16_f32_e32 v90, v96
	;; [unrolled: 1-line block ×4, first 2 shown]
	ds_store_2addr_b32 v109, v83, v84 offset1:36
	ds_store_2addr_b32 v109, v85, v86 offset0:72 offset1:108
	v_pack_b32_f16 v83, v87, v88
	v_cvt_f16_f32_e32 v86, v99
	v_cvt_f16_f32_e32 v87, v100
	v_pack_b32_f16 v84, v89, v90
	v_pack_b32_f16 v85, v91, v92
	v_cvt_f16_f32_e32 v88, v97
	v_cvt_f16_f32_e32 v89, v98
	;; [unrolled: 1-line block ×6, first 2 shown]
	v_pack_b32_f16 v86, v86, v87
	v_pack_b32_f16 v87, v88, v89
	;; [unrolled: 1-line block ×3, first 2 shown]
	v_add_nc_u32_e32 v89, 0x400, v109
	v_pack_b32_f16 v90, v92, v93
	ds_store_2addr_b32 v109, v83, v84 offset0:144 offset1:180
	v_add_nc_u32_e32 v83, 0x600, v109
	ds_store_2addr_b32 v109, v85, v86 offset0:216 offset1:252
	ds_store_2addr_b32 v89, v87, v88 offset0:32 offset1:68
	;; [unrolled: 1-line block ×5, first 2 shown]
	ds_load_b128 v[83:86], v111
	ds_load_b128 v[87:90], v111 offset:16
	ds_load_b128 v[91:94], v111 offset:32
	;; [unrolled: 1-line block ×5, first 2 shown]
	v_add_nc_u32_e32 v80, 0xe0, v80
	v_add_co_u32 v81, s0, 0x380, v81
	s_delay_alu instid0(VALU_DEP_1) | instskip(NEXT) | instid1(VALU_DEP_3)
	v_add_co_ci_u32_e64 v82, s0, 0, v82, s0
	v_cmp_le_i32_e32 vcc_lo, s8, v80
	s_or_b32 s41, vcc_lo, s41
	s_waitcnt lgkmcnt(4)
	v_wmma_f32_16x16x16_f16 v[8:15], v[48:55], v[83:90], v[8:15]
	ds_load_b128 v[48:51], v111 offset:96
	ds_load_b128 v[52:55], v111 offset:112
	v_wmma_f32_16x16x16_f16 v[0:7], v[72:79], v[83:90], v[0:7]
	s_waitcnt lgkmcnt(4)
	v_wmma_f32_16x16x16_f16 v[8:15], v[32:39], v[91:98], v[8:15]
	s_delay_alu instid0(VALU_DEP_2) | instskip(SKIP_1) | instid1(VALU_DEP_2)
	v_wmma_f32_16x16x16_f16 v[0:7], v[64:71], v[91:98], v[0:7]
	s_waitcnt lgkmcnt(2)
	v_wmma_f32_16x16x16_f16 v[8:15], v[24:31], v[112:119], v[8:15]
	s_delay_alu instid0(VALU_DEP_2) | instskip(SKIP_1) | instid1(VALU_DEP_2)
	v_wmma_f32_16x16x16_f16 v[0:7], v[56:63], v[112:119], v[0:7]
	s_waitcnt lgkmcnt(0)
	v_wmma_f32_16x16x16_f16 v[8:15], v[16:23], v[48:55], v[8:15]
	s_delay_alu instid0(VALU_DEP_2)
	v_wmma_f32_16x16x16_f16 v[0:7], v[40:47], v[48:55], v[0:7]
	s_and_not1_b32 exec_lo, exec_lo, s41
	s_cbranch_execz .LBB45_39
.LBB45_6:                               ; =>This Inner Loop Header: Depth=1
	v_dual_mov_b32 v83, 0 :: v_dual_add_nc_u32 v16, s21, v80
	v_add_nc_u32_e32 v22, s48, v80
	v_add_nc_u32_e32 v18, s45, v80
	v_add_co_u32 v20, vcc_lo, v81, s14
	s_delay_alu instid0(VALU_DEP_4)
	v_ashrrev_i32_e32 v17, 31, v16
	v_add_co_ci_u32_e32 v21, vcc_lo, s15, v82, vcc_lo
	v_ashrrev_i32_e32 v23, 31, v22
	v_ashrrev_i32_e32 v19, 31, v18
	v_add_nc_u32_e32 v24, s49, v80
	v_lshlrev_b64 v[16:17], 2, v[16:17]
	s_clause 0x1
	global_load_b32 v38, v[81:82], off
	global_load_b32 v39, v[20:21], off
	v_lshlrev_b64 v[20:21], 2, v[22:23]
	v_add_nc_u32_e32 v22, s50, v80
	v_lshlrev_b64 v[18:19], 2, v[18:19]
	v_ashrrev_i32_e32 v25, 31, v24
	v_add_nc_u32_e32 v26, s51, v80
	v_add_co_u32 v16, vcc_lo, s1, v16
	v_ashrrev_i32_e32 v23, 31, v22
	v_add_co_ci_u32_e32 v17, vcc_lo, s4, v17, vcc_lo
	v_add_nc_u32_e32 v28, s52, v80
	v_add_co_u32 v18, vcc_lo, s1, v18
	v_lshlrev_b64 v[24:25], 2, v[24:25]
	v_ashrrev_i32_e32 v27, 31, v26
	v_add_co_ci_u32_e32 v19, vcc_lo, s4, v19, vcc_lo
	v_add_nc_u32_e32 v30, s53, v80
	v_add_co_u32 v20, vcc_lo, s1, v20
	v_lshlrev_b64 v[22:23], 2, v[22:23]
	v_ashrrev_i32_e32 v29, 31, v28
	v_add_co_ci_u32_e32 v21, vcc_lo, s4, v21, vcc_lo
	v_add_co_u32 v24, vcc_lo, s1, v24
	v_lshlrev_b64 v[26:27], 2, v[26:27]
	v_ashrrev_i32_e32 v31, 31, v30
	v_add_co_ci_u32_e32 v25, vcc_lo, s4, v25, vcc_lo
	v_add_co_u32 v22, vcc_lo, s1, v22
	v_lshlrev_b64 v[28:29], 2, v[28:29]
	v_add_co_ci_u32_e32 v23, vcc_lo, s4, v23, vcc_lo
	v_add_nc_u32_e32 v32, s54, v80
	v_add_co_u32 v26, vcc_lo, s1, v26
	v_lshlrev_b64 v[30:31], 2, v[30:31]
	v_add_co_ci_u32_e32 v27, vcc_lo, s4, v27, vcc_lo
	v_add_nc_u32_e32 v34, s55, v80
	v_add_co_u32 v28, vcc_lo, s1, v28
	v_ashrrev_i32_e32 v33, 31, v32
	v_add_co_ci_u32_e32 v29, vcc_lo, s4, v29, vcc_lo
	v_add_nc_u32_e32 v36, s56, v80
	v_add_co_u32 v30, vcc_lo, s1, v30
	v_ashrrev_i32_e32 v35, 31, v34
	v_add_co_ci_u32_e32 v31, vcc_lo, s4, v31, vcc_lo
	s_clause 0x7
	global_load_b32 v40, v[16:17], off
	global_load_b32 v41, v[18:19], off
	global_load_b32 v42, v[20:21], off
	global_load_b32 v43, v[24:25], off
	global_load_b32 v44, v[22:23], off
	global_load_b32 v45, v[26:27], off
	global_load_b32 v46, v[28:29], off
	global_load_b32 v47, v[30:31], off
	v_add_nc_u32_e32 v18, s57, v80
	v_lshlrev_b64 v[32:33], 2, v[32:33]
	v_ashrrev_i32_e32 v37, 31, v36
	v_add_nc_u32_e32 v24, s58, v80
	v_lshlrev_b64 v[16:17], 2, v[34:35]
	v_ashrrev_i32_e32 v19, 31, v18
	v_add_nc_u32_e32 v26, s59, v80
	v_add_co_u32 v20, vcc_lo, s1, v32
	v_lshlrev_b64 v[22:23], 2, v[36:37]
	v_ashrrev_i32_e32 v25, 31, v24
	v_add_co_ci_u32_e32 v21, vcc_lo, s4, v33, vcc_lo
	v_add_nc_u32_e32 v28, s60, v80
	v_add_co_u32 v16, vcc_lo, s1, v16
	v_lshlrev_b64 v[18:19], 2, v[18:19]
	v_ashrrev_i32_e32 v27, 31, v26
	v_add_co_ci_u32_e32 v17, vcc_lo, s4, v17, vcc_lo
	v_add_nc_u32_e32 v30, s61, v80
	v_add_co_u32 v22, vcc_lo, s1, v22
	v_lshlrev_b64 v[24:25], 2, v[24:25]
	v_ashrrev_i32_e32 v29, 31, v28
	v_add_co_ci_u32_e32 v23, vcc_lo, s4, v23, vcc_lo
	v_add_co_u32 v18, vcc_lo, s1, v18
	v_lshlrev_b64 v[26:27], 2, v[26:27]
	v_ashrrev_i32_e32 v31, 31, v30
	v_add_co_ci_u32_e32 v19, vcc_lo, s4, v19, vcc_lo
	v_add_co_u32 v24, vcc_lo, s1, v24
	v_lshlrev_b64 v[28:29], 2, v[28:29]
	v_add_co_ci_u32_e32 v25, vcc_lo, s4, v25, vcc_lo
	v_add_nc_u32_e32 v32, s62, v80
	v_add_co_u32 v26, vcc_lo, s1, v26
	v_lshlrev_b64 v[30:31], 2, v[30:31]
	v_add_co_ci_u32_e32 v27, vcc_lo, s4, v27, vcc_lo
	v_add_nc_u32_e32 v34, s63, v80
	v_add_co_u32 v28, vcc_lo, s1, v28
	v_ashrrev_i32_e32 v33, 31, v32
	v_add_co_ci_u32_e32 v29, vcc_lo, s4, v29, vcc_lo
	v_add_nc_u32_e32 v36, s64, v80
	v_add_co_u32 v30, vcc_lo, s1, v30
	v_ashrrev_i32_e32 v35, 31, v34
	v_add_co_ci_u32_e32 v31, vcc_lo, s4, v31, vcc_lo
	s_clause 0x7
	global_load_b32 v48, v[20:21], off
	global_load_b32 v49, v[16:17], off
	global_load_b32 v50, v[22:23], off
	global_load_b32 v51, v[18:19], off
	global_load_b32 v52, v[24:25], off
	global_load_b32 v53, v[26:27], off
	global_load_b32 v56, v[28:29], off
	global_load_b32 v57, v[30:31], off
	v_add_nc_u32_e32 v18, s65, v80
	v_lshlrev_b64 v[32:33], 2, v[32:33]
	v_ashrrev_i32_e32 v37, 31, v36
	v_add_nc_u32_e32 v24, s66, v80
	v_lshlrev_b64 v[16:17], 2, v[34:35]
	v_ashrrev_i32_e32 v19, 31, v18
	v_add_nc_u32_e32 v26, s67, v80
	v_add_co_u32 v20, vcc_lo, s1, v32
	v_lshlrev_b64 v[22:23], 2, v[36:37]
	;; [unrolled: 49-line block ×3, first 2 shown]
	v_ashrrev_i32_e32 v25, 31, v24
	v_add_co_ci_u32_e32 v21, vcc_lo, s4, v33, vcc_lo
	v_add_co_u32 v16, vcc_lo, s1, v16
	v_lshlrev_b64 v[18:19], 2, v[18:19]
	v_ashrrev_i32_e32 v27, 31, v26
	v_add_co_ci_u32_e32 v17, vcc_lo, s4, v17, vcc_lo
	v_add_co_u32 v22, vcc_lo, s1, v22
	v_lshlrev_b64 v[24:25], 2, v[24:25]
	v_add_co_ci_u32_e32 v23, vcc_lo, s4, v23, vcc_lo
	v_add_co_u32 v18, vcc_lo, s1, v18
	v_lshlrev_b64 v[26:27], 2, v[26:27]
	v_add_co_ci_u32_e32 v19, vcc_lo, s4, v19, vcc_lo
	v_add_co_u32 v24, vcc_lo, s1, v24
	v_add_co_ci_u32_e32 v25, vcc_lo, s4, v25, vcc_lo
	s_delay_alu instid0(VALU_DEP_4)
	v_add_co_u32 v26, vcc_lo, s1, v26
	v_add_co_ci_u32_e32 v27, vcc_lo, s4, v27, vcc_lo
	s_clause 0x5
	global_load_b32 v66, v[20:21], off
	global_load_b32 v67, v[16:17], off
	;; [unrolled: 1-line block ×6, first 2 shown]
	v_mov_b32_e32 v84, 0
	s_and_not1_b32 vcc_lo, exec_lo, s37
	s_waitcnt vmcnt(31)
	ds_store_b32 v109, v38
	s_waitcnt vmcnt(30)
	ds_store_b32 v109, v39 offset:144
	s_waitcnt vmcnt(29)
	ds_store_b32 v109, v40 offset:288
	;; [unrolled: 2-line block ×15, first 2 shown]
	ds_load_b128 v[48:51], v111
	ds_load_b128 v[52:55], v111 offset:16
	ds_load_b128 v[32:35], v111 offset:32
	;; [unrolled: 1-line block ×7, first 2 shown]
	s_waitcnt vmcnt(15)
	ds_store_b32 v109, v56
	s_waitcnt vmcnt(14)
	ds_store_b32 v109, v57 offset:144
	s_waitcnt vmcnt(13)
	ds_store_b32 v109, v58 offset:288
	s_waitcnt vmcnt(12)
	ds_store_b32 v109, v59 offset:432
	s_waitcnt vmcnt(11)
	ds_store_b32 v109, v60 offset:576
	s_waitcnt vmcnt(10)
	ds_store_b32 v109, v61 offset:720
	s_waitcnt vmcnt(9)
	ds_store_b32 v109, v62 offset:864
	s_waitcnt vmcnt(8)
	ds_store_b32 v109, v63 offset:1008
	s_waitcnt vmcnt(7)
	ds_store_b32 v109, v64 offset:1152
	s_waitcnt vmcnt(6)
	ds_store_b32 v109, v65 offset:1296
	s_waitcnt vmcnt(5)
	ds_store_b32 v109, v66 offset:1440
	s_waitcnt vmcnt(4)
	ds_store_b32 v109, v67 offset:1584
	s_waitcnt vmcnt(3)
	ds_store_b32 v109, v68 offset:1728
	s_waitcnt vmcnt(2)
	ds_store_b32 v109, v69 offset:1872
	s_waitcnt vmcnt(1)
	ds_store_b32 v109, v70 offset:2016
	s_waitcnt vmcnt(0)
	ds_store_b32 v109, v71 offset:2160
	ds_load_b128 v[72:75], v111
	ds_load_b128 v[76:79], v111 offset:16
	ds_load_b128 v[64:67], v111 offset:32
	;; [unrolled: 1-line block ×7, first 2 shown]
	s_cbranch_vccnz .LBB45_9
; %bb.7:                                ;   in Loop: Header=BB45_6 Depth=1
	s_load_b32 s0, s[12:13], 0x0
	v_dual_mov_b32 v84, 0 :: v_dual_mov_b32 v83, 0
	s_waitcnt lgkmcnt(0)
	s_mul_hi_u32 s75, s0, s16
	s_delay_alu instid0(SALU_CYCLE_1) | instskip(NEXT) | instid1(SALU_CYCLE_1)
	s_add_i32 s75, s0, s75
	s_lshr_b32 s75, s75, s17
	s_delay_alu instid0(SALU_CYCLE_1)
	s_cmp_ge_i32 s75, s9
	s_cbranch_scc1 .LBB45_9
; %bb.8:                                ;   in Loop: Header=BB45_6 Depth=1
	v_mad_u64_u32 v[83:84], null, s75, s24, v[80:81]
	s_mul_i32 s75, s75, s18
	s_delay_alu instid0(SALU_CYCLE_1) | instskip(NEXT) | instid1(SALU_CYCLE_1)
	s_sub_i32 s0, s0, s75
	s_mul_i32 s0, s0, s5
	s_delay_alu instid0(VALU_DEP_1) | instid1(SALU_CYCLE_1)
	v_lshl_add_u32 v83, v83, 1, s0
	s_delay_alu instid0(VALU_DEP_1) | instskip(NEXT) | instid1(VALU_DEP_1)
	v_ashrrev_i32_e32 v84, 31, v83
	v_lshlrev_b64 v[83:84], 2, v[83:84]
	s_delay_alu instid0(VALU_DEP_1) | instskip(NEXT) | instid1(VALU_DEP_2)
	v_add_co_u32 v83, vcc_lo, s22, v83
	v_add_co_ci_u32_e32 v84, vcc_lo, s23, v84, vcc_lo
	global_load_b64 v[83:84], v[83:84], off
.LBB45_9:                               ;   in Loop: Header=BB45_6 Depth=1
	v_dual_mov_b32 v85, 0 :: v_dual_mov_b32 v88, 0
	v_mov_b32_e32 v87, 0
	s_and_not1_b32 vcc_lo, exec_lo, s3
	s_cbranch_vccnz .LBB45_12
; %bb.10:                               ;   in Loop: Header=BB45_6 Depth=1
	s_load_b32 s0, s[12:13], 0x4
	v_dual_mov_b32 v88, 0 :: v_dual_mov_b32 v87, 0
	s_waitcnt lgkmcnt(0)
	s_mul_hi_u32 s75, s0, s16
	s_delay_alu instid0(SALU_CYCLE_1) | instskip(NEXT) | instid1(SALU_CYCLE_1)
	s_add_i32 s75, s0, s75
	s_lshr_b32 s75, s75, s17
	s_delay_alu instid0(SALU_CYCLE_1)
	s_cmp_ge_i32 s75, s9
	s_cbranch_scc1 .LBB45_12
; %bb.11:                               ;   in Loop: Header=BB45_6 Depth=1
	v_mad_u64_u32 v[86:87], null, s75, s24, v[80:81]
	s_mul_i32 s75, s75, s18
	s_delay_alu instid0(SALU_CYCLE_1) | instskip(NEXT) | instid1(SALU_CYCLE_1)
	s_sub_i32 s0, s0, s75
	s_mul_i32 s0, s0, s5
	s_delay_alu instid0(VALU_DEP_1) | instid1(SALU_CYCLE_1)
	v_lshl_add_u32 v86, v86, 1, s0
	s_delay_alu instid0(VALU_DEP_1) | instskip(NEXT) | instid1(VALU_DEP_1)
	v_ashrrev_i32_e32 v87, 31, v86
	v_lshlrev_b64 v[86:87], 2, v[86:87]
	s_delay_alu instid0(VALU_DEP_1) | instskip(NEXT) | instid1(VALU_DEP_2)
	v_add_co_u32 v86, vcc_lo, s22, v86
	v_add_co_ci_u32_e32 v87, vcc_lo, s23, v87, vcc_lo
	global_load_b64 v[87:88], v[86:87], off
.LBB45_12:                              ;   in Loop: Header=BB45_6 Depth=1
	v_mov_b32_e32 v86, 0
	s_and_not1_b32 vcc_lo, exec_lo, s38
	s_cbranch_vccnz .LBB45_15
; %bb.13:                               ;   in Loop: Header=BB45_6 Depth=1
	s_load_b32 s0, s[12:13], 0x8
	v_dual_mov_b32 v86, 0 :: v_dual_mov_b32 v85, 0
	s_waitcnt lgkmcnt(0)
	s_mul_hi_u32 s75, s0, s16
	s_delay_alu instid0(SALU_CYCLE_1) | instskip(NEXT) | instid1(SALU_CYCLE_1)
	s_add_i32 s75, s0, s75
	s_lshr_b32 s75, s75, s17
	s_delay_alu instid0(SALU_CYCLE_1)
	s_cmp_ge_i32 s75, s9
	s_cbranch_scc1 .LBB45_15
; %bb.14:                               ;   in Loop: Header=BB45_6 Depth=1
	v_mad_u64_u32 v[85:86], null, s75, s24, v[80:81]
	s_mul_i32 s75, s75, s18
	s_delay_alu instid0(SALU_CYCLE_1) | instskip(NEXT) | instid1(SALU_CYCLE_1)
	s_sub_i32 s0, s0, s75
	s_mul_i32 s0, s0, s5
	s_delay_alu instid0(VALU_DEP_1) | instid1(SALU_CYCLE_1)
	v_lshl_add_u32 v85, v85, 1, s0
	s_delay_alu instid0(VALU_DEP_1) | instskip(NEXT) | instid1(VALU_DEP_1)
	v_ashrrev_i32_e32 v86, 31, v85
	v_lshlrev_b64 v[85:86], 2, v[85:86]
	s_delay_alu instid0(VALU_DEP_1) | instskip(NEXT) | instid1(VALU_DEP_2)
	v_add_co_u32 v85, vcc_lo, s22, v85
	v_add_co_ci_u32_e32 v86, vcc_lo, s23, v86, vcc_lo
	global_load_b64 v[85:86], v[85:86], off
.LBB45_15:                              ;   in Loop: Header=BB45_6 Depth=1
	v_dual_mov_b32 v89, 0 :: v_dual_mov_b32 v92, 0
	v_mov_b32_e32 v91, 0
	s_and_not1_b32 vcc_lo, exec_lo, s39
	s_cbranch_vccnz .LBB45_18
; %bb.16:                               ;   in Loop: Header=BB45_6 Depth=1
	s_load_b32 s0, s[12:13], 0xc
	v_dual_mov_b32 v92, 0 :: v_dual_mov_b32 v91, 0
	s_waitcnt lgkmcnt(0)
	s_mul_hi_u32 s75, s0, s16
	s_delay_alu instid0(SALU_CYCLE_1) | instskip(NEXT) | instid1(SALU_CYCLE_1)
	s_add_i32 s75, s0, s75
	s_lshr_b32 s75, s75, s17
	s_delay_alu instid0(SALU_CYCLE_1)
	s_cmp_ge_i32 s75, s9
	s_cbranch_scc1 .LBB45_18
; %bb.17:                               ;   in Loop: Header=BB45_6 Depth=1
	v_mad_u64_u32 v[90:91], null, s75, s24, v[80:81]
	s_mul_i32 s75, s75, s18
	s_delay_alu instid0(SALU_CYCLE_1) | instskip(NEXT) | instid1(SALU_CYCLE_1)
	s_sub_i32 s0, s0, s75
	s_mul_i32 s0, s0, s5
	s_delay_alu instid0(VALU_DEP_1) | instid1(SALU_CYCLE_1)
	v_lshl_add_u32 v90, v90, 1, s0
	s_delay_alu instid0(VALU_DEP_1) | instskip(NEXT) | instid1(VALU_DEP_1)
	v_ashrrev_i32_e32 v91, 31, v90
	v_lshlrev_b64 v[90:91], 2, v[90:91]
	s_delay_alu instid0(VALU_DEP_1) | instskip(NEXT) | instid1(VALU_DEP_2)
	v_add_co_u32 v90, vcc_lo, s22, v90
	v_add_co_ci_u32_e32 v91, vcc_lo, s23, v91, vcc_lo
	global_load_b64 v[91:92], v[90:91], off
.LBB45_18:                              ;   in Loop: Header=BB45_6 Depth=1
	v_mov_b32_e32 v90, 0
	s_and_not1_b32 vcc_lo, exec_lo, s40
	s_cbranch_vccnz .LBB45_21
; %bb.19:                               ;   in Loop: Header=BB45_6 Depth=1
	s_load_b32 s0, s[12:13], 0x10
	v_dual_mov_b32 v90, 0 :: v_dual_mov_b32 v89, 0
	s_waitcnt lgkmcnt(0)
	s_mul_hi_u32 s75, s0, s16
	s_delay_alu instid0(SALU_CYCLE_1) | instskip(NEXT) | instid1(SALU_CYCLE_1)
	s_add_i32 s75, s0, s75
	s_lshr_b32 s75, s75, s17
	s_delay_alu instid0(SALU_CYCLE_1)
	s_cmp_ge_i32 s75, s9
	s_cbranch_scc1 .LBB45_21
; %bb.20:                               ;   in Loop: Header=BB45_6 Depth=1
	v_mad_u64_u32 v[89:90], null, s75, s24, v[80:81]
	s_mul_i32 s75, s75, s18
	s_delay_alu instid0(SALU_CYCLE_1) | instskip(NEXT) | instid1(SALU_CYCLE_1)
	s_sub_i32 s0, s0, s75
	s_mul_i32 s0, s0, s5
	s_delay_alu instid0(VALU_DEP_1) | instid1(SALU_CYCLE_1)
	v_lshl_add_u32 v89, v89, 1, s0
	s_delay_alu instid0(VALU_DEP_1) | instskip(NEXT) | instid1(VALU_DEP_1)
	v_ashrrev_i32_e32 v90, 31, v89
	v_lshlrev_b64 v[89:90], 2, v[89:90]
	s_delay_alu instid0(VALU_DEP_1) | instskip(NEXT) | instid1(VALU_DEP_2)
	v_add_co_u32 v89, vcc_lo, s22, v89
	v_add_co_ci_u32_e32 v90, vcc_lo, s23, v90, vcc_lo
	global_load_b64 v[89:90], v[89:90], off
.LBB45_21:                              ;   in Loop: Header=BB45_6 Depth=1
	;; [unrolled: 61-line block ×4, first 2 shown]
	v_dual_mov_b32 v101, 0 :: v_dual_mov_b32 v104, 0
	v_mov_b32_e32 v103, 0
	s_and_not1_b32 vcc_lo, exec_lo, s47
	s_cbranch_vccnz .LBB45_36
; %bb.34:                               ;   in Loop: Header=BB45_6 Depth=1
	s_load_b32 s0, s[12:13], 0x24
	v_dual_mov_b32 v104, 0 :: v_dual_mov_b32 v103, 0
	s_waitcnt lgkmcnt(0)
	s_mul_hi_u32 s75, s0, s16
	s_delay_alu instid0(SALU_CYCLE_1) | instskip(NEXT) | instid1(SALU_CYCLE_1)
	s_add_i32 s75, s0, s75
	s_lshr_b32 s75, s75, s17
	s_delay_alu instid0(SALU_CYCLE_1)
	s_cmp_ge_i32 s75, s9
	s_cbranch_scc1 .LBB45_36
; %bb.35:                               ;   in Loop: Header=BB45_6 Depth=1
	v_mad_u64_u32 v[102:103], null, s75, s24, v[80:81]
	s_mul_i32 s75, s75, s18
	s_delay_alu instid0(SALU_CYCLE_1) | instskip(NEXT) | instid1(SALU_CYCLE_1)
	s_sub_i32 s0, s0, s75
	s_mul_i32 s0, s0, s5
	s_delay_alu instid0(VALU_DEP_1) | instid1(SALU_CYCLE_1)
	v_lshl_add_u32 v102, v102, 1, s0
	s_delay_alu instid0(VALU_DEP_1) | instskip(NEXT) | instid1(VALU_DEP_1)
	v_ashrrev_i32_e32 v103, 31, v102
	v_lshlrev_b64 v[102:103], 2, v[102:103]
	s_delay_alu instid0(VALU_DEP_1) | instskip(NEXT) | instid1(VALU_DEP_2)
	v_add_co_u32 v102, vcc_lo, s22, v102
	v_add_co_ci_u32_e32 v103, vcc_lo, s23, v103, vcc_lo
	global_load_b64 v[103:104], v[102:103], off
.LBB45_36:                              ;   in Loop: Header=BB45_6 Depth=1
	v_mov_b32_e32 v102, 0
	s_and_not1_b32 vcc_lo, exec_lo, s20
	s_cbranch_vccnz .LBB45_5
; %bb.37:                               ;   in Loop: Header=BB45_6 Depth=1
	s_load_b32 s0, s[12:13], 0x28
	v_dual_mov_b32 v102, 0 :: v_dual_mov_b32 v101, 0
	s_waitcnt lgkmcnt(0)
	s_mul_hi_u32 s75, s0, s16
	s_delay_alu instid0(SALU_CYCLE_1) | instskip(NEXT) | instid1(SALU_CYCLE_1)
	s_add_i32 s75, s0, s75
	s_lshr_b32 s75, s75, s17
	s_delay_alu instid0(SALU_CYCLE_1)
	s_cmp_ge_i32 s75, s9
	s_cbranch_scc1 .LBB45_5
; %bb.38:                               ;   in Loop: Header=BB45_6 Depth=1
	v_mad_u64_u32 v[101:102], null, s75, s24, v[80:81]
	s_mul_i32 s75, s75, s18
	s_delay_alu instid0(SALU_CYCLE_1) | instskip(NEXT) | instid1(SALU_CYCLE_1)
	s_sub_i32 s0, s0, s75
	s_mul_i32 s0, s0, s5
	s_delay_alu instid0(VALU_DEP_1) | instid1(SALU_CYCLE_1)
	v_lshl_add_u32 v101, v101, 1, s0
	s_delay_alu instid0(VALU_DEP_1) | instskip(NEXT) | instid1(VALU_DEP_1)
	v_ashrrev_i32_e32 v102, 31, v101
	v_lshlrev_b64 v[101:102], 2, v[101:102]
	s_delay_alu instid0(VALU_DEP_1) | instskip(NEXT) | instid1(VALU_DEP_2)
	v_add_co_u32 v101, vcc_lo, s22, v101
	v_add_co_ci_u32_e32 v102, vcc_lo, s23, v102, vcc_lo
	global_load_b64 v[101:102], v[101:102], off
	s_branch .LBB45_5
.LBB45_39:
	s_or_b32 exec_lo, exec_lo, s41
.LBB45_40:
	s_delay_alu instid0(SALU_CYCLE_1)
	s_or_b32 exec_lo, exec_lo, s36
	v_lshrrev_b32_e32 v16, 2, v106
	v_mad_u32_u24 v17, 0x390, v108, 0
	v_lshlrev_b32_e32 v18, 2, v107
	s_waitcnt lgkmcnt(0)
	s_barrier
	v_and_b32_e32 v16, 0xfc, v16
	buffer_gl0_inv
	s_lshl_b64 s[4:5], s[30:31], 2
	v_cmp_gt_u32_e64 s0, 11, v105
	s_add_u32 s1, s34, s4
	v_add3_u32 v16, v17, v16, v18
	s_addc_u32 s3, s35, s5
	s_cmp_gt_i32 s10, 0
	ds_store_2addr_b32 v16, v8, v9 offset1:2
	ds_store_2addr_b32 v16, v10, v11 offset0:4 offset1:6
	ds_store_2addr_b32 v16, v12, v13 offset0:8 offset1:10
	;; [unrolled: 1-line block ×6, first 2 shown]
	v_add_nc_u32_e32 v0, s2, v105
	s_cselect_b32 s4, -1, 0
	v_lshl_add_u32 v3, v106, 2, 0
	v_add_nc_u32_e32 v2, s7, v106
	v_mul_u32_u24_e32 v4, 0x390, v105
	v_cmp_gt_i32_e32 vcc_lo, s33, v0
	ds_store_2addr_b32 v16, v6, v7 offset0:28 offset1:30
	s_waitcnt lgkmcnt(0)
	s_barrier
	buffer_gl0_inv
	s_and_b32 s5, s4, vcc_lo
	s_delay_alu instid0(SALU_CYCLE_1) | instskip(NEXT) | instid1(SALU_CYCLE_1)
	s_and_b32 s5, s0, s5
	s_and_saveexec_b32 s0, s5
	s_cbranch_execz .LBB45_43
; %bb.41:
	v_ashrrev_i32_e32 v1, 31, v0
	s_delay_alu instid0(VALU_DEP_1) | instskip(NEXT) | instid1(VALU_DEP_1)
	v_lshlrev_b64 v[5:6], 2, v[0:1]
	v_add_co_u32 v5, vcc_lo, s1, v5
	s_delay_alu instid0(VALU_DEP_2) | instskip(SKIP_3) | instid1(VALU_DEP_1)
	v_add_co_ci_u32_e32 v6, vcc_lo, s3, v6, vcc_lo
	global_load_b32 v5, v[5:6], off
	s_waitcnt vmcnt(0)
	v_mul_hi_u32 v1, v5, s19
	v_add_nc_u32_e32 v1, v5, v1
	s_delay_alu instid0(VALU_DEP_1) | instskip(NEXT) | instid1(VALU_DEP_1)
	v_lshrrev_b32_e32 v1, s26, v1
	v_cmp_gt_i32_e32 vcc_lo, s9, v1
	s_and_b32 exec_lo, exec_lo, vcc_lo
	s_cbranch_execz .LBB45_43
; %bb.42:
	v_add_nc_u32_e32 v12, v3, v4
	v_mul_lo_u32 v13, v1, s27
	v_mul_lo_u32 v1, v1, s25
	ds_load_2addr_b32 v[6:7], v12 offset1:32
	ds_load_2addr_b32 v[8:9], v12 offset0:64 offset1:96
	ds_load_2addr_b32 v[10:11], v12 offset0:128 offset1:160
	v_sub_nc_u32_e32 v5, v5, v13
	s_delay_alu instid0(VALU_DEP_1) | instskip(NEXT) | instid1(VALU_DEP_1)
	v_mul_lo_u32 v5, v5, s6
	v_add3_u32 v5, v2, v1, v5
	s_waitcnt lgkmcnt(2)
	v_add_f32_e32 v6, 0, v6
	s_delay_alu instid0(VALU_DEP_1) | instskip(SKIP_1) | instid1(VALU_DEP_1)
	v_add_f32_e32 v6, v6, v7
	s_waitcnt lgkmcnt(1)
	v_add_f32_e32 v6, v6, v8
	s_delay_alu instid0(VALU_DEP_1) | instskip(SKIP_2) | instid1(VALU_DEP_2)
	v_add_f32_e32 v8, v6, v9
	v_mov_b32_e32 v6, 0
	s_waitcnt lgkmcnt(0)
	v_add_f32_e32 v8, v8, v10
	s_delay_alu instid0(VALU_DEP_2) | instskip(NEXT) | instid1(VALU_DEP_2)
	v_lshlrev_b64 v[5:6], 2, v[5:6]
	v_add_f32_e32 v1, v8, v11
	ds_load_b32 v7, v12 offset:768
	v_add_co_u32 v5, vcc_lo, s28, v5
	v_add_co_ci_u32_e32 v6, vcc_lo, s29, v6, vcc_lo
	s_waitcnt lgkmcnt(0)
	v_add_f32_e32 v1, v1, v7
	global_store_b32 v[5:6], v1, off
.LBB45_43:
	s_or_b32 exec_lo, exec_lo, s0
	s_delay_alu instid0(SALU_CYCLE_1)
	s_mov_b32 s0, exec_lo
	v_cmpx_gt_u32_e32 4, v105
	s_cbranch_execz .LBB45_47
; %bb.44:
	v_add_nc_u32_e32 v0, 7, v0
	s_delay_alu instid0(VALU_DEP_1) | instskip(SKIP_1) | instid1(SALU_CYCLE_1)
	v_cmp_gt_i32_e32 vcc_lo, s33, v0
	s_and_b32 s0, s4, vcc_lo
	s_and_b32 exec_lo, exec_lo, s0
	s_cbranch_execz .LBB45_47
; %bb.45:
	s_ashr_i32 s0, s2, 31
	v_add_co_u32 v0, s2, v105, s2
	s_delay_alu instid0(VALU_DEP_1) | instskip(NEXT) | instid1(VALU_DEP_1)
	v_add_co_ci_u32_e64 v1, null, 0, s0, s2
	v_lshlrev_b64 v[0:1], 2, v[0:1]
	s_delay_alu instid0(VALU_DEP_1) | instskip(NEXT) | instid1(VALU_DEP_2)
	v_add_co_u32 v0, vcc_lo, s1, v0
	v_add_co_ci_u32_e32 v1, vcc_lo, s3, v1, vcc_lo
	global_load_b32 v5, v[0:1], off offset:28
	v_mov_b32_e32 v1, 0
	s_waitcnt vmcnt(0)
	v_mul_hi_u32 v0, v5, s19
	s_delay_alu instid0(VALU_DEP_1) | instskip(NEXT) | instid1(VALU_DEP_1)
	v_add_nc_u32_e32 v0, v5, v0
	v_lshrrev_b32_e32 v0, s26, v0
	s_delay_alu instid0(VALU_DEP_1)
	v_cmp_gt_i32_e32 vcc_lo, s9, v0
	s_and_b32 exec_lo, exec_lo, vcc_lo
	s_cbranch_execz .LBB45_47
; %bb.46:
	v_add_nc_u32_e32 v10, v4, v3
	v_mul_lo_u32 v11, v0, s27
	v_mul_lo_u32 v0, v0, s25
	s_delay_alu instid0(VALU_DEP_3)
	v_add_nc_u32_e32 v8, 0x1800, v10
	ds_load_2addr_b32 v[3:4], v8 offset0:60 offset1:92
	ds_load_2addr_b32 v[6:7], v8 offset0:124 offset1:156
	s_waitcnt lgkmcnt(1)
	v_add_f32_e32 v3, 0, v3
	ds_load_2addr_b32 v[8:9], v8 offset0:188 offset1:220
	v_add_f32_e32 v3, v3, v4
	v_sub_nc_u32_e32 v4, v5, v11
	ds_load_b32 v5, v10 offset:7152
	s_waitcnt lgkmcnt(2)
	v_add_f32_e32 v3, v3, v6
	v_mul_lo_u32 v4, v4, s6
	s_delay_alu instid0(VALU_DEP_2) | instskip(NEXT) | instid1(VALU_DEP_2)
	v_add_f32_e32 v3, v3, v7
	v_add3_u32 v0, v2, v0, v4
	s_waitcnt lgkmcnt(1)
	s_delay_alu instid0(VALU_DEP_2) | instskip(NEXT) | instid1(VALU_DEP_2)
	v_add_f32_e32 v3, v3, v8
	v_lshlrev_b64 v[0:1], 2, v[0:1]
	s_delay_alu instid0(VALU_DEP_2) | instskip(NEXT) | instid1(VALU_DEP_2)
	v_add_f32_e32 v2, v3, v9
	v_add_co_u32 v0, vcc_lo, s28, v0
	s_waitcnt lgkmcnt(0)
	s_delay_alu instid0(VALU_DEP_2) | instskip(NEXT) | instid1(VALU_DEP_4)
	v_add_f32_e32 v2, v2, v5
	v_add_co_ci_u32_e32 v1, vcc_lo, s29, v1, vcc_lo
	global_store_b32 v[0:1], v2, off
.LBB45_47:
	s_nop 0
	s_sendmsg sendmsg(MSG_DEALLOC_VGPRS)
	s_endpgm
	.section	.rodata,"a",@progbits
	.p2align	6, 0x0
	.amdhsa_kernel _ZL13mul_mat_f_idsI7__half2Li32ELi11ELi7EEvPKT_PKfPKiS7_S7_Pfiiiiiiiiiiiiii15HIP_vector_typeIjLj3EESA_
		.amdhsa_group_segment_fixed_size 0
		.amdhsa_private_segment_fixed_size 0
		.amdhsa_kernarg_size 128
		.amdhsa_user_sgpr_count 13
		.amdhsa_user_sgpr_dispatch_ptr 0
		.amdhsa_user_sgpr_queue_ptr 0
		.amdhsa_user_sgpr_kernarg_segment_ptr 1
		.amdhsa_user_sgpr_dispatch_id 0
		.amdhsa_user_sgpr_private_segment_size 0
		.amdhsa_wavefront_size32 1
		.amdhsa_uses_dynamic_stack 0
		.amdhsa_enable_private_segment 0
		.amdhsa_system_sgpr_workgroup_id_x 1
		.amdhsa_system_sgpr_workgroup_id_y 1
		.amdhsa_system_sgpr_workgroup_id_z 1
		.amdhsa_system_sgpr_workgroup_info 0
		.amdhsa_system_vgpr_workitem_id 1
		.amdhsa_next_free_vgpr 120
		.amdhsa_next_free_sgpr 76
		.amdhsa_reserve_vcc 1
		.amdhsa_float_round_mode_32 0
		.amdhsa_float_round_mode_16_64 0
		.amdhsa_float_denorm_mode_32 3
		.amdhsa_float_denorm_mode_16_64 3
		.amdhsa_dx10_clamp 1
		.amdhsa_ieee_mode 1
		.amdhsa_fp16_overflow 0
		.amdhsa_workgroup_processor_mode 1
		.amdhsa_memory_ordered 1
		.amdhsa_forward_progress 0
		.amdhsa_shared_vgpr_count 0
		.amdhsa_exception_fp_ieee_invalid_op 0
		.amdhsa_exception_fp_denorm_src 0
		.amdhsa_exception_fp_ieee_div_zero 0
		.amdhsa_exception_fp_ieee_overflow 0
		.amdhsa_exception_fp_ieee_underflow 0
		.amdhsa_exception_fp_ieee_inexact 0
		.amdhsa_exception_int_div_zero 0
	.end_amdhsa_kernel
	.section	.text._ZL13mul_mat_f_idsI7__half2Li32ELi11ELi7EEvPKT_PKfPKiS7_S7_Pfiiiiiiiiiiiiii15HIP_vector_typeIjLj3EESA_,"axG",@progbits,_ZL13mul_mat_f_idsI7__half2Li32ELi11ELi7EEvPKT_PKfPKiS7_S7_Pfiiiiiiiiiiiiii15HIP_vector_typeIjLj3EESA_,comdat
.Lfunc_end45:
	.size	_ZL13mul_mat_f_idsI7__half2Li32ELi11ELi7EEvPKT_PKfPKiS7_S7_Pfiiiiiiiiiiiiii15HIP_vector_typeIjLj3EESA_, .Lfunc_end45-_ZL13mul_mat_f_idsI7__half2Li32ELi11ELi7EEvPKT_PKfPKiS7_S7_Pfiiiiiiiiiiiiii15HIP_vector_typeIjLj3EESA_
                                        ; -- End function
	.section	.AMDGPU.csdata,"",@progbits
; Kernel info:
; codeLenInByte = 5260
; NumSgprs: 78
; NumVgprs: 120
; ScratchSize: 0
; MemoryBound: 0
; FloatMode: 240
; IeeeMode: 1
; LDSByteSize: 0 bytes/workgroup (compile time only)
; SGPRBlocks: 9
; VGPRBlocks: 14
; NumSGPRsForWavesPerEU: 78
; NumVGPRsForWavesPerEU: 120
; Occupancy: 12
; WaveLimiterHint : 1
; COMPUTE_PGM_RSRC2:SCRATCH_EN: 0
; COMPUTE_PGM_RSRC2:USER_SGPR: 13
; COMPUTE_PGM_RSRC2:TRAP_HANDLER: 0
; COMPUTE_PGM_RSRC2:TGID_X_EN: 1
; COMPUTE_PGM_RSRC2:TGID_Y_EN: 1
; COMPUTE_PGM_RSRC2:TGID_Z_EN: 1
; COMPUTE_PGM_RSRC2:TIDIG_COMP_CNT: 1
	.section	.text._ZL9mul_mat_fI7__half2Li32ELi11ELi7ELb1EEvPKT_PKfPKiPfiiiiiiiiiiiiiiii,"axG",@progbits,_ZL9mul_mat_fI7__half2Li32ELi11ELi7ELb1EEvPKT_PKfPKiPfiiiiiiiiiiiiiiii,comdat
	.globl	_ZL9mul_mat_fI7__half2Li32ELi11ELi7ELb1EEvPKT_PKfPKiPfiiiiiiiiiiiiiiii ; -- Begin function _ZL9mul_mat_fI7__half2Li32ELi11ELi7ELb1EEvPKT_PKfPKiPfiiiiiiiiiiiiiiii
	.p2align	8
	.type	_ZL9mul_mat_fI7__half2Li32ELi11ELi7ELb1EEvPKT_PKfPKiPfiiiiiiiiiiiiiiii,@function
_ZL9mul_mat_fI7__half2Li32ELi11ELi7ELb1EEvPKT_PKfPKiPfiiiiiiiiiiiiiiii: ; @_ZL9mul_mat_fI7__half2Li32ELi11ELi7ELb1EEvPKT_PKfPKiPfiiiiiiiiiiiiiiii
; %bb.0:
	s_clause 0x1
	s_load_b256 s[16:23], s[0:1], 0x20
	s_load_b64 s[24:25], s[0:1], 0x10
	v_and_b32_e32 v80, 0x3ff, v0
	v_bfe_u32 v88, v0, 10, 10
	s_load_b128 s[8:11], s[0:1], 0x44
	s_delay_alu instid0(VALU_DEP_2) | instskip(NEXT) | instid1(VALU_DEP_2)
	v_cmp_eq_u32_e32 vcc_lo, 0, v80
	v_lshl_add_u32 v89, v88, 2, 0x100
	s_waitcnt lgkmcnt(0)
	s_add_i32 s2, s17, 10
	s_delay_alu instid0(SALU_CYCLE_1) | instskip(NEXT) | instid1(SALU_CYCLE_1)
	s_mul_hi_i32 s2, s2, 0x2e8ba2e9
	s_lshr_b32 s3, s2, 31
	s_ashr_i32 s2, s2, 1
	s_delay_alu instid0(SALU_CYCLE_1)
	s_add_i32 s2, s2, s3
	s_load_b32 s3, s[0:1], 0x64
	v_cvt_f32_u32_e32 v1, s2
	s_add_u32 s6, s0, 0x60
	s_addc_u32 s7, s1, 0
	s_sub_i32 s5, 0, s2
	s_delay_alu instid0(VALU_DEP_1) | instskip(SKIP_2) | instid1(VALU_DEP_1)
	v_rcp_iflag_f32_e32 v1, v1
	s_waitcnt_depctr 0xfff
	v_mul_f32_e32 v1, 0x4f7ffffe, v1
	v_cvt_u32_f32_e32 v1, v1
	s_delay_alu instid0(VALU_DEP_1) | instskip(NEXT) | instid1(VALU_DEP_1)
	v_readfirstlane_b32 s4, v1
	s_mul_i32 s5, s5, s4
	s_delay_alu instid0(SALU_CYCLE_1) | instskip(NEXT) | instid1(SALU_CYCLE_1)
	s_mul_hi_u32 s5, s4, s5
	s_add_i32 s4, s4, s5
	s_waitcnt lgkmcnt(0)
	s_mul_hi_u32 s4, s3, s4
	s_delay_alu instid0(SALU_CYCLE_1) | instskip(NEXT) | instid1(SALU_CYCLE_1)
	s_mul_i32 s5, s4, s2
	s_sub_i32 s3, s3, s5
	s_add_i32 s5, s4, 1
	s_sub_i32 s12, s3, s2
	s_cmp_ge_u32 s3, s2
	s_cselect_b32 s4, s5, s4
	s_cselect_b32 s3, s12, s3
	s_add_i32 s5, s4, 1
	s_cmp_ge_u32 s3, s2
	s_cselect_b32 s2, s5, s4
	s_abs_i32 s28, s11
	v_cvt_f32_u32_e32 v1, s2
	v_cvt_f32_u32_e32 v2, s28
	s_sub_i32 s4, 0, s2
	s_sub_i32 s26, 0, s28
	s_delay_alu instid0(VALU_DEP_2) | instskip(NEXT) | instid1(VALU_DEP_1)
	v_rcp_iflag_f32_e32 v1, v1
	v_rcp_iflag_f32_e32 v2, v2
	s_waitcnt_depctr 0xfff
	v_dual_mul_f32 v1, 0x4f7ffffe, v1 :: v_dual_mul_f32 v2, 0x4f7ffffe, v2
	s_delay_alu instid0(VALU_DEP_1) | instskip(NEXT) | instid1(VALU_DEP_1)
	v_cvt_u32_f32_e32 v1, v1
	v_readfirstlane_b32 s3, v1
	s_delay_alu instid0(VALU_DEP_3) | instskip(NEXT) | instid1(VALU_DEP_2)
	v_cvt_u32_f32_e32 v1, v2
	s_mul_i32 s4, s4, s3
	s_delay_alu instid0(VALU_DEP_1) | instskip(SKIP_1) | instid1(SALU_CYCLE_1)
	v_readfirstlane_b32 s29, v1
	s_mul_hi_u32 s4, s3, s4
	s_add_i32 s3, s3, s4
	s_delay_alu instid0(SALU_CYCLE_1)
	s_mul_hi_u32 s3, s14, s3
	s_and_saveexec_b32 s4, vcc_lo
	s_cbranch_execz .LBB46_2
; %bb.1:
	v_mov_b32_e32 v1, -1
	ds_store_b32 v89, v1
.LBB46_2:
	s_or_b32 exec_lo, exec_lo, s4
	s_mul_i32 s4, s3, s2
	s_add_i32 s5, s3, 1
	s_sub_i32 s4, s14, s4
	v_mov_b32_e32 v3, 0
	s_sub_i32 s12, s4, s2
	s_cmp_ge_u32 s4, s2
	s_mul_i32 s26, s26, s29
	s_cselect_b32 s3, s5, s3
	s_cselect_b32 s4, s12, s4
	s_add_i32 s5, s3, 1
	s_cmp_ge_u32 s4, s2
	v_cmp_gt_i32_e64 s4, s18, v80
	s_cselect_b32 s3, s5, s3
	s_delay_alu instid0(SALU_CYCLE_1)
	s_mul_i32 s12, s3, 11
	s_mul_i32 s3, s3, s2
	v_add_nc_u32_e32 v1, s12, v88
	s_mul_hi_i32 s31, s12, s23
	s_mul_i32 s30, s12, s23
	s_sub_i32 s14, s14, s3
	s_lshl_b64 s[30:31], s[30:31], 2
	v_cmp_gt_i32_e64 s2, s17, v1
	s_add_u32 s30, s24, s30
	s_addc_u32 s31, s25, s31
	s_delay_alu instid0(VALU_DEP_1)
	s_and_saveexec_b32 s24, s2
	s_cbranch_execz .LBB46_10
; %bb.3:
	v_mov_b32_e32 v3, 0
	s_and_saveexec_b32 s25, s4
	s_cbranch_execz .LBB46_9
; %bb.4:
	v_mul_lo_u32 v1, v88, s23
	v_dual_mov_b32 v3, 0 :: v_dual_mov_b32 v6, v80
	s_lshl_b32 s33, s22, 5
	s_mov_b32 s27, 0
	s_delay_alu instid0(VALU_DEP_2) | instskip(NEXT) | instid1(VALU_DEP_1)
	v_ashrrev_i32_e32 v2, 31, v1
	v_lshlrev_b64 v[4:5], 2, v[1:2]
	v_mul_lo_u32 v1, v80, s22
	s_delay_alu instid0(VALU_DEP_2) | instskip(NEXT) | instid1(VALU_DEP_1)
	v_add_co_u32 v4, s3, s30, v4
	v_add_co_ci_u32_e64 v5, s3, s31, v5, s3
	s_set_inst_prefetch_distance 0x1
	s_branch .LBB46_6
	.p2align	6
.LBB46_5:                               ;   in Loop: Header=BB46_6 Depth=1
	s_or_b32 exec_lo, exec_lo, s34
	v_add_nc_u32_e32 v6, 32, v6
	s_xor_b32 s3, s3, -1
	v_add_nc_u32_e32 v1, s33, v1
	s_delay_alu instid0(VALU_DEP_2) | instskip(NEXT) | instid1(VALU_DEP_1)
	v_cmp_le_i32_e64 s5, s18, v6
	s_or_b32 s3, s3, s5
	s_delay_alu instid0(SALU_CYCLE_1) | instskip(NEXT) | instid1(SALU_CYCLE_1)
	s_and_b32 s3, exec_lo, s3
	s_or_b32 s27, s3, s27
	s_delay_alu instid0(SALU_CYCLE_1)
	s_and_not1_b32 exec_lo, exec_lo, s27
	s_cbranch_execz .LBB46_8
.LBB46_6:                               ; =>This Inner Loop Header: Depth=1
	s_delay_alu instid0(VALU_DEP_3) | instskip(SKIP_1) | instid1(VALU_DEP_1)
	v_ashrrev_i32_e32 v2, 31, v1
	s_mov_b32 s34, exec_lo
	v_lshlrev_b64 v[7:8], 2, v[1:2]
	s_delay_alu instid0(VALU_DEP_1) | instskip(NEXT) | instid1(VALU_DEP_1)
	v_add_co_u32 v7, s3, v4, v7
	v_add_co_ci_u32_e64 v8, s3, v5, v8, s3
	global_load_b32 v2, v[7:8], off
	s_waitcnt vmcnt(0)
	v_cmp_ne_u32_e64 s3, s14, v2
	v_cmpx_eq_u32_e64 s14, v2
	s_cbranch_execz .LBB46_5
; %bb.7:                                ;   in Loop: Header=BB46_6 Depth=1
	v_mov_b32_e32 v3, 1
	ds_store_b32 v89, v6
	s_branch .LBB46_5
.LBB46_8:
	s_set_inst_prefetch_distance 0x2
	s_or_b32 exec_lo, exec_lo, s27
.LBB46_9:
	s_delay_alu instid0(SALU_CYCLE_1)
	s_or_b32 exec_lo, exec_lo, s25
.LBB46_10:
	s_delay_alu instid0(SALU_CYCLE_1)
	s_or_b32 exec_lo, exec_lo, s24
	s_mul_hi_u32 s5, s29, s26
	s_and_saveexec_b32 s3, vcc_lo
	s_cbranch_execz .LBB46_12
; %bb.11:
	v_mov_b32_e32 v1, -1
	ds_store_b32 v89, v1 offset:28
.LBB46_12:
	s_or_b32 exec_lo, exec_lo, s3
	s_load_b128 s[24:27], s[0:1], 0x54
	v_add_nc_u32_e32 v90, 7, v88
	s_waitcnt lgkmcnt(0)
	s_abs_i32 s27, s15
	s_add_i32 s29, s29, s5
	s_delay_alu instid0(VALU_DEP_1) | instskip(NEXT) | instid1(VALU_DEP_1)
	v_add_nc_u32_e32 v1, s12, v90
	v_cmp_gt_i32_e64 s3, s17, v1
	s_delay_alu instid0(VALU_DEP_1)
	s_and_saveexec_b32 s5, s3
	s_cbranch_execz .LBB46_20
; %bb.13:
	s_and_saveexec_b32 s33, s4
	s_cbranch_execz .LBB46_19
; %bb.14:
	v_mul_lo_u32 v1, v90, s23
	v_mov_b32_e32 v6, v80
	s_lshl_b32 s23, s22, 5
	s_delay_alu instid0(VALU_DEP_2) | instskip(NEXT) | instid1(VALU_DEP_1)
	v_ashrrev_i32_e32 v2, 31, v1
	v_lshlrev_b64 v[4:5], 2, v[1:2]
	v_mul_lo_u32 v1, v80, s22
	s_mov_b32 s22, 0
	s_delay_alu instid0(VALU_DEP_2) | instskip(NEXT) | instid1(VALU_DEP_3)
	v_add_co_u32 v4, vcc_lo, s30, v4
	v_add_co_ci_u32_e32 v5, vcc_lo, s31, v5, vcc_lo
	s_set_inst_prefetch_distance 0x1
	s_branch .LBB46_16
	.p2align	6
.LBB46_15:                              ;   in Loop: Header=BB46_16 Depth=1
	s_or_b32 exec_lo, exec_lo, s30
	v_add_nc_u32_e32 v6, 32, v6
	s_xor_b32 s30, vcc_lo, -1
	v_add_nc_u32_e32 v1, s23, v1
	s_delay_alu instid0(VALU_DEP_2) | instskip(NEXT) | instid1(VALU_DEP_1)
	v_cmp_le_i32_e64 s4, s18, v6
	s_or_b32 s4, s30, s4
	s_delay_alu instid0(SALU_CYCLE_1) | instskip(NEXT) | instid1(SALU_CYCLE_1)
	s_and_b32 s4, exec_lo, s4
	s_or_b32 s22, s4, s22
	s_delay_alu instid0(SALU_CYCLE_1)
	s_and_not1_b32 exec_lo, exec_lo, s22
	s_cbranch_execz .LBB46_18
.LBB46_16:                              ; =>This Inner Loop Header: Depth=1
	s_delay_alu instid0(VALU_DEP_3) | instskip(SKIP_1) | instid1(VALU_DEP_1)
	v_ashrrev_i32_e32 v2, 31, v1
	s_mov_b32 s30, exec_lo
	v_lshlrev_b64 v[7:8], 2, v[1:2]
	s_delay_alu instid0(VALU_DEP_1) | instskip(NEXT) | instid1(VALU_DEP_2)
	v_add_co_u32 v7, vcc_lo, v4, v7
	v_add_co_ci_u32_e32 v8, vcc_lo, v5, v8, vcc_lo
	global_load_b32 v2, v[7:8], off
	s_waitcnt vmcnt(0)
	v_cmp_ne_u32_e32 vcc_lo, s14, v2
	v_cmpx_eq_u32_e64 s14, v2
	s_cbranch_execz .LBB46_15
; %bb.17:                               ;   in Loop: Header=BB46_16 Depth=1
	v_mov_b32_e32 v3, 1
	ds_store_b32 v89, v6 offset:28
	s_branch .LBB46_15
.LBB46_18:
	s_set_inst_prefetch_distance 0x2
	s_or_b32 exec_lo, exec_lo, s22
.LBB46_19:
	s_delay_alu instid0(SALU_CYCLE_1)
	s_or_b32 exec_lo, exec_lo, s33
.LBB46_20:
	s_delay_alu instid0(SALU_CYCLE_1)
	s_or_b32 exec_lo, exec_lo, s5
	v_cmp_ne_u32_e32 vcc_lo, 0, v3
	s_load_b64 s[30:31], s[6:7], 0xc
	s_clause 0x1
	s_load_b128 s[4:7], s[0:1], 0x0
	s_load_b64 s[22:23], s[0:1], 0x18
	v_cndmask_b32_e64 v1, 0, 1, vcc_lo
	s_delay_alu instid0(VALU_DEP_1) | instskip(NEXT) | instid1(VALU_DEP_1)
	v_or_b32_dpp v1, v1, v1 row_shl:1 row_mask:0xf bank_mask:0xf bound_ctrl:1
	v_or_b32_dpp v1, v1, v1 row_shl:2 row_mask:0xf bank_mask:0xf bound_ctrl:1
	s_delay_alu instid0(VALU_DEP_1)
	v_or_b32_dpp v1, v1, v1 row_shl:4 row_mask:0xf bank_mask:0xf bound_ctrl:1
	s_waitcnt lgkmcnt(0)
	s_lshr_b32 s1, s30, 16
	s_and_b32 s0, s30, 0xffff
	s_and_b32 s30, s31, 0xffff
	s_mul_i32 s18, s1, s0
	v_or_b32_dpp v1, v1, v1 row_shl:8 row_mask:0xf bank_mask:0xf bound_ctrl:1
	s_bfe_i32 s18, s18, 0x180000
	s_delay_alu instid0(SALU_CYCLE_1) | instskip(NEXT) | instid1(SALU_CYCLE_1)
	s_mul_i32 s18, s18, s30
	s_add_i32 s18, s18, 31
	s_delay_alu instid0(VALU_DEP_1) | instskip(SKIP_1) | instid1(SALU_CYCLE_1)
	v_mov_b32_dpp v1, v1 row_share:0 row_mask:0xf bank_mask:0xf bound_ctrl:1
	s_and_not1_b32 s18, s18, 31
	s_cmp_lg_u32 s18, 32
	s_mul_hi_u32 s18, s27, s29
	s_delay_alu instid0(VALU_DEP_1) | instskip(NEXT) | instid1(VALU_DEP_1)
	v_permlanex16_b32 v2, v1, 0, 0 op_sel:[0,1]
	v_or_b32_e32 v2, v2, v1
	s_cbranch_scc0 .LBB46_29
; %bb.21:
	v_bfe_u32 v0, v0, 20, 10
	s_delay_alu instid0(VALU_DEP_1) | instskip(NEXT) | instid1(VALU_DEP_1)
	v_mad_u32_u24 v3, v0, s1, v88
	v_mad_u64_u32 v[0:1], null, v3, s0, v[80:81]
	v_mbcnt_lo_u32_b32 v1, -1, 0
	s_mov_b32 s0, exec_lo
	s_delay_alu instid0(VALU_DEP_2) | instskip(NEXT) | instid1(VALU_DEP_1)
	v_lshrrev_b32_e32 v3, 5, v0
	v_or_b32_e32 v3, v1, v3
	s_delay_alu instid0(VALU_DEP_1)
	v_cmpx_eq_u32_e32 0, v3
	s_cbranch_execz .LBB46_23
; %bb.22:
	v_mov_b32_e32 v3, 0
	ds_store_b32 v3, v2
.LBB46_23:
	s_or_b32 exec_lo, exec_lo, s0
	v_cmp_eq_u32_e32 vcc_lo, 0, v1
	v_cmp_lt_u32_e64 s0, 31, v0
	s_mov_b32 s1, 0
	s_waitcnt lgkmcnt(0)
	s_barrier
	buffer_gl0_inv
	s_and_b32 s29, s0, vcc_lo
	s_delay_alu instid0(SALU_CYCLE_1)
	s_and_saveexec_b32 s0, s29
	s_cbranch_execz .LBB46_28
; %bb.24:
	s_mov_b32 s29, exec_lo
.LBB46_25:                              ; =>This Inner Loop Header: Depth=1
	s_delay_alu instid0(SALU_CYCLE_1) | instskip(NEXT) | instid1(SALU_CYCLE_1)
	s_ctz_i32_b32 s30, s29
	v_readlane_b32 s31, v2, s30
	s_lshl_b32 s30, 1, s30
	s_delay_alu instid0(SALU_CYCLE_1) | instskip(NEXT) | instid1(VALU_DEP_1)
	s_and_not1_b32 s29, s29, s30
	s_or_b32 s1, s1, s31
	s_cmp_lg_u32 s29, 0
	s_cbranch_scc1 .LBB46_25
; %bb.26:
	v_mbcnt_lo_u32_b32 v0, exec_lo, 0
	s_mov_b32 s29, exec_lo
	s_delay_alu instid0(VALU_DEP_1)
	v_cmpx_eq_u32_e32 0, v0
	s_xor_b32 s29, exec_lo, s29
	s_cbranch_execz .LBB46_28
; %bb.27:
	v_dual_mov_b32 v0, 0 :: v_dual_mov_b32 v1, s1
	ds_or_b32 v0, v1
.LBB46_28:
	s_or_b32 exec_lo, exec_lo, s0
	v_mov_b32_e32 v0, 0
	s_waitcnt lgkmcnt(0)
	s_barrier
	buffer_gl0_inv
	ds_load_b32 v2, v0
	s_waitcnt lgkmcnt(0)
	s_barrier
	buffer_gl0_inv
.LBB46_29:
	s_ashr_i32 s0, s15, 31
	s_ashr_i32 s29, s11, 31
	s_mov_b32 s1, exec_lo
	v_cmpx_ne_u32_e32 0, v2
	s_cbranch_execz .LBB46_76
; %bb.30:
	v_lshlrev_b32_e32 v91, 5, v88
	v_and_b32_e32 v92, 15, v80
	s_mov_b32 s11, exec_lo
                                        ; implicit-def: $sgpr1
	s_delay_alu instid0(VALU_DEP_2) | instskip(NEXT) | instid1(VALU_DEP_1)
	v_add_nc_u32_e32 v93, v91, v80
	v_cmpx_le_i32_e64 s16, v93
	s_xor_b32 s11, exec_lo, s11
; %bb.31:
	v_and_b32_e32 v92, 15, v80
	s_mov_b32 s1, 0
                                        ; implicit-def: $vgpr93
; %bb.32:
	s_or_saveexec_b32 s11, s11
	v_dual_mov_b32 v15, s1 :: v_dual_mov_b32 v14, s1
	v_dual_mov_b32 v13, s1 :: v_dual_mov_b32 v12, s1
	;; [unrolled: 1-line block ×8, first 2 shown]
	s_lshl_b32 s1, s13, 5
	s_xor_b32 exec_lo, exec_lo, s11
	s_cbranch_execz .LBB46_69
; %bb.33:
	s_mul_i32 s13, s18, s28
	s_xor_b32 s0, s0, s29
	s_sub_i32 s13, s27, s13
	s_add_i32 s27, s18, 1
	s_sub_i32 s29, s13, s28
	s_cmp_ge_u32 s13, s28
	s_mul_i32 s30, s1, s19
	s_cselect_b32 s18, s27, s18
	s_cselect_b32 s13, s29, s13
	s_add_i32 s27, s18, 1
	s_cmp_ge_u32 s13, s28
	s_mul_i32 s28, s14, s8
	s_cselect_b32 s13, s27, s18
	s_ashr_i32 s29, s28, 31
	s_xor_b32 s13, s13, s0
	s_mul_hi_i32 s37, s25, s15
	s_sub_i32 s0, s13, s0
	s_mul_i32 s36, s25, s15
	s_mul_hi_i32 s35, s0, s24
	s_mul_i32 s34, s0, s24
	s_mul_hi_i32 s25, s20, s12
	s_lshl_b64 s[42:43], s[34:35], 2
	s_mul_i32 s24, s20, s12
	s_add_u32 s0, s4, s42
	s_addc_u32 s8, s5, s43
	s_lshl_b64 s[44:45], s[28:29], 2
	v_dual_mov_b32 v95, 0 :: v_dual_lshlrev_b32 v2, 1, v80
	s_add_u32 s0, s0, s44
	s_addc_u32 s13, s8, s45
	s_ashr_i32 s31, s30, 31
	s_delay_alu instid0(VALU_DEP_1)
	v_lshl_add_u32 v81, v88, 6, v2
	s_lshl_b64 s[46:47], s[30:31], 2
	v_dual_mov_b32 v97, 0x100 :: v_dual_lshlrev_b32 v2, 2, v93
	s_add_u32 s8, s0, s46
	s_addc_u32 s13, s13, s47
	s_lshl_b64 s[28:29], s[36:37], 2
	s_lshl_b64 s[24:25], s[24:25], 3
	s_add_u32 s0, s6, s28
	s_addc_u32 s6, s7, s29
	s_add_u32 s14, s0, s24
	s_addc_u32 s18, s6, s25
	s_cmp_lt_i32 s12, s17
	s_movk_i32 s6, 0x900
	s_cselect_b32 s24, -1, 0
	s_add_i32 s0, s12, 1
	v_mad_u32_u24 v1, v88, s6, 0x100
	s_cmp_lt_i32 s0, s17
	s_mov_b32 s6, s19
	s_cselect_b32 s25, -1, 0
	s_add_i32 s0, s12, 2
	v_mul_u32_u24_e32 v0, 0x90, v92
	s_cmp_lt_i32 s0, s17
	v_lshl_add_u32 v94, v80, 2, v1
	s_cselect_b32 s27, -1, 0
	s_add_i32 s0, s12, 3
	s_lshl_b32 s28, s20, 2
	s_cmp_lt_i32 s0, s17
	v_dual_mov_b32 v1, v95 :: v_dual_add_nc_u32 v96, v1, v0
	s_cselect_b32 s29, -1, 0
	s_add_i32 s0, s12, 4
	v_dual_mov_b32 v0, 0 :: v_dual_mov_b32 v3, v95
	s_cmp_lt_i32 s0, s17
	v_mov_b32_e32 v4, v95
	s_cselect_b32 s30, -1, 0
	s_add_i32 s0, s12, 5
	s_lshl_b32 s31, s20, 3
	s_cmp_lt_i32 s0, s17
	v_dual_mov_b32 v5, v95 :: v_dual_mov_b32 v8, 0
	s_cselect_b32 s33, -1, 0
	s_add_i32 s0, s12, 6
	v_mov_b32_e32 v6, v95
	s_cmp_lt_i32 s0, s17
	v_mov_b32_e32 v7, v95
	s_cselect_b32 s34, -1, 0
	s_add_i32 s0, s12, 7
	v_mov_b32_e32 v9, v95
	s_cmp_lt_i32 s0, s17
	v_mov_b32_e32 v10, v95
	;; [unrolled: 5-line block ×3, first 2 shown]
	s_cselect_b32 s38, -1, 0
	s_add_i32 s0, s12, 9
	s_lshl_b32 s39, s20, 4
	s_cmp_lt_i32 s0, s17
	v_mov_b32_e32 v13, v95
	s_cselect_b32 s40, -1, 0
	s_add_i32 s0, s12, 10
	v_mov_b32_e32 v14, v95
	s_cmp_lt_i32 s0, s17
	v_mov_b32_e32 v15, v95
	s_cselect_b32 s17, -1, 0
	s_ashr_i32 s7, s19, 31
	s_mul_i32 s36, s20, 6
	s_lshl_b64 s[6:7], s[6:7], 2
	s_add_u32 s0, s42, s46
	s_addc_u32 s41, s43, s47
	s_add_u32 s0, s0, s44
	s_addc_u32 s41, s41, s45
	;; [unrolled: 2-line block ×3, first 2 shown]
	v_add_co_u32 v82, s0, s0, v2
	s_delay_alu instid0(VALU_DEP_1)
	v_add_co_ci_u32_e64 v83, null, s4, 0, s0
	v_mov_b32_e32 v2, v95
	s_mul_i32 s37, s20, 10
	s_mul_i32 s4, s20, 20
	;; [unrolled: 1-line block ×5, first 2 shown]
	s_lshl_b32 s20, s20, 1
	s_lshl_b32 s43, s19, 1
	s_mul_i32 s44, s19, 3
	s_lshl_b32 s45, s19, 2
	s_mul_i32 s46, s19, 5
	s_mul_i32 s47, s19, 6
	;; [unrolled: 1-line block ×3, first 2 shown]
	s_lshl_b32 s49, s19, 3
	s_mul_i32 s50, s19, 9
	s_mul_i32 s51, s19, 10
	;; [unrolled: 1-line block ×7, first 2 shown]
	s_lshl_b32 s57, s19, 4
	s_mul_i32 s58, s19, 17
	s_mul_i32 s59, s19, 18
	;; [unrolled: 1-line block ×15, first 2 shown]
	s_mov_b32 s19, 0
	s_branch .LBB46_35
.LBB46_34:                              ;   in Loop: Header=BB46_35 Depth=1
	s_waitcnt vmcnt(0)
	v_cvt_f16_f32_e32 v84, v84
	v_cvt_f16_f32_e32 v85, v85
	v_add_nc_u32_e32 v86, 0x400, v94
	v_add_nc_u32_e32 v87, 0x800, v94
	;; [unrolled: 1-line block ×3, first 2 shown]
	v_add_co_u32 v82, s0, 0x380, v82
	v_pack_b32_f16 v84, v84, v85
	ds_store_2addr_b32 v86, v95, v95 offset0:192 offset1:228
	ds_store_2addr_b32 v87, v95, v95 offset0:8 offset1:44
	;; [unrolled: 1-line block ×3, first 2 shown]
	ds_load_b128 v[98:101], v96 offset:64
	ds_load_b128 v[102:105], v96 offset:80
	ds_load_b128 v[106:109], v96 offset:96
	ds_load_b128 v[110:113], v96 offset:112
	ds_load_b128 v[114:117], v96 offset:128
	ds_load_b128 v[118:121], v96 offset:144
	v_cmp_le_i32_e32 vcc_lo, s16, v93
	v_add_nc_u32_e32 v81, 0x1c0, v81
	v_add_co_ci_u32_e64 v83, s0, 0, v83, s0
	s_or_b32 s19, vcc_lo, s19
	s_waitcnt lgkmcnt(4)
	v_wmma_f32_16x16x16_f16 v[8:15], v[56:63], v[98:105], v[8:15]
	ds_load_b128 v[56:59], v96 offset:160
	ds_load_b128 v[60:63], v96 offset:176
	v_wmma_f32_16x16x16_f16 v[0:7], v[72:79], v[98:105], v[0:7]
	s_waitcnt lgkmcnt(4)
	v_wmma_f32_16x16x16_f16 v[8:15], v[40:47], v[106:113], v[8:15]
	s_delay_alu instid0(VALU_DEP_2) | instskip(SKIP_1) | instid1(VALU_DEP_2)
	v_wmma_f32_16x16x16_f16 v[0:7], v[64:71], v[106:113], v[0:7]
	s_waitcnt lgkmcnt(2)
	v_wmma_f32_16x16x16_f16 v[8:15], v[24:31], v[114:121], v[8:15]
	s_delay_alu instid0(VALU_DEP_2) | instskip(SKIP_1) | instid1(VALU_DEP_2)
	v_wmma_f32_16x16x16_f16 v[0:7], v[48:55], v[114:121], v[0:7]
	s_waitcnt lgkmcnt(0)
	v_wmma_f32_16x16x16_f16 v[8:15], v[16:23], v[56:63], v[8:15]
	s_delay_alu instid0(VALU_DEP_2)
	v_wmma_f32_16x16x16_f16 v[0:7], v[32:39], v[56:63], v[0:7]
	s_and_not1_b32 exec_lo, exec_lo, s19
	s_cbranch_execz .LBB46_68
.LBB46_35:                              ; =>This Inner Loop Header: Depth=1
	v_dual_mov_b32 v85, 0 :: v_dual_add_nc_u32 v16, s43, v93
	v_add_nc_u32_e32 v22, s45, v93
	v_add_nc_u32_e32 v18, s44, v93
	v_add_co_u32 v20, vcc_lo, v82, s6
	s_delay_alu instid0(VALU_DEP_4)
	v_ashrrev_i32_e32 v17, 31, v16
	v_add_co_ci_u32_e32 v21, vcc_lo, s7, v83, vcc_lo
	v_ashrrev_i32_e32 v23, 31, v22
	v_ashrrev_i32_e32 v19, 31, v18
	v_add_nc_u32_e32 v24, s46, v93
	v_lshlrev_b64 v[16:17], 2, v[16:17]
	s_clause 0x1
	global_load_b32 v38, v[82:83], off
	global_load_b32 v39, v[20:21], off
	v_lshlrev_b64 v[20:21], 2, v[22:23]
	v_add_nc_u32_e32 v22, s47, v93
	v_lshlrev_b64 v[18:19], 2, v[18:19]
	v_ashrrev_i32_e32 v25, 31, v24
	v_add_nc_u32_e32 v26, s48, v93
	v_add_co_u32 v16, vcc_lo, s8, v16
	v_ashrrev_i32_e32 v23, 31, v22
	v_add_co_ci_u32_e32 v17, vcc_lo, s13, v17, vcc_lo
	v_add_nc_u32_e32 v28, s49, v93
	v_add_co_u32 v18, vcc_lo, s8, v18
	v_lshlrev_b64 v[24:25], 2, v[24:25]
	v_ashrrev_i32_e32 v27, 31, v26
	v_add_co_ci_u32_e32 v19, vcc_lo, s13, v19, vcc_lo
	v_add_nc_u32_e32 v30, s50, v93
	v_add_co_u32 v20, vcc_lo, s8, v20
	v_lshlrev_b64 v[22:23], 2, v[22:23]
	v_ashrrev_i32_e32 v29, 31, v28
	v_add_co_ci_u32_e32 v21, vcc_lo, s13, v21, vcc_lo
	v_add_co_u32 v24, vcc_lo, s8, v24
	v_lshlrev_b64 v[26:27], 2, v[26:27]
	v_ashrrev_i32_e32 v31, 31, v30
	v_add_co_ci_u32_e32 v25, vcc_lo, s13, v25, vcc_lo
	v_add_co_u32 v22, vcc_lo, s8, v22
	v_lshlrev_b64 v[28:29], 2, v[28:29]
	v_add_co_ci_u32_e32 v23, vcc_lo, s13, v23, vcc_lo
	v_add_nc_u32_e32 v32, s51, v93
	v_add_co_u32 v26, vcc_lo, s8, v26
	v_lshlrev_b64 v[30:31], 2, v[30:31]
	v_add_co_ci_u32_e32 v27, vcc_lo, s13, v27, vcc_lo
	v_add_nc_u32_e32 v34, s52, v93
	v_add_co_u32 v28, vcc_lo, s8, v28
	v_ashrrev_i32_e32 v33, 31, v32
	v_add_co_ci_u32_e32 v29, vcc_lo, s13, v29, vcc_lo
	v_add_nc_u32_e32 v36, s53, v93
	v_add_co_u32 v30, vcc_lo, s8, v30
	v_ashrrev_i32_e32 v35, 31, v34
	v_add_co_ci_u32_e32 v31, vcc_lo, s13, v31, vcc_lo
	s_clause 0x7
	global_load_b32 v40, v[16:17], off
	global_load_b32 v41, v[18:19], off
	global_load_b32 v42, v[20:21], off
	global_load_b32 v43, v[24:25], off
	global_load_b32 v44, v[22:23], off
	global_load_b32 v45, v[26:27], off
	global_load_b32 v46, v[28:29], off
	global_load_b32 v47, v[30:31], off
	v_add_nc_u32_e32 v18, s54, v93
	v_lshlrev_b64 v[32:33], 2, v[32:33]
	v_ashrrev_i32_e32 v37, 31, v36
	v_add_nc_u32_e32 v24, s55, v93
	v_lshlrev_b64 v[16:17], 2, v[34:35]
	v_ashrrev_i32_e32 v19, 31, v18
	v_add_nc_u32_e32 v26, s56, v93
	v_add_co_u32 v20, vcc_lo, s8, v32
	v_lshlrev_b64 v[22:23], 2, v[36:37]
	v_ashrrev_i32_e32 v25, 31, v24
	v_add_co_ci_u32_e32 v21, vcc_lo, s13, v33, vcc_lo
	v_add_nc_u32_e32 v28, s57, v93
	v_add_co_u32 v16, vcc_lo, s8, v16
	v_lshlrev_b64 v[18:19], 2, v[18:19]
	v_ashrrev_i32_e32 v27, 31, v26
	v_add_co_ci_u32_e32 v17, vcc_lo, s13, v17, vcc_lo
	v_add_nc_u32_e32 v30, s58, v93
	v_add_co_u32 v22, vcc_lo, s8, v22
	v_lshlrev_b64 v[24:25], 2, v[24:25]
	v_ashrrev_i32_e32 v29, 31, v28
	v_add_co_ci_u32_e32 v23, vcc_lo, s13, v23, vcc_lo
	v_add_co_u32 v18, vcc_lo, s8, v18
	v_lshlrev_b64 v[26:27], 2, v[26:27]
	v_ashrrev_i32_e32 v31, 31, v30
	v_add_co_ci_u32_e32 v19, vcc_lo, s13, v19, vcc_lo
	v_add_co_u32 v24, vcc_lo, s8, v24
	v_lshlrev_b64 v[28:29], 2, v[28:29]
	v_add_co_ci_u32_e32 v25, vcc_lo, s13, v25, vcc_lo
	v_add_nc_u32_e32 v32, s59, v93
	v_add_co_u32 v26, vcc_lo, s8, v26
	v_lshlrev_b64 v[30:31], 2, v[30:31]
	v_add_co_ci_u32_e32 v27, vcc_lo, s13, v27, vcc_lo
	v_add_nc_u32_e32 v34, s60, v93
	v_add_co_u32 v28, vcc_lo, s8, v28
	v_ashrrev_i32_e32 v33, 31, v32
	v_add_co_ci_u32_e32 v29, vcc_lo, s13, v29, vcc_lo
	v_add_nc_u32_e32 v36, s61, v93
	v_add_co_u32 v30, vcc_lo, s8, v30
	v_ashrrev_i32_e32 v35, 31, v34
	v_add_co_ci_u32_e32 v31, vcc_lo, s13, v31, vcc_lo
	s_clause 0x7
	global_load_b32 v48, v[20:21], off
	global_load_b32 v49, v[16:17], off
	global_load_b32 v50, v[22:23], off
	global_load_b32 v51, v[18:19], off
	global_load_b32 v52, v[24:25], off
	global_load_b32 v53, v[26:27], off
	global_load_b32 v54, v[28:29], off
	global_load_b32 v55, v[30:31], off
	v_add_nc_u32_e32 v18, s62, v93
	v_lshlrev_b64 v[32:33], 2, v[32:33]
	v_ashrrev_i32_e32 v37, 31, v36
	v_add_nc_u32_e32 v24, s63, v93
	v_lshlrev_b64 v[16:17], 2, v[34:35]
	v_ashrrev_i32_e32 v19, 31, v18
	v_add_nc_u32_e32 v26, s64, v93
	v_add_co_u32 v20, vcc_lo, s8, v32
	v_lshlrev_b64 v[22:23], 2, v[36:37]
	;; [unrolled: 49-line block ×3, first 2 shown]
	v_ashrrev_i32_e32 v25, 31, v24
	v_add_co_ci_u32_e32 v21, vcc_lo, s13, v33, vcc_lo
	v_add_co_u32 v16, vcc_lo, s8, v16
	v_lshlrev_b64 v[18:19], 2, v[18:19]
	v_ashrrev_i32_e32 v27, 31, v26
	v_add_co_ci_u32_e32 v17, vcc_lo, s13, v17, vcc_lo
	v_add_co_u32 v22, vcc_lo, s8, v22
	v_lshlrev_b64 v[24:25], 2, v[24:25]
	v_add_co_ci_u32_e32 v23, vcc_lo, s13, v23, vcc_lo
	v_add_co_u32 v18, vcc_lo, s8, v18
	v_lshlrev_b64 v[26:27], 2, v[26:27]
	v_add_co_ci_u32_e32 v19, vcc_lo, s13, v19, vcc_lo
	v_add_co_u32 v24, vcc_lo, s8, v24
	v_add_co_ci_u32_e32 v25, vcc_lo, s13, v25, vcc_lo
	s_delay_alu instid0(VALU_DEP_4)
	v_add_co_u32 v26, vcc_lo, s8, v26
	v_add_co_ci_u32_e32 v27, vcc_lo, s13, v27, vcc_lo
	s_clause 0x5
	global_load_b32 v32, v[20:21], off
	global_load_b32 v33, v[16:17], off
	;; [unrolled: 1-line block ×6, first 2 shown]
	v_mov_b32_e32 v84, 0
	s_and_not1_b32 vcc_lo, exec_lo, s24
	s_waitcnt vmcnt(31)
	ds_store_b32 v94, v38 offset:64
	s_waitcnt vmcnt(30)
	ds_store_b32 v94, v39 offset:208
	;; [unrolled: 2-line block ×16, first 2 shown]
	ds_load_b128 v[56:59], v96 offset:64
	ds_load_b128 v[60:63], v96 offset:80
	;; [unrolled: 1-line block ×8, first 2 shown]
	s_waitcnt vmcnt(15)
	ds_store_b32 v94, v54 offset:64
	s_waitcnt vmcnt(14)
	ds_store_b32 v94, v55 offset:208
	;; [unrolled: 2-line block ×16, first 2 shown]
	ds_load_b128 v[72:75], v96 offset:64
	ds_load_b128 v[76:79], v96 offset:80
	;; [unrolled: 1-line block ×8, first 2 shown]
	s_cbranch_vccnz .LBB46_38
; %bb.36:                               ;   in Loop: Header=BB46_35 Depth=1
	ds_load_b32 v86, v97
	v_dual_mov_b32 v84, 0 :: v_dual_mov_b32 v85, 0
	s_waitcnt lgkmcnt(0)
	v_cmp_gt_i32_e32 vcc_lo, 0, v86
	s_cbranch_vccnz .LBB46_38
; %bb.37:                               ;   in Loop: Header=BB46_35 Depth=1
	v_mad_u64_u32 v[84:85], null, v86, s9, v[81:82]
	s_delay_alu instid0(VALU_DEP_1) | instskip(NEXT) | instid1(VALU_DEP_1)
	v_ashrrev_i32_e32 v85, 31, v84
	v_lshlrev_b64 v[84:85], 2, v[84:85]
	s_delay_alu instid0(VALU_DEP_1) | instskip(NEXT) | instid1(VALU_DEP_2)
	v_add_co_u32 v84, vcc_lo, s14, v84
	v_add_co_ci_u32_e32 v85, vcc_lo, s18, v85, vcc_lo
	global_load_b64 v[84:85], v[84:85], off
.LBB46_38:                              ;   in Loop: Header=BB46_35 Depth=1
	s_waitcnt vmcnt(0)
	v_cvt_f16_f32_e32 v84, v84
	v_cvt_f16_f32_e32 v85, v85
	v_mov_b32_e32 v87, 0
	s_and_not1_b32 vcc_lo, exec_lo, s25
	v_mov_b32_e32 v86, 0
	s_delay_alu instid0(VALU_DEP_3)
	v_pack_b32_f16 v84, v84, v85
	v_mov_b32_e32 v85, 0
	ds_store_b32 v94, v84 offset:64
	s_cbranch_vccnz .LBB46_41
; %bb.39:                               ;   in Loop: Header=BB46_35 Depth=1
	ds_load_b32 v84, v97 offset:4
	v_dual_mov_b32 v86, 0 :: v_dual_mov_b32 v87, 0
	s_waitcnt lgkmcnt(0)
	v_cmp_gt_i32_e32 vcc_lo, 0, v84
	s_cbranch_vccnz .LBB46_41
; %bb.40:                               ;   in Loop: Header=BB46_35 Depth=1
	v_mul_lo_u32 v84, v84, s9
	s_delay_alu instid0(VALU_DEP_1) | instskip(NEXT) | instid1(VALU_DEP_1)
	v_add3_u32 v86, v84, s20, v81
	v_ashrrev_i32_e32 v87, 31, v86
	s_delay_alu instid0(VALU_DEP_1) | instskip(NEXT) | instid1(VALU_DEP_1)
	v_lshlrev_b64 v[86:87], 2, v[86:87]
	v_add_co_u32 v86, vcc_lo, s14, v86
	s_delay_alu instid0(VALU_DEP_2)
	v_add_co_ci_u32_e32 v87, vcc_lo, s18, v87, vcc_lo
	global_load_b64 v[86:87], v[86:87], off
.LBB46_41:                              ;   in Loop: Header=BB46_35 Depth=1
	s_waitcnt vmcnt(0)
	v_cvt_f16_f32_e32 v84, v86
	v_cvt_f16_f32_e32 v86, v87
	s_and_not1_b32 vcc_lo, exec_lo, s27
	s_delay_alu instid0(VALU_DEP_1)
	v_pack_b32_f16 v86, v84, v86
	v_mov_b32_e32 v84, 0
	ds_store_b32 v94, v86 offset:208
	s_cbranch_vccnz .LBB46_44
; %bb.42:                               ;   in Loop: Header=BB46_35 Depth=1
	ds_load_b32 v86, v97 offset:8
	v_dual_mov_b32 v84, 0 :: v_dual_mov_b32 v85, 0
	s_waitcnt lgkmcnt(0)
	v_cmp_gt_i32_e32 vcc_lo, 0, v86
	s_cbranch_vccnz .LBB46_44
; %bb.43:                               ;   in Loop: Header=BB46_35 Depth=1
	v_mul_lo_u32 v84, v86, s9
	s_delay_alu instid0(VALU_DEP_1) | instskip(NEXT) | instid1(VALU_DEP_1)
	v_add3_u32 v84, v84, s28, v81
	v_ashrrev_i32_e32 v85, 31, v84
	s_delay_alu instid0(VALU_DEP_1) | instskip(NEXT) | instid1(VALU_DEP_1)
	v_lshlrev_b64 v[84:85], 2, v[84:85]
	v_add_co_u32 v84, vcc_lo, s14, v84
	s_delay_alu instid0(VALU_DEP_2)
	v_add_co_ci_u32_e32 v85, vcc_lo, s18, v85, vcc_lo
	global_load_b64 v[84:85], v[84:85], off
.LBB46_44:                              ;   in Loop: Header=BB46_35 Depth=1
	s_waitcnt vmcnt(0)
	v_cvt_f16_f32_e32 v84, v84
	v_cvt_f16_f32_e32 v85, v85
	v_mov_b32_e32 v87, 0
	s_and_not1_b32 vcc_lo, exec_lo, s29
	v_mov_b32_e32 v86, 0
	s_delay_alu instid0(VALU_DEP_3)
	v_pack_b32_f16 v84, v84, v85
	v_mov_b32_e32 v85, 0
	ds_store_b32 v94, v84 offset:352
	s_cbranch_vccnz .LBB46_47
; %bb.45:                               ;   in Loop: Header=BB46_35 Depth=1
	ds_load_b32 v84, v97 offset:12
	v_dual_mov_b32 v86, 0 :: v_dual_mov_b32 v87, 0
	s_waitcnt lgkmcnt(0)
	v_cmp_gt_i32_e32 vcc_lo, 0, v84
	s_cbranch_vccnz .LBB46_47
; %bb.46:                               ;   in Loop: Header=BB46_35 Depth=1
	v_mul_lo_u32 v84, v84, s9
	s_delay_alu instid0(VALU_DEP_1) | instskip(NEXT) | instid1(VALU_DEP_1)
	v_add3_u32 v86, v84, s36, v81
	v_ashrrev_i32_e32 v87, 31, v86
	s_delay_alu instid0(VALU_DEP_1) | instskip(NEXT) | instid1(VALU_DEP_1)
	v_lshlrev_b64 v[86:87], 2, v[86:87]
	v_add_co_u32 v86, vcc_lo, s14, v86
	s_delay_alu instid0(VALU_DEP_2)
	v_add_co_ci_u32_e32 v87, vcc_lo, s18, v87, vcc_lo
	global_load_b64 v[86:87], v[86:87], off
.LBB46_47:                              ;   in Loop: Header=BB46_35 Depth=1
	s_waitcnt vmcnt(0)
	v_cvt_f16_f32_e32 v84, v86
	v_cvt_f16_f32_e32 v86, v87
	s_and_not1_b32 vcc_lo, exec_lo, s30
	s_delay_alu instid0(VALU_DEP_1)
	v_pack_b32_f16 v86, v84, v86
	v_mov_b32_e32 v84, 0
	ds_store_b32 v94, v86 offset:496
	s_cbranch_vccnz .LBB46_50
; %bb.48:                               ;   in Loop: Header=BB46_35 Depth=1
	ds_load_b32 v86, v97 offset:16
	v_dual_mov_b32 v84, 0 :: v_dual_mov_b32 v85, 0
	s_waitcnt lgkmcnt(0)
	v_cmp_gt_i32_e32 vcc_lo, 0, v86
	s_cbranch_vccnz .LBB46_50
; %bb.49:                               ;   in Loop: Header=BB46_35 Depth=1
	v_mul_lo_u32 v84, v86, s9
	s_delay_alu instid0(VALU_DEP_1) | instskip(NEXT) | instid1(VALU_DEP_1)
	v_add3_u32 v84, v84, s31, v81
	v_ashrrev_i32_e32 v85, 31, v84
	s_delay_alu instid0(VALU_DEP_1) | instskip(NEXT) | instid1(VALU_DEP_1)
	v_lshlrev_b64 v[84:85], 2, v[84:85]
	v_add_co_u32 v84, vcc_lo, s14, v84
	s_delay_alu instid0(VALU_DEP_2)
	v_add_co_ci_u32_e32 v85, vcc_lo, s18, v85, vcc_lo
	global_load_b64 v[84:85], v[84:85], off
.LBB46_50:                              ;   in Loop: Header=BB46_35 Depth=1
	;; [unrolled: 56-line block ×4, first 2 shown]
	s_waitcnt vmcnt(0)
	v_cvt_f16_f32_e32 v84, v84
	v_cvt_f16_f32_e32 v85, v85
	v_mov_b32_e32 v87, 0
	s_and_not1_b32 vcc_lo, exec_lo, s40
	v_mov_b32_e32 v86, 0
	s_delay_alu instid0(VALU_DEP_3)
	v_pack_b32_f16 v84, v84, v85
	v_mov_b32_e32 v85, 0
	ds_store_b32 v94, v84 offset:1216
	s_cbranch_vccnz .LBB46_65
; %bb.63:                               ;   in Loop: Header=BB46_35 Depth=1
	ds_load_b32 v84, v97 offset:36
	v_dual_mov_b32 v86, 0 :: v_dual_mov_b32 v87, 0
	s_waitcnt lgkmcnt(0)
	v_cmp_gt_i32_e32 vcc_lo, 0, v84
	s_cbranch_vccnz .LBB46_65
; %bb.64:                               ;   in Loop: Header=BB46_35 Depth=1
	v_mul_lo_u32 v84, v84, s9
	s_delay_alu instid0(VALU_DEP_1) | instskip(NEXT) | instid1(VALU_DEP_1)
	v_add3_u32 v86, v84, s5, v81
	v_ashrrev_i32_e32 v87, 31, v86
	s_delay_alu instid0(VALU_DEP_1) | instskip(NEXT) | instid1(VALU_DEP_1)
	v_lshlrev_b64 v[86:87], 2, v[86:87]
	v_add_co_u32 v86, vcc_lo, s14, v86
	s_delay_alu instid0(VALU_DEP_2)
	v_add_co_ci_u32_e32 v87, vcc_lo, s18, v87, vcc_lo
	global_load_b64 v[86:87], v[86:87], off
.LBB46_65:                              ;   in Loop: Header=BB46_35 Depth=1
	s_waitcnt vmcnt(0)
	v_cvt_f16_f32_e32 v84, v86
	v_cvt_f16_f32_e32 v86, v87
	s_and_not1_b32 vcc_lo, exec_lo, s17
	s_delay_alu instid0(VALU_DEP_1)
	v_pack_b32_f16 v86, v84, v86
	v_mov_b32_e32 v84, 0
	ds_store_b32 v94, v86 offset:1360
	s_cbranch_vccnz .LBB46_34
; %bb.66:                               ;   in Loop: Header=BB46_35 Depth=1
	ds_load_b32 v86, v97 offset:40
	v_dual_mov_b32 v84, 0 :: v_dual_mov_b32 v85, 0
	s_waitcnt lgkmcnt(0)
	v_cmp_gt_i32_e32 vcc_lo, 0, v86
	s_cbranch_vccnz .LBB46_34
; %bb.67:                               ;   in Loop: Header=BB46_35 Depth=1
	v_mul_lo_u32 v84, v86, s9
	s_delay_alu instid0(VALU_DEP_1) | instskip(NEXT) | instid1(VALU_DEP_1)
	v_add3_u32 v84, v84, s4, v81
	v_ashrrev_i32_e32 v85, 31, v84
	s_delay_alu instid0(VALU_DEP_1) | instskip(NEXT) | instid1(VALU_DEP_1)
	v_lshlrev_b64 v[84:85], 2, v[84:85]
	v_add_co_u32 v84, vcc_lo, s14, v84
	s_delay_alu instid0(VALU_DEP_2)
	v_add_co_ci_u32_e32 v85, vcc_lo, s18, v85, vcc_lo
	global_load_b64 v[84:85], v[84:85], off
	s_branch .LBB46_34
.LBB46_68:
	s_or_b32 exec_lo, exec_lo, s19
.LBB46_69:
	s_delay_alu instid0(SALU_CYCLE_1) | instskip(SKIP_4) | instid1(VALU_DEP_3)
	s_or_b32 exec_lo, exec_lo, s11
	v_lshrrev_b32_e32 v16, 2, v80
	s_movk_i32 s0, 0x390
	v_lshlrev_b32_e32 v17, 2, v91
	v_mad_u32_u24 v18, v92, s0, 0x100
	v_and_b32_e32 v16, 0xfc, v16
	s_barrier
	buffer_gl0_inv
	s_mov_b32 s0, exec_lo
	v_add3_u32 v17, v18, v16, v17
	v_lshl_add_u32 v16, v80, 2, 0x100
	ds_store_2addr_b32 v17, v8, v9 offset0:16 offset1:18
	ds_store_2addr_b32 v17, v10, v11 offset0:20 offset1:22
	;; [unrolled: 1-line block ×7, first 2 shown]
	v_mad_u32_u24 v8, 0x390, v88, v16
	ds_store_2addr_b32 v17, v6, v7 offset0:44 offset1:46
	s_waitcnt lgkmcnt(0)
	s_barrier
	buffer_gl0_inv
	ds_load_2addr_b32 v[4:5], v8 offset0:16 offset1:48
	ds_load_2addr_b32 v[2:3], v8 offset0:80 offset1:112
	;; [unrolled: 1-line block ×3, first 2 shown]
	ds_load_b32 v7, v8 offset:832
	v_mov_b32_e32 v8, -1
	v_cmpx_gt_u32_e32 11, v88
	s_cbranch_execz .LBB46_71
; %bb.70:
	ds_load_b32 v8, v89
.LBB46_71:
	s_or_b32 exec_lo, exec_lo, s0
	s_mul_hi_i32 s5, s26, s15
	s_mul_i32 s4, s26, s15
	s_mul_hi_i32 s7, s12, s21
	s_lshl_b64 s[4:5], s[4:5], 2
	s_mul_i32 s6, s12, s21
	s_waitcnt lgkmcnt(0)
	v_cmp_lt_i32_e32 vcc_lo, -1, v8
	s_add_u32 s0, s22, s4
	s_addc_u32 s8, s23, s5
	s_lshl_b64 s[4:5], s[6:7], 2
	v_add_nc_u32_e32 v6, s1, v80
	s_add_u32 s0, s0, s4
	s_addc_u32 s1, s8, s5
	s_and_b32 s4, vcc_lo, s2
	s_delay_alu instid0(SALU_CYCLE_1)
	s_and_saveexec_b32 s2, s4
	s_cbranch_execz .LBB46_73
; %bb.72:
	v_add_f32_e32 v4, 0, v4
	s_delay_alu instid0(VALU_DEP_1) | instskip(SKIP_1) | instid1(VALU_DEP_2)
	v_add_f32_e32 v4, v4, v5
	v_mul_lo_u32 v5, v88, s21
	v_add_f32_e32 v2, v4, v2
	v_mul_lo_u32 v4, v8, s10
	s_delay_alu instid0(VALU_DEP_2) | instskip(NEXT) | instid1(VALU_DEP_1)
	v_dual_add_f32 v2, v2, v3 :: v_dual_mov_b32 v3, 0
	v_add_f32_e32 v0, v2, v0
	s_delay_alu instid0(VALU_DEP_3) | instskip(NEXT) | instid1(VALU_DEP_2)
	v_add3_u32 v2, v6, v5, v4
	v_add_f32_e32 v4, v0, v1
	s_delay_alu instid0(VALU_DEP_2) | instskip(NEXT) | instid1(VALU_DEP_2)
	v_lshlrev_b64 v[0:1], 2, v[2:3]
	v_add_f32_e32 v2, v4, v7
	s_delay_alu instid0(VALU_DEP_2) | instskip(NEXT) | instid1(VALU_DEP_3)
	v_add_co_u32 v0, vcc_lo, s0, v0
	v_add_co_ci_u32_e32 v1, vcc_lo, s1, v1, vcc_lo
	global_store_b32 v[0:1], v2, off
.LBB46_73:
	s_or_b32 exec_lo, exec_lo, s2
	v_cmp_gt_u32_e32 vcc_lo, 4, v88
	s_and_b32 exec_lo, exec_lo, vcc_lo
	s_cbranch_execz .LBB46_76
; %bb.74:
	ds_load_b32 v0, v89 offset:28
	s_waitcnt lgkmcnt(0)
	v_cmp_lt_i32_e32 vcc_lo, -1, v0
	s_and_b32 s2, vcc_lo, s3
	s_delay_alu instid0(SALU_CYCLE_1)
	s_and_b32 exec_lo, exec_lo, s2
	s_cbranch_execz .LBB46_76
; %bb.75:
	v_mul_u32_u24_e32 v1, 0x390, v88
	v_mul_lo_u32 v0, v0, s10
	s_delay_alu instid0(VALU_DEP_2) | instskip(NEXT) | instid1(VALU_DEP_1)
	v_add_nc_u32_e32 v5, v1, v16
	v_add_nc_u32_e32 v7, 0x1800, v5
	ds_load_2addr_b32 v[1:2], v7 offset0:76 offset1:108
	ds_load_2addr_b32 v[3:4], v7 offset0:140 offset1:172
	;; [unrolled: 1-line block ×3, first 2 shown]
	s_waitcnt lgkmcnt(2)
	v_add_f32_e32 v1, 0, v1
	s_delay_alu instid0(VALU_DEP_1) | instskip(SKIP_1) | instid1(VALU_DEP_1)
	v_add_f32_e32 v1, v1, v2
	s_waitcnt lgkmcnt(1)
	v_add_f32_e32 v1, v1, v3
	v_mul_lo_u32 v3, v90, s21
	s_delay_alu instid0(VALU_DEP_2) | instskip(NEXT) | instid1(VALU_DEP_2)
	v_dual_add_f32 v4, v1, v4 :: v_dual_mov_b32 v1, 0
	v_add3_u32 v0, v6, v3, v0
	s_waitcnt lgkmcnt(0)
	s_delay_alu instid0(VALU_DEP_2) | instskip(SKIP_3) | instid1(VALU_DEP_2)
	v_add_f32_e32 v4, v4, v7
	ds_load_b32 v2, v5 offset:7216
	v_lshlrev_b64 v[0:1], 2, v[0:1]
	v_add_f32_e32 v3, v4, v8
	v_add_co_u32 v0, vcc_lo, s0, v0
	s_delay_alu instid0(VALU_DEP_3) | instskip(SKIP_1) | instid1(VALU_DEP_3)
	v_add_co_ci_u32_e32 v1, vcc_lo, s1, v1, vcc_lo
	s_waitcnt lgkmcnt(0)
	v_add_f32_e32 v2, v3, v2
	global_store_b32 v[0:1], v2, off
.LBB46_76:
	s_nop 0
	s_sendmsg sendmsg(MSG_DEALLOC_VGPRS)
	s_endpgm
	.section	.rodata,"a",@progbits
	.p2align	6, 0x0
	.amdhsa_kernel _ZL9mul_mat_fI7__half2Li32ELi11ELi7ELb1EEvPKT_PKfPKiPfiiiiiiiiiiiiiiii
		.amdhsa_group_segment_fixed_size 256
		.amdhsa_private_segment_fixed_size 0
		.amdhsa_kernarg_size 352
		.amdhsa_user_sgpr_count 13
		.amdhsa_user_sgpr_dispatch_ptr 0
		.amdhsa_user_sgpr_queue_ptr 0
		.amdhsa_user_sgpr_kernarg_segment_ptr 1
		.amdhsa_user_sgpr_dispatch_id 0
		.amdhsa_user_sgpr_private_segment_size 0
		.amdhsa_wavefront_size32 1
		.amdhsa_uses_dynamic_stack 0
		.amdhsa_enable_private_segment 0
		.amdhsa_system_sgpr_workgroup_id_x 1
		.amdhsa_system_sgpr_workgroup_id_y 1
		.amdhsa_system_sgpr_workgroup_id_z 1
		.amdhsa_system_sgpr_workgroup_info 0
		.amdhsa_system_vgpr_workitem_id 2
		.amdhsa_next_free_vgpr 122
		.amdhsa_next_free_sgpr 73
		.amdhsa_reserve_vcc 1
		.amdhsa_float_round_mode_32 0
		.amdhsa_float_round_mode_16_64 0
		.amdhsa_float_denorm_mode_32 3
		.amdhsa_float_denorm_mode_16_64 3
		.amdhsa_dx10_clamp 1
		.amdhsa_ieee_mode 1
		.amdhsa_fp16_overflow 0
		.amdhsa_workgroup_processor_mode 1
		.amdhsa_memory_ordered 1
		.amdhsa_forward_progress 0
		.amdhsa_shared_vgpr_count 0
		.amdhsa_exception_fp_ieee_invalid_op 0
		.amdhsa_exception_fp_denorm_src 0
		.amdhsa_exception_fp_ieee_div_zero 0
		.amdhsa_exception_fp_ieee_overflow 0
		.amdhsa_exception_fp_ieee_underflow 0
		.amdhsa_exception_fp_ieee_inexact 0
		.amdhsa_exception_int_div_zero 0
	.end_amdhsa_kernel
	.section	.text._ZL9mul_mat_fI7__half2Li32ELi11ELi7ELb1EEvPKT_PKfPKiPfiiiiiiiiiiiiiiii,"axG",@progbits,_ZL9mul_mat_fI7__half2Li32ELi11ELi7ELb1EEvPKT_PKfPKiPfiiiiiiiiiiiiiiii,comdat
.Lfunc_end46:
	.size	_ZL9mul_mat_fI7__half2Li32ELi11ELi7ELb1EEvPKT_PKfPKiPfiiiiiiiiiiiiiiii, .Lfunc_end46-_ZL9mul_mat_fI7__half2Li32ELi11ELi7ELb1EEvPKT_PKfPKiPfiiiiiiiiiiiiiiii
                                        ; -- End function
	.section	.AMDGPU.csdata,"",@progbits
; Kernel info:
; codeLenInByte = 6252
; NumSgprs: 75
; NumVgprs: 122
; ScratchSize: 0
; MemoryBound: 0
; FloatMode: 240
; IeeeMode: 1
; LDSByteSize: 256 bytes/workgroup (compile time only)
; SGPRBlocks: 9
; VGPRBlocks: 15
; NumSGPRsForWavesPerEU: 75
; NumVGPRsForWavesPerEU: 122
; Occupancy: 10
; WaveLimiterHint : 0
; COMPUTE_PGM_RSRC2:SCRATCH_EN: 0
; COMPUTE_PGM_RSRC2:USER_SGPR: 13
; COMPUTE_PGM_RSRC2:TRAP_HANDLER: 0
; COMPUTE_PGM_RSRC2:TGID_X_EN: 1
; COMPUTE_PGM_RSRC2:TGID_Y_EN: 1
; COMPUTE_PGM_RSRC2:TGID_Z_EN: 1
; COMPUTE_PGM_RSRC2:TIDIG_COMP_CNT: 2
	.section	.text._ZL9mul_mat_fI7__half2Li32ELi11ELi7ELb0EEvPKT_PKfPKiPfiiiiiiiiiiiiiiii,"axG",@progbits,_ZL9mul_mat_fI7__half2Li32ELi11ELi7ELb0EEvPKT_PKfPKiPfiiiiiiiiiiiiiiii,comdat
	.globl	_ZL9mul_mat_fI7__half2Li32ELi11ELi7ELb0EEvPKT_PKfPKiPfiiiiiiiiiiiiiiii ; -- Begin function _ZL9mul_mat_fI7__half2Li32ELi11ELi7ELb0EEvPKT_PKfPKiPfiiiiiiiiiiiiiiii
	.p2align	8
	.type	_ZL9mul_mat_fI7__half2Li32ELi11ELi7ELb0EEvPKT_PKfPKiPfiiiiiiiiiiiiiiii,@function
_ZL9mul_mat_fI7__half2Li32ELi11ELi7ELb0EEvPKT_PKfPKiPfiiiiiiiiiiiiiiii: ; @_ZL9mul_mat_fI7__half2Li32ELi11ELi7ELb0EEvPKT_PKfPKiPfiiiiiiiiiiiiiiii
; %bb.0:
	s_clause 0x2
	s_load_b256 s[4:11], s[0:1], 0x40
	s_load_b32 s22, s[0:1], 0x20
	s_load_b128 s[16:19], s[0:1], 0x2c
	v_bfe_u32 v72, v0, 10, 10
	v_and_b32_e32 v73, 0x3ff, v0
	s_mov_b32 s12, 0
	s_ashr_i32 s24, s15, 31
	s_waitcnt lgkmcnt(0)
	s_mov_b32 s19, exec_lo
	v_and_b32_e32 v75, 15, v73
	s_abs_i32 s2, s4
	s_abs_i32 s23, s8
	v_cvt_f32_u32_e32 v1, s2
	v_cvt_f32_u32_e32 v2, s23
	s_delay_alu instid0(VALU_DEP_2) | instskip(NEXT) | instid1(VALU_DEP_1)
	v_rcp_iflag_f32_e32 v1, v1
	v_rcp_iflag_f32_e32 v2, v2
	v_lshlrev_b32_e32 v74, 5, v72
	s_waitcnt_depctr 0xfff
	v_dual_mul_f32 v0, 0x4f7ffffe, v1 :: v_dual_mul_f32 v1, 0x4f7ffffe, v2
	v_add_nc_u32_e32 v76, v74, v73
	s_delay_alu instid0(VALU_DEP_2) | instskip(NEXT) | instid1(VALU_DEP_3)
	v_cvt_u32_f32_e32 v0, v0
	v_cvt_u32_f32_e32 v1, v1
	s_delay_alu instid0(VALU_DEP_2) | instskip(NEXT) | instid1(VALU_DEP_2)
	v_readfirstlane_b32 s25, v0
	v_readfirstlane_b32 s3, v1
	v_cmpx_le_i32_e64 s22, v76
	s_xor_b32 s19, exec_lo, s19
; %bb.1:
	v_and_b32_e32 v75, 15, v73
                                        ; implicit-def: $vgpr76
; %bb.2:
	s_or_saveexec_b32 s19, s19
	s_load_b64 s[20:21], s[0:1], 0x18
	v_dual_mov_b32 v15, s12 :: v_dual_mov_b32 v14, s12
	v_dual_mov_b32 v13, s12 :: v_dual_mov_b32 v12, s12
	;; [unrolled: 1-line block ×8, first 2 shown]
	s_lshl_b32 s12, s13, 5
	s_xor_b32 exec_lo, exec_lo, s19
	s_cbranch_execz .LBB47_6
; %bb.3:
	s_sub_i32 s13, 0, s2
	s_sub_i32 s26, 0, s23
	s_mul_i32 s13, s13, s25
	s_mul_i32 s26, s26, s3
	s_mul_hi_u32 s13, s25, s13
	s_mul_hi_u32 s26, s3, s26
	s_abs_i32 s27, s14
	s_add_i32 s25, s25, s13
	s_add_i32 s26, s3, s26
	s_mul_hi_u32 s3, s27, s25
	s_ashr_i32 s25, s14, 31
	s_ashr_i32 s4, s4, 31
	s_mul_i32 s28, s3, s2
	s_xor_b32 s4, s25, s4
	s_sub_i32 s25, s27, s28
	s_abs_i32 s13, s15
	s_ashr_i32 s8, s8, 31
	s_add_i32 s27, s3, 1
	s_sub_i32 s28, s25, s2
	s_cmp_ge_u32 s25, s2
	s_mul_hi_u32 s26, s13, s26
	s_cselect_b32 s3, s27, s3
	s_cselect_b32 s25, s28, s25
	s_add_i32 s27, s3, 1
	s_cmp_ge_u32 s25, s2
	s_mul_i32 s28, s14, s6
	s_cselect_b32 s25, s27, s3
	s_load_b128 s[0:3], s[0:1], 0x0
	s_xor_b32 s25, s25, s4
	s_xor_b32 s8, s24, s8
	s_sub_i32 s4, s25, s4
	s_mul_i32 s25, s26, s23
	s_add_i32 s24, s26, 1
	s_sub_i32 s13, s13, s25
	s_mul_i32 s4, s4, s5
	s_sub_i32 s25, s13, s23
	s_cmp_ge_u32 s13, s23
	s_mul_hi_i32 s27, s10, s15
	s_cselect_b32 s24, s24, s26
	s_cselect_b32 s13, s25, s13
	s_add_i32 s25, s24, 1
	s_cmp_ge_u32 s13, s23
	s_mul_i32 s26, s10, s15
	s_cselect_b32 s13, s25, s24
	s_ashr_i32 s5, s4, 31
	s_xor_b32 s13, s13, s8
	v_lshlrev_b32_e32 v3, 7, v72
	s_sub_i32 s8, s13, s8
	v_mad_u32_u24 v1, 0x900, v72, 0
	s_mul_hi_i32 s25, s8, s9
	s_mul_i32 s24, s8, s9
	s_mul_i32 s8, s12, s16
	s_lshl_b64 s[24:25], s[24:25], 2
	v_dual_mov_b32 v79, 0 :: v_dual_lshlrev_b32 v0, 2, v73
	s_waitcnt lgkmcnt(0)
	s_add_u32 s13, s0, s24
	s_addc_u32 s23, s1, s25
	s_ashr_i32 s9, s8, 31
	s_lshl_b64 s[4:5], s[4:5], 2
	s_lshl_b64 s[8:9], s[8:9], 2
	v_lshlrev_b32_e32 v5, 8, v72
	s_add_u32 s30, s4, s8
	s_addc_u32 s31, s5, s9
	s_add_u32 s6, s30, s13
	s_addc_u32 s8, s31, s23
	s_ashr_i32 s29, s28, 31
	s_lshl_b64 s[4:5], s[26:27], 2
	s_lshl_b64 s[26:27], s[28:29], 2
	v_add_nc_u32_e32 v77, v1, v0
	s_add_u32 s13, s2, s26
	s_addc_u32 s23, s3, s27
	s_add_u32 s9, s13, s4
	s_addc_u32 s10, s23, s5
	s_ashr_i32 s3, s16, 31
	s_mov_b32 s2, s16
	s_ashr_i32 s27, s17, 31
	s_lshl_b64 s[2:3], s[2:3], 2
	s_add_u32 s24, s30, s24
	s_addc_u32 s25, s31, s25
	v_add_co_u32 v3, s24, s24, v3
	s_delay_alu instid0(VALU_DEP_1) | instskip(SKIP_1) | instid1(VALU_DEP_3)
	v_add_co_ci_u32_e64 v4, null, s25, 0, s24
	v_lshlrev_b32_e32 v6, 3, v73
	v_add_co_u32 v0, vcc_lo, v3, v0
	s_delay_alu instid0(VALU_DEP_3) | instskip(SKIP_1) | instid1(VALU_DEP_3)
	v_add_co_ci_u32_e32 v3, vcc_lo, 0, v4, vcc_lo
	v_add_co_u32 v4, s4, s4, v5
	v_add_co_u32 v16, vcc_lo, s0, v0
	v_add_co_ci_u32_e64 v5, null, s5, 0, s4
	s_delay_alu instid0(VALU_DEP_4) | instskip(NEXT) | instid1(VALU_DEP_4)
	v_add_co_ci_u32_e32 v17, vcc_lo, s1, v3, vcc_lo
	v_add_co_u32 v0, vcc_lo, v4, v6
	s_delay_alu instid0(VALU_DEP_3) | instskip(SKIP_1) | instid1(VALU_DEP_3)
	v_add_co_ci_u32_e32 v3, vcc_lo, 0, v5, vcc_lo
	v_mul_u32_u24_e32 v2, 0x90, v75
	v_add_co_u32 v18, vcc_lo, s13, v0
	v_mov_b32_e32 v0, 0
	s_delay_alu instid0(VALU_DEP_4) | instskip(NEXT) | instid1(VALU_DEP_4)
	v_add_co_ci_u32_e32 v19, vcc_lo, s23, v3, vcc_lo
	v_add_nc_u32_e32 v78, v1, v2
	s_mov_b32 s26, s17
	s_delay_alu instid0(VALU_DEP_3)
	v_mov_b32_e32 v3, v0
	v_mov_b32_e32 v1, v0
	;; [unrolled: 1-line block ×15, first 2 shown]
	s_lshl_b64 s[4:5], s[26:27], 3
	s_mul_i32 s1, s16, 31
	s_lshl_b32 s13, s17, 1
	s_mul_i32 s23, s17, 3
	s_lshl_b32 s24, s17, 2
	s_mul_i32 s25, s17, 5
	s_mul_i32 s26, s17, 6
	;; [unrolled: 1-line block ×3, first 2 shown]
	s_lshl_b32 s28, s17, 3
	s_mul_i32 s29, s17, 9
	s_mul_i32 s17, s17, 10
	s_lshl_b32 s30, s16, 1
	s_mul_i32 s31, s16, 3
	s_lshl_b32 s33, s16, 2
	s_mul_i32 s34, s16, 5
	s_mul_i32 s35, s16, 6
	s_mul_i32 s36, s16, 7
	s_lshl_b32 s37, s16, 3
	s_mul_i32 s38, s16, 9
	s_mul_i32 s39, s16, 10
	;; [unrolled: 1-line block ×7, first 2 shown]
	s_lshl_b32 s45, s16, 4
	s_mul_i32 s46, s16, 17
	s_mul_i32 s47, s16, 18
	s_mul_i32 s48, s16, 19
	s_mul_i32 s49, s16, 20
	s_mul_i32 s50, s16, 21
	s_mul_i32 s51, s16, 22
	s_mul_i32 s52, s16, 23
	s_mul_i32 s53, s16, 24
	s_mul_i32 s54, s16, 25
	s_mul_i32 s55, s16, 26
	s_mul_i32 s56, s16, 27
	s_mul_i32 s57, s16, 28
	s_mul_i32 s58, s16, 29
	s_mul_i32 s59, s16, 30
	s_mov_b32 s16, 0
.LBB47_4:                               ; =>This Inner Loop Header: Depth=1
	v_add_nc_u32_e32 v20, s30, v76
	v_add_nc_u32_e32 v22, s31, v76
	;; [unrolled: 1-line block ×4, first 2 shown]
	v_add_co_u32 v106, vcc_lo, v16, s2
	v_ashrrev_i32_e32 v21, 31, v20
	v_ashrrev_i32_e32 v23, 31, v22
	;; [unrolled: 1-line block ×3, first 2 shown]
	v_add_nc_u32_e32 v28, s35, v76
	v_add_co_ci_u32_e32 v107, vcc_lo, s3, v17, vcc_lo
	v_lshlrev_b64 v[20:21], 2, v[20:21]
	v_add_co_u32 v110, vcc_lo, v18, s4
	v_lshlrev_b64 v[22:23], 2, v[22:23]
	v_ashrrev_i32_e32 v27, 31, v26
	v_add_nc_u32_e32 v30, s36, v76
	v_add_co_ci_u32_e32 v111, vcc_lo, s5, v19, vcc_lo
	v_lshlrev_b64 v[24:25], 2, v[24:25]
	v_add_co_u32 v20, vcc_lo, s6, v20
	v_ashrrev_i32_e32 v29, 31, v28
	v_add_nc_u32_e32 v32, s37, v76
	v_add_co_ci_u32_e32 v21, vcc_lo, s8, v21, vcc_lo
	v_lshlrev_b64 v[26:27], 2, v[26:27]
	v_add_co_u32 v22, vcc_lo, s6, v22
	;; [unrolled: 5-line block ×34, first 2 shown]
	v_ashrrev_i32_e32 v103, 31, v102
	v_add_co_ci_u32_e32 v95, vcc_lo, s10, v95, vcc_lo
	v_lshlrev_b64 v[100:101], 3, v[100:101]
	v_add_co_u32 v96, vcc_lo, s9, v96
	v_ashrrev_i32_e32 v105, 31, v104
	v_add_co_ci_u32_e32 v97, vcc_lo, s10, v97, vcc_lo
	v_lshlrev_b64 v[102:103], 3, v[102:103]
	v_add_co_u32 v98, vcc_lo, s9, v98
	v_add_co_ci_u32_e32 v99, vcc_lo, s10, v99, vcc_lo
	global_load_b64 v[108:109], v[18:19], off
	global_load_b32 v112, v[16:17], off
	v_lshlrev_b64 v[104:105], 3, v[104:105]
	v_add_co_u32 v100, vcc_lo, s9, v100
	v_add_co_ci_u32_e32 v101, vcc_lo, s10, v101, vcc_lo
	global_load_b32 v113, v[106:107], off
	global_load_b64 v[106:107], v[110:111], off
	v_add_co_u32 v102, vcc_lo, s9, v102
	v_add_co_ci_u32_e32 v103, vcc_lo, s10, v103, vcc_lo
	v_add_co_u32 v104, vcc_lo, s9, v104
	v_add_co_ci_u32_e32 v105, vcc_lo, s10, v105, vcc_lo
	s_clause 0xd
	global_load_b32 v110, v[20:21], off
	global_load_b32 v111, v[22:23], off
	;; [unrolled: 1-line block ×14, first 2 shown]
	s_clause 0x8
	global_load_b64 v[20:21], v[88:89], off
	global_load_b64 v[22:23], v[90:91], off
	;; [unrolled: 1-line block ×9, first 2 shown]
	s_clause 0xf
	global_load_b32 v88, v[48:49], off
	global_load_b32 v89, v[50:51], off
	;; [unrolled: 1-line block ×16, first 2 shown]
	v_add_nc_u32_e32 v76, 0xe0, v76
	v_add_co_u32 v16, vcc_lo, 0x380, v16
	v_add_co_ci_u32_e32 v17, vcc_lo, 0, v17, vcc_lo
	v_add_co_u32 v18, vcc_lo, 0x700, v18
	s_delay_alu instid0(VALU_DEP_4) | instskip(SKIP_1) | instid1(VALU_DEP_2)
	v_cmp_le_i32_e64 s0, s22, v76
	v_add_co_ci_u32_e32 v19, vcc_lo, 0, v19, vcc_lo
	s_or_b32 s16, s0, s16
	s_waitcnt vmcnt(24)
	v_cvt_f16_f32_e32 v70, v20
	v_cvt_f16_f32_e32 v71, v21
	s_waitcnt vmcnt(23)
	v_cvt_f16_f32_e32 v96, v22
	v_cvt_f16_f32_e32 v97, v23
	;; [unrolled: 3-line block ×4, first 2 shown]
	v_cvt_f16_f32_e32 v43, v108
	v_cvt_f16_f32_e32 v44, v109
	ds_store_b32 v77, v112
	s_waitcnt vmcnt(20)
	v_cvt_f16_f32_e32 v102, v28
	v_cvt_f16_f32_e32 v103, v29
	s_waitcnt vmcnt(19)
	v_cvt_f16_f32_e32 v104, v30
	ds_store_b32 v77, v113 offset:144
	v_cvt_f16_f32_e32 v45, v106
	v_cvt_f16_f32_e32 v46, v107
	v_pack_b32_f16 v68, v43, v44
	ds_store_b32 v77, v110 offset:288
	ds_store_b32 v77, v111 offset:432
	;; [unrolled: 1-line block ×14, first 2 shown]
	v_cvt_f16_f32_e32 v105, v31
	s_waitcnt vmcnt(18)
	v_cvt_f16_f32_e32 v106, v32
	v_pack_b32_f16 v69, v45, v46
	v_cvt_f16_f32_e32 v107, v33
	s_waitcnt vmcnt(17)
	v_cvt_f16_f32_e32 v108, v34
	v_cvt_f16_f32_e32 v109, v35
	s_waitcnt vmcnt(16)
	v_cvt_f16_f32_e32 v110, v36
	v_cvt_f16_f32_e32 v111, v37
	ds_load_b128 v[20:23], v78
	ds_load_b128 v[24:27], v78 offset:16
	ds_load_b128 v[28:31], v78 offset:32
	;; [unrolled: 1-line block ×7, first 2 shown]
	s_waitcnt vmcnt(15)
	ds_store_b32 v77, v88
	s_waitcnt vmcnt(14)
	ds_store_b32 v77, v89 offset:144
	s_waitcnt vmcnt(13)
	ds_store_b32 v77, v52 offset:288
	;; [unrolled: 2-line block ×15, first 2 shown]
	ds_load_b128 v[52:55], v78
	ds_load_b128 v[56:59], v78 offset:16
	ds_load_b128 v[60:63], v78 offset:32
	;; [unrolled: 1-line block ×7, first 2 shown]
	ds_store_b32 v77, v68
	v_pack_b32_f16 v68, v70, v71
	v_pack_b32_f16 v70, v96, v97
	;; [unrolled: 1-line block ×9, first 2 shown]
	ds_store_b32 v77, v69 offset:144
	ds_store_b32 v77, v68 offset:288
	;; [unrolled: 1-line block ×15, first 2 shown]
	ds_load_b128 v[96:99], v78
	ds_load_b128 v[100:103], v78 offset:16
	ds_load_b128 v[104:107], v78 offset:32
	;; [unrolled: 1-line block ×5, first 2 shown]
	s_waitcnt lgkmcnt(4)
	v_wmma_f32_16x16x16_f16 v[8:15], v[20:27], v[96:103], v[8:15]
	ds_load_b128 v[20:23], v78 offset:96
	ds_load_b128 v[24:27], v78 offset:112
	v_wmma_f32_16x16x16_f16 v[0:7], v[52:59], v[96:103], v[0:7]
	s_waitcnt lgkmcnt(4)
	v_wmma_f32_16x16x16_f16 v[8:15], v[28:35], v[104:111], v[8:15]
	s_delay_alu instid0(VALU_DEP_2) | instskip(SKIP_1) | instid1(VALU_DEP_2)
	v_wmma_f32_16x16x16_f16 v[0:7], v[60:67], v[104:111], v[0:7]
	s_waitcnt lgkmcnt(2)
	v_wmma_f32_16x16x16_f16 v[8:15], v[36:43], v[112:119], v[8:15]
	s_delay_alu instid0(VALU_DEP_2) | instskip(SKIP_1) | instid1(VALU_DEP_2)
	v_wmma_f32_16x16x16_f16 v[0:7], v[80:87], v[112:119], v[0:7]
	s_waitcnt lgkmcnt(0)
	v_wmma_f32_16x16x16_f16 v[8:15], v[44:51], v[20:27], v[8:15]
	s_delay_alu instid0(VALU_DEP_2)
	v_wmma_f32_16x16x16_f16 v[0:7], v[88:95], v[20:27], v[0:7]
	s_and_not1_b32 exec_lo, exec_lo, s16
	s_cbranch_execnz .LBB47_4
; %bb.5:
	s_or_b32 exec_lo, exec_lo, s16
.LBB47_6:
	s_delay_alu instid0(SALU_CYCLE_1)
	s_or_b32 exec_lo, exec_lo, s19
	v_lshrrev_b32_e32 v16, 2, v73
	v_mad_u32_u24 v17, 0x390, v75, 0
	v_lshlrev_b32_e32 v18, 2, v74
	s_waitcnt lgkmcnt(0)
	s_barrier
	v_and_b32_e32 v16, 0xfc, v16
	buffer_gl0_inv
	s_mul_hi_i32 s1, s11, s15
	s_mul_i32 s0, s11, s15
	s_mul_i32 s2, s14, s7
	v_add3_u32 v17, v17, v16, v18
	v_lshl_add_u32 v16, v73, 2, 0
	s_lshl_b64 s[0:1], s[0:1], 2
	ds_store_2addr_b32 v17, v8, v9 offset1:2
	ds_store_2addr_b32 v17, v10, v11 offset0:4 offset1:6
	ds_store_2addr_b32 v17, v12, v13 offset0:8 offset1:10
	ds_store_2addr_b32 v17, v14, v15 offset0:12 offset1:14
	ds_store_2addr_b32 v17, v0, v1 offset0:16 offset1:18
	ds_store_2addr_b32 v17, v2, v3 offset0:20 offset1:22
	ds_store_2addr_b32 v17, v4, v5 offset0:24 offset1:26
	v_mad_u32_u24 v8, 0x390, v72, v16
	ds_store_2addr_b32 v17, v6, v7 offset0:28 offset1:30
	s_waitcnt lgkmcnt(0)
	s_barrier
	buffer_gl0_inv
	ds_load_2addr_b32 v[0:1], v8 offset1:32
	ds_load_2addr_b32 v[2:3], v8 offset0:64 offset1:96
	ds_load_2addr_b32 v[4:5], v8 offset0:128 offset1:160
	ds_load_b32 v6, v8 offset:768
	s_add_u32 s4, s20, s0
	s_addc_u32 s5, s21, s1
	s_ashr_i32 s3, s2, 31
	s_delay_alu instid0(SALU_CYCLE_1)
	s_lshl_b64 s[0:1], s[2:3], 2
	s_mov_b32 s2, exec_lo
	s_add_u32 s0, s4, s0
	s_addc_u32 s1, s5, s1
	s_waitcnt lgkmcnt(3)
	v_add_f32_e32 v0, 0, v0
	s_delay_alu instid0(VALU_DEP_1) | instskip(SKIP_1) | instid1(VALU_DEP_1)
	v_dual_add_f32 v0, v0, v1 :: v_dual_mov_b32 v1, 0
	s_waitcnt lgkmcnt(2)
	v_add_f32_e32 v0, v0, v2
	v_mul_lo_u32 v2, v72, s18
	s_delay_alu instid0(VALU_DEP_2) | instskip(SKIP_1) | instid1(VALU_DEP_1)
	v_add_f32_e32 v0, v0, v3
	s_waitcnt lgkmcnt(1)
	v_add_f32_e32 v3, v0, v4
	s_delay_alu instid0(VALU_DEP_3) | instskip(NEXT) | instid1(VALU_DEP_2)
	v_add3_u32 v0, s12, v73, v2
	v_add_f32_e32 v4, v3, v5
	s_delay_alu instid0(VALU_DEP_2) | instskip(SKIP_1) | instid1(VALU_DEP_2)
	v_lshlrev_b64 v[2:3], 2, v[0:1]
	s_waitcnt lgkmcnt(0)
	v_add_f32_e32 v4, v4, v6
	s_delay_alu instid0(VALU_DEP_2) | instskip(NEXT) | instid1(VALU_DEP_3)
	v_add_co_u32 v2, vcc_lo, s0, v2
	v_add_co_ci_u32_e32 v3, vcc_lo, s1, v3, vcc_lo
	global_store_b32 v[2:3], v4, off
	v_cmpx_gt_u32_e32 4, v72
	s_cbranch_execz .LBB47_8
; %bb.7:
	v_mul_u32_u24_e32 v2, 0x390, v72
	s_delay_alu instid0(VALU_DEP_1) | instskip(NEXT) | instid1(VALU_DEP_1)
	v_add_nc_u32_e32 v8, v2, v16
	v_add_nc_u32_e32 v6, 0x1800, v8
	ds_load_2addr_b32 v[2:3], v6 offset0:60 offset1:92
	ds_load_2addr_b32 v[4:5], v6 offset0:124 offset1:156
	;; [unrolled: 1-line block ×3, first 2 shown]
	s_waitcnt lgkmcnt(2)
	v_add_f32_e32 v2, 0, v2
	s_delay_alu instid0(VALU_DEP_1) | instskip(SKIP_1) | instid1(VALU_DEP_1)
	v_add_f32_e32 v2, v2, v3
	s_waitcnt lgkmcnt(1)
	v_add_f32_e32 v2, v2, v4
	s_delay_alu instid0(VALU_DEP_1)
	v_add_f32_e32 v4, v2, v5
	v_mad_u64_u32 v[2:3], null, s18, 7, v[0:1]
	v_mov_b32_e32 v3, v1
	ds_load_b32 v8, v8 offset:7152
	s_waitcnt lgkmcnt(1)
	v_add_f32_e32 v0, v4, v6
	s_delay_alu instid0(VALU_DEP_1) | instskip(SKIP_1) | instid1(VALU_DEP_1)
	v_add_f32_e32 v4, v0, v7
	v_lshlrev_b64 v[0:1], 2, v[2:3]
	v_add_co_u32 v0, vcc_lo, s0, v0
	s_delay_alu instid0(VALU_DEP_2)
	v_add_co_ci_u32_e32 v1, vcc_lo, s1, v1, vcc_lo
	s_waitcnt lgkmcnt(0)
	v_add_f32_e32 v2, v4, v8
	global_store_b32 v[0:1], v2, off
.LBB47_8:
	s_nop 0
	s_sendmsg sendmsg(MSG_DEALLOC_VGPRS)
	s_endpgm
	.section	.rodata,"a",@progbits
	.p2align	6, 0x0
	.amdhsa_kernel _ZL9mul_mat_fI7__half2Li32ELi11ELi7ELb0EEvPKT_PKfPKiPfiiiiiiiiiiiiiiii
		.amdhsa_group_segment_fixed_size 0
		.amdhsa_private_segment_fixed_size 0
		.amdhsa_kernarg_size 96
		.amdhsa_user_sgpr_count 13
		.amdhsa_user_sgpr_dispatch_ptr 0
		.amdhsa_user_sgpr_queue_ptr 0
		.amdhsa_user_sgpr_kernarg_segment_ptr 1
		.amdhsa_user_sgpr_dispatch_id 0
		.amdhsa_user_sgpr_private_segment_size 0
		.amdhsa_wavefront_size32 1
		.amdhsa_uses_dynamic_stack 0
		.amdhsa_enable_private_segment 0
		.amdhsa_system_sgpr_workgroup_id_x 1
		.amdhsa_system_sgpr_workgroup_id_y 1
		.amdhsa_system_sgpr_workgroup_id_z 1
		.amdhsa_system_sgpr_workgroup_info 0
		.amdhsa_system_vgpr_workitem_id 1
		.amdhsa_next_free_vgpr 121
		.amdhsa_next_free_sgpr 60
		.amdhsa_reserve_vcc 1
		.amdhsa_float_round_mode_32 0
		.amdhsa_float_round_mode_16_64 0
		.amdhsa_float_denorm_mode_32 3
		.amdhsa_float_denorm_mode_16_64 3
		.amdhsa_dx10_clamp 1
		.amdhsa_ieee_mode 1
		.amdhsa_fp16_overflow 0
		.amdhsa_workgroup_processor_mode 1
		.amdhsa_memory_ordered 1
		.amdhsa_forward_progress 0
		.amdhsa_shared_vgpr_count 0
		.amdhsa_exception_fp_ieee_invalid_op 0
		.amdhsa_exception_fp_denorm_src 0
		.amdhsa_exception_fp_ieee_div_zero 0
		.amdhsa_exception_fp_ieee_overflow 0
		.amdhsa_exception_fp_ieee_underflow 0
		.amdhsa_exception_fp_ieee_inexact 0
		.amdhsa_exception_int_div_zero 0
	.end_amdhsa_kernel
	.section	.text._ZL9mul_mat_fI7__half2Li32ELi11ELi7ELb0EEvPKT_PKfPKiPfiiiiiiiiiiiiiiii,"axG",@progbits,_ZL9mul_mat_fI7__half2Li32ELi11ELi7ELb0EEvPKT_PKfPKiPfiiiiiiiiiiiiiiii,comdat
.Lfunc_end47:
	.size	_ZL9mul_mat_fI7__half2Li32ELi11ELi7ELb0EEvPKT_PKfPKiPfiiiiiiiiiiiiiiii, .Lfunc_end47-_ZL9mul_mat_fI7__half2Li32ELi11ELi7ELb0EEvPKT_PKfPKiPfiiiiiiiiiiiiiiii
                                        ; -- End function
	.section	.AMDGPU.csdata,"",@progbits
; Kernel info:
; codeLenInByte = 3940
; NumSgprs: 62
; NumVgprs: 121
; ScratchSize: 0
; MemoryBound: 0
; FloatMode: 240
; IeeeMode: 1
; LDSByteSize: 0 bytes/workgroup (compile time only)
; SGPRBlocks: 7
; VGPRBlocks: 15
; NumSGPRsForWavesPerEU: 62
; NumVGPRsForWavesPerEU: 121
; Occupancy: 10
; WaveLimiterHint : 0
; COMPUTE_PGM_RSRC2:SCRATCH_EN: 0
; COMPUTE_PGM_RSRC2:USER_SGPR: 13
; COMPUTE_PGM_RSRC2:TRAP_HANDLER: 0
; COMPUTE_PGM_RSRC2:TGID_X_EN: 1
; COMPUTE_PGM_RSRC2:TGID_Y_EN: 1
; COMPUTE_PGM_RSRC2:TGID_Z_EN: 1
; COMPUTE_PGM_RSRC2:TIDIG_COMP_CNT: 1
	.section	.text._ZL13mul_mat_f_idsI7__half2Li32ELi11ELi8EEvPKT_PKfPKiS7_S7_Pfiiiiiiiiiiiiii15HIP_vector_typeIjLj3EESA_,"axG",@progbits,_ZL13mul_mat_f_idsI7__half2Li32ELi11ELi8EEvPKT_PKfPKiS7_S7_Pfiiiiiiiiiiiiii15HIP_vector_typeIjLj3EESA_,comdat
	.globl	_ZL13mul_mat_f_idsI7__half2Li32ELi11ELi8EEvPKT_PKfPKiS7_S7_Pfiiiiiiiiiiiiii15HIP_vector_typeIjLj3EESA_ ; -- Begin function _ZL13mul_mat_f_idsI7__half2Li32ELi11ELi8EEvPKT_PKfPKiS7_S7_Pfiiiiiiiiiiiiii15HIP_vector_typeIjLj3EESA_
	.p2align	8
	.type	_ZL13mul_mat_f_idsI7__half2Li32ELi11ELi8EEvPKT_PKfPKiS7_S7_Pfiiiiiiiiiiiiii15HIP_vector_typeIjLj3EESA_,@function
_ZL13mul_mat_f_idsI7__half2Li32ELi11ELi8EEvPKT_PKfPKiS7_S7_Pfiiiiiiiiiiiiii15HIP_vector_typeIjLj3EESA_: ; @_ZL13mul_mat_f_idsI7__half2Li32ELi11ELi8EEvPKT_PKfPKiS7_S7_Pfiiiiiiiiiiiiii15HIP_vector_typeIjLj3EESA_
; %bb.0:
	s_load_b64 s[4:5], s[0:1], 0x20
	s_mov_b32 s2, s15
	s_ashr_i32 s15, s14, 31
	s_delay_alu instid0(SALU_CYCLE_1)
	s_lshl_b64 s[6:7], s[14:15], 2
	s_waitcnt lgkmcnt(0)
	s_add_u32 s4, s4, s6
	s_addc_u32 s5, s5, s7
	s_load_b64 s[30:31], s[4:5], 0x0
	s_waitcnt lgkmcnt(0)
	s_sub_i32 s33, s31, s30
	s_delay_alu instid0(SALU_CYCLE_1) | instskip(NEXT) | instid1(SALU_CYCLE_1)
	s_add_i32 s3, s33, 10
	s_mul_hi_i32 s3, s3, 0x2e8ba2e9
	s_delay_alu instid0(SALU_CYCLE_1) | instskip(SKIP_1) | instid1(SALU_CYCLE_1)
	s_lshr_b32 s4, s3, 31
	s_ashr_i32 s3, s3, 1
	s_add_i32 s3, s3, s4
	s_delay_alu instid0(SALU_CYCLE_1)
	s_cmp_ge_i32 s2, s3
	s_cbranch_scc1 .LBB48_47
; %bb.1:
	s_clause 0x4
	s_load_b128 s[8:11], s[0:1], 0x30
	s_load_b64 s[24:25], s[0:1], 0x40
	s_load_b128 s[4:7], s[0:1], 0x4c
	s_load_b128 s[16:19], s[0:1], 0x68
	s_load_b64 s[26:27], s[0:1], 0x78
	v_bfe_u32 v105, v0, 10, 10
	v_and_b32_e32 v106, 0x3ff, v0
	s_ashr_i32 s31, s30, 31
	s_waitcnt lgkmcnt(0)
	s_mov_b32 s7, exec_lo
                                        ; implicit-def: $sgpr3
	v_lshlrev_b32_e32 v107, 5, v105
	v_and_b32_e32 v108, 15, v106
	s_delay_alu instid0(VALU_DEP_2) | instskip(NEXT) | instid1(VALU_DEP_1)
	v_add_nc_u32_e32 v80, v107, v106
	v_cmpx_le_i32_e64 s8, v80
	s_xor_b32 s7, exec_lo, s7
; %bb.2:
	v_and_b32_e32 v108, 15, v106
	s_mov_b32 s3, 0
                                        ; implicit-def: $vgpr80
; %bb.3:
	s_or_saveexec_b32 s36, s7
	s_clause 0x1
	s_load_b64 s[34:35], s[0:1], 0x18
	s_load_b64 s[28:29], s[0:1], 0x28
	v_dual_mov_b32 v7, s3 :: v_dual_mov_b32 v6, s3
	v_dual_mov_b32 v5, s3 :: v_dual_mov_b32 v4, s3
	v_dual_mov_b32 v3, s3 :: v_dual_mov_b32 v2, s3
	v_dual_mov_b32 v1, s3 :: v_dual_mov_b32 v0, s3
	v_dual_mov_b32 v15, s3 :: v_dual_mov_b32 v14, s3
	v_dual_mov_b32 v13, s3 :: v_dual_mov_b32 v12, s3
	v_dual_mov_b32 v11, s3 :: v_dual_mov_b32 v10, s3
	v_dual_mov_b32 v9, s3 :: v_dual_mov_b32 v8, s3
	s_lshl_b32 s7, s13, 5
	s_mul_i32 s2, s2, 11
	s_xor_b32 exec_lo, exec_lo, s36
	s_cbranch_execz .LBB48_40
; %bb.4:
	s_clause 0x1
	s_load_b128 s[20:23], s[0:1], 0x0
	s_load_b64 s[12:13], s[0:1], 0x10
	s_mul_i32 s0, s7, s11
	s_mul_i32 s14, s14, s4
	s_ashr_i32 s1, s0, 31
	s_ashr_i32 s15, s14, 31
	s_lshl_b64 s[0:1], s[0:1], 2
	s_lshl_b64 s[14:15], s[14:15], 2
	v_dual_mov_b32 v8, 0 :: v_dual_lshlrev_b32 v3, 7, v105
	s_add_u32 s0, s14, s0
	s_addc_u32 s47, s15, s1
	v_mad_u32_u24 v0, 0x900, v105, 0
	v_dual_mov_b32 v110, 0 :: v_dual_lshlrev_b32 v1, 2, v106
	v_mul_u32_u24_e32 v2, 0x90, v108
	s_mov_b32 s41, 0
	s_mul_i32 s45, s11, 3
	s_delay_alu instid0(VALU_DEP_2)
	v_dual_mov_b32 v10, v110 :: v_dual_add_nc_u32 v109, v0, v1
	s_waitcnt lgkmcnt(0)
	s_add_u32 s1, s0, s20
	s_addc_u32 s4, s47, s21
	s_lshl_b64 s[14:15], s[30:31], 2
	v_add_co_u32 v3, s0, s0, v3
	s_add_u32 s14, s12, s14
	s_addc_u32 s15, s13, s15
	s_cmp_lt_i32 s2, s33
	v_add_co_ci_u32_e64 v4, null, s47, 0, s0
	s_cselect_b32 s37, -1, 0
	s_ashr_i32 s3, s2, 31
	v_add_co_u32 v1, vcc_lo, v3, v1
	s_lshl_b64 s[12:13], s[2:3], 2
	v_add_co_ci_u32_e32 v3, vcc_lo, 0, v4, vcc_lo
	s_add_u32 s12, s14, s12
	s_addc_u32 s13, s15, s13
	s_add_i32 s3, s2, 1
	v_add_co_u32 v81, vcc_lo, s20, v1
	s_cmp_lt_i32 s3, s33
	v_add_co_ci_u32_e32 v82, vcc_lo, s21, v3, vcc_lo
	s_cselect_b32 s3, -1, 0
	s_add_i32 s14, s2, 2
	v_dual_mov_b32 v12, v110 :: v_dual_add_nc_u32 v111, v0, v2
	s_cmp_lt_i32 s14, s33
	v_dual_mov_b32 v9, v110 :: v_dual_mov_b32 v0, 0
	s_cselect_b32 s38, -1, 0
	s_add_i32 s14, s2, 3
	v_mov_b32_e32 v11, v110
	s_cmp_lt_i32 s14, s33
	v_mov_b32_e32 v13, v110
	s_cselect_b32 s39, -1, 0
	s_add_i32 s14, s2, 4
	v_mov_b32_e32 v14, v110
	s_cmp_lt_i32 s14, s33
	v_mov_b32_e32 v15, v110
	;; [unrolled: 5-line block ×5, first 2 shown]
	s_cselect_b32 s44, -1, 0
	s_add_i32 s15, s2, 8
	v_mov_b32_e32 v7, v110
	s_cmp_lt_i32 s15, s33
	s_mov_b32 s14, s11
	s_cselect_b32 s46, -1, 0
	s_add_i32 s15, s2, 9
	s_mul_i32 s49, s11, 5
	s_cmp_lt_i32 s15, s33
	s_mul_i32 s50, s11, 6
	s_cselect_b32 s47, -1, 0
	s_add_i32 s0, s2, 10
	s_mul_i32 s51, s11, 7
	s_cmp_lt_i32 s0, s33
	s_mul_i32 s53, s11, 9
	s_cselect_b32 s20, -1, 0
	s_ashr_i32 s15, s11, 31
	s_lshl_b32 s21, s11, 1
	s_lshl_b32 s48, s11, 2
	s_lshl_b64 s[14:15], s[14:15], 2
	s_lshl_b32 s52, s11, 3
	s_mul_i32 s54, s11, 10
	s_mul_i32 s55, s11, 11
	;; [unrolled: 1-line block ×6, first 2 shown]
	s_lshl_b32 s60, s11, 4
	s_mul_i32 s61, s11, 17
	s_mul_i32 s62, s11, 18
	;; [unrolled: 1-line block ×15, first 2 shown]
	s_branch .LBB48_6
.LBB48_5:                               ;   in Loop: Header=BB48_6 Depth=1
	s_waitcnt vmcnt(0)
	v_cvt_f16_f32_e32 v83, v83
	v_cvt_f16_f32_e32 v84, v84
	;; [unrolled: 1-line block ×8, first 2 shown]
	v_pack_b32_f16 v83, v83, v84
	v_pack_b32_f16 v84, v87, v88
	v_cvt_f16_f32_e32 v87, v89
	v_cvt_f16_f32_e32 v88, v90
	v_pack_b32_f16 v85, v85, v86
	v_pack_b32_f16 v86, v91, v92
	v_cvt_f16_f32_e32 v89, v95
	v_cvt_f16_f32_e32 v90, v96
	;; [unrolled: 1-line block ×4, first 2 shown]
	ds_store_2addr_b32 v109, v83, v84 offset1:36
	ds_store_2addr_b32 v109, v85, v86 offset0:72 offset1:108
	v_pack_b32_f16 v83, v87, v88
	v_cvt_f16_f32_e32 v86, v99
	v_cvt_f16_f32_e32 v87, v100
	v_pack_b32_f16 v84, v89, v90
	v_pack_b32_f16 v85, v91, v92
	v_cvt_f16_f32_e32 v88, v97
	v_cvt_f16_f32_e32 v89, v98
	;; [unrolled: 1-line block ×6, first 2 shown]
	v_pack_b32_f16 v86, v86, v87
	v_pack_b32_f16 v87, v88, v89
	;; [unrolled: 1-line block ×3, first 2 shown]
	v_add_nc_u32_e32 v89, 0x400, v109
	v_pack_b32_f16 v90, v92, v93
	ds_store_2addr_b32 v109, v83, v84 offset0:144 offset1:180
	v_add_nc_u32_e32 v83, 0x600, v109
	ds_store_2addr_b32 v109, v85, v86 offset0:216 offset1:252
	ds_store_2addr_b32 v89, v87, v88 offset0:32 offset1:68
	;; [unrolled: 1-line block ×5, first 2 shown]
	ds_load_b128 v[83:86], v111
	ds_load_b128 v[87:90], v111 offset:16
	ds_load_b128 v[91:94], v111 offset:32
	;; [unrolled: 1-line block ×5, first 2 shown]
	v_add_nc_u32_e32 v80, 0x100, v80
	v_add_co_u32 v81, s0, 0x400, v81
	s_delay_alu instid0(VALU_DEP_1) | instskip(NEXT) | instid1(VALU_DEP_3)
	v_add_co_ci_u32_e64 v82, s0, 0, v82, s0
	v_cmp_le_i32_e32 vcc_lo, s8, v80
	s_or_b32 s41, vcc_lo, s41
	s_waitcnt lgkmcnt(4)
	v_wmma_f32_16x16x16_f16 v[8:15], v[48:55], v[83:90], v[8:15]
	ds_load_b128 v[48:51], v111 offset:96
	ds_load_b128 v[52:55], v111 offset:112
	v_wmma_f32_16x16x16_f16 v[0:7], v[72:79], v[83:90], v[0:7]
	s_waitcnt lgkmcnt(4)
	v_wmma_f32_16x16x16_f16 v[8:15], v[32:39], v[91:98], v[8:15]
	s_delay_alu instid0(VALU_DEP_2) | instskip(SKIP_1) | instid1(VALU_DEP_2)
	v_wmma_f32_16x16x16_f16 v[0:7], v[64:71], v[91:98], v[0:7]
	s_waitcnt lgkmcnt(2)
	v_wmma_f32_16x16x16_f16 v[8:15], v[24:31], v[112:119], v[8:15]
	s_delay_alu instid0(VALU_DEP_2) | instskip(SKIP_1) | instid1(VALU_DEP_2)
	v_wmma_f32_16x16x16_f16 v[0:7], v[56:63], v[112:119], v[0:7]
	s_waitcnt lgkmcnt(0)
	v_wmma_f32_16x16x16_f16 v[8:15], v[16:23], v[48:55], v[8:15]
	s_delay_alu instid0(VALU_DEP_2)
	v_wmma_f32_16x16x16_f16 v[0:7], v[40:47], v[48:55], v[0:7]
	s_and_not1_b32 exec_lo, exec_lo, s41
	s_cbranch_execz .LBB48_39
.LBB48_6:                               ; =>This Inner Loop Header: Depth=1
	v_dual_mov_b32 v83, 0 :: v_dual_add_nc_u32 v16, s21, v80
	v_add_nc_u32_e32 v22, s48, v80
	v_add_nc_u32_e32 v18, s45, v80
	v_add_co_u32 v20, vcc_lo, v81, s14
	s_delay_alu instid0(VALU_DEP_4)
	v_ashrrev_i32_e32 v17, 31, v16
	v_add_co_ci_u32_e32 v21, vcc_lo, s15, v82, vcc_lo
	v_ashrrev_i32_e32 v23, 31, v22
	v_ashrrev_i32_e32 v19, 31, v18
	v_add_nc_u32_e32 v24, s49, v80
	v_lshlrev_b64 v[16:17], 2, v[16:17]
	s_clause 0x1
	global_load_b32 v38, v[81:82], off
	global_load_b32 v39, v[20:21], off
	v_lshlrev_b64 v[20:21], 2, v[22:23]
	v_add_nc_u32_e32 v22, s50, v80
	v_lshlrev_b64 v[18:19], 2, v[18:19]
	v_ashrrev_i32_e32 v25, 31, v24
	v_add_nc_u32_e32 v26, s51, v80
	v_add_co_u32 v16, vcc_lo, s1, v16
	v_ashrrev_i32_e32 v23, 31, v22
	v_add_co_ci_u32_e32 v17, vcc_lo, s4, v17, vcc_lo
	v_add_nc_u32_e32 v28, s52, v80
	v_add_co_u32 v18, vcc_lo, s1, v18
	v_lshlrev_b64 v[24:25], 2, v[24:25]
	v_ashrrev_i32_e32 v27, 31, v26
	v_add_co_ci_u32_e32 v19, vcc_lo, s4, v19, vcc_lo
	v_add_nc_u32_e32 v30, s53, v80
	v_add_co_u32 v20, vcc_lo, s1, v20
	v_lshlrev_b64 v[22:23], 2, v[22:23]
	v_ashrrev_i32_e32 v29, 31, v28
	v_add_co_ci_u32_e32 v21, vcc_lo, s4, v21, vcc_lo
	v_add_co_u32 v24, vcc_lo, s1, v24
	v_lshlrev_b64 v[26:27], 2, v[26:27]
	v_ashrrev_i32_e32 v31, 31, v30
	v_add_co_ci_u32_e32 v25, vcc_lo, s4, v25, vcc_lo
	v_add_co_u32 v22, vcc_lo, s1, v22
	v_lshlrev_b64 v[28:29], 2, v[28:29]
	v_add_co_ci_u32_e32 v23, vcc_lo, s4, v23, vcc_lo
	v_add_nc_u32_e32 v32, s54, v80
	v_add_co_u32 v26, vcc_lo, s1, v26
	v_lshlrev_b64 v[30:31], 2, v[30:31]
	v_add_co_ci_u32_e32 v27, vcc_lo, s4, v27, vcc_lo
	v_add_nc_u32_e32 v34, s55, v80
	v_add_co_u32 v28, vcc_lo, s1, v28
	v_ashrrev_i32_e32 v33, 31, v32
	v_add_co_ci_u32_e32 v29, vcc_lo, s4, v29, vcc_lo
	v_add_nc_u32_e32 v36, s56, v80
	v_add_co_u32 v30, vcc_lo, s1, v30
	v_ashrrev_i32_e32 v35, 31, v34
	v_add_co_ci_u32_e32 v31, vcc_lo, s4, v31, vcc_lo
	s_clause 0x7
	global_load_b32 v40, v[16:17], off
	global_load_b32 v41, v[18:19], off
	global_load_b32 v42, v[20:21], off
	global_load_b32 v43, v[24:25], off
	global_load_b32 v44, v[22:23], off
	global_load_b32 v45, v[26:27], off
	global_load_b32 v46, v[28:29], off
	global_load_b32 v47, v[30:31], off
	v_add_nc_u32_e32 v18, s57, v80
	v_lshlrev_b64 v[32:33], 2, v[32:33]
	v_ashrrev_i32_e32 v37, 31, v36
	v_add_nc_u32_e32 v24, s58, v80
	v_lshlrev_b64 v[16:17], 2, v[34:35]
	v_ashrrev_i32_e32 v19, 31, v18
	v_add_nc_u32_e32 v26, s59, v80
	v_add_co_u32 v20, vcc_lo, s1, v32
	v_lshlrev_b64 v[22:23], 2, v[36:37]
	v_ashrrev_i32_e32 v25, 31, v24
	v_add_co_ci_u32_e32 v21, vcc_lo, s4, v33, vcc_lo
	v_add_nc_u32_e32 v28, s60, v80
	v_add_co_u32 v16, vcc_lo, s1, v16
	v_lshlrev_b64 v[18:19], 2, v[18:19]
	v_ashrrev_i32_e32 v27, 31, v26
	v_add_co_ci_u32_e32 v17, vcc_lo, s4, v17, vcc_lo
	v_add_nc_u32_e32 v30, s61, v80
	v_add_co_u32 v22, vcc_lo, s1, v22
	v_lshlrev_b64 v[24:25], 2, v[24:25]
	v_ashrrev_i32_e32 v29, 31, v28
	v_add_co_ci_u32_e32 v23, vcc_lo, s4, v23, vcc_lo
	v_add_co_u32 v18, vcc_lo, s1, v18
	v_lshlrev_b64 v[26:27], 2, v[26:27]
	v_ashrrev_i32_e32 v31, 31, v30
	v_add_co_ci_u32_e32 v19, vcc_lo, s4, v19, vcc_lo
	v_add_co_u32 v24, vcc_lo, s1, v24
	v_lshlrev_b64 v[28:29], 2, v[28:29]
	v_add_co_ci_u32_e32 v25, vcc_lo, s4, v25, vcc_lo
	v_add_nc_u32_e32 v32, s62, v80
	v_add_co_u32 v26, vcc_lo, s1, v26
	v_lshlrev_b64 v[30:31], 2, v[30:31]
	v_add_co_ci_u32_e32 v27, vcc_lo, s4, v27, vcc_lo
	v_add_nc_u32_e32 v34, s63, v80
	v_add_co_u32 v28, vcc_lo, s1, v28
	v_ashrrev_i32_e32 v33, 31, v32
	v_add_co_ci_u32_e32 v29, vcc_lo, s4, v29, vcc_lo
	v_add_nc_u32_e32 v36, s64, v80
	v_add_co_u32 v30, vcc_lo, s1, v30
	v_ashrrev_i32_e32 v35, 31, v34
	v_add_co_ci_u32_e32 v31, vcc_lo, s4, v31, vcc_lo
	s_clause 0x7
	global_load_b32 v48, v[20:21], off
	global_load_b32 v49, v[16:17], off
	global_load_b32 v50, v[22:23], off
	global_load_b32 v51, v[18:19], off
	global_load_b32 v52, v[24:25], off
	global_load_b32 v53, v[26:27], off
	global_load_b32 v56, v[28:29], off
	global_load_b32 v57, v[30:31], off
	v_add_nc_u32_e32 v18, s65, v80
	v_lshlrev_b64 v[32:33], 2, v[32:33]
	v_ashrrev_i32_e32 v37, 31, v36
	v_add_nc_u32_e32 v24, s66, v80
	v_lshlrev_b64 v[16:17], 2, v[34:35]
	v_ashrrev_i32_e32 v19, 31, v18
	v_add_nc_u32_e32 v26, s67, v80
	v_add_co_u32 v20, vcc_lo, s1, v32
	v_lshlrev_b64 v[22:23], 2, v[36:37]
	v_ashrrev_i32_e32 v25, 31, v24
	v_add_co_ci_u32_e32 v21, vcc_lo, s4, v33, vcc_lo
	v_add_nc_u32_e32 v28, s68, v80
	v_add_co_u32 v16, vcc_lo, s1, v16
	v_lshlrev_b64 v[18:19], 2, v[18:19]
	v_ashrrev_i32_e32 v27, 31, v26
	v_add_co_ci_u32_e32 v17, vcc_lo, s4, v17, vcc_lo
	v_add_nc_u32_e32 v30, s69, v80
	v_add_co_u32 v22, vcc_lo, s1, v22
	v_lshlrev_b64 v[24:25], 2, v[24:25]
	v_ashrrev_i32_e32 v29, 31, v28
	v_add_co_ci_u32_e32 v23, vcc_lo, s4, v23, vcc_lo
	v_add_co_u32 v18, vcc_lo, s1, v18
	v_lshlrev_b64 v[26:27], 2, v[26:27]
	v_ashrrev_i32_e32 v31, 31, v30
	v_add_co_ci_u32_e32 v19, vcc_lo, s4, v19, vcc_lo
	v_add_co_u32 v24, vcc_lo, s1, v24
	v_lshlrev_b64 v[28:29], 2, v[28:29]
	v_add_co_ci_u32_e32 v25, vcc_lo, s4, v25, vcc_lo
	v_add_nc_u32_e32 v32, s70, v80
	v_add_co_u32 v26, vcc_lo, s1, v26
	v_lshlrev_b64 v[30:31], 2, v[30:31]
	v_add_co_ci_u32_e32 v27, vcc_lo, s4, v27, vcc_lo
	v_add_nc_u32_e32 v34, s71, v80
	v_add_co_u32 v28, vcc_lo, s1, v28
	v_ashrrev_i32_e32 v33, 31, v32
	v_add_co_ci_u32_e32 v29, vcc_lo, s4, v29, vcc_lo
	v_add_nc_u32_e32 v36, s72, v80
	v_add_co_u32 v30, vcc_lo, s1, v30
	v_ashrrev_i32_e32 v35, 31, v34
	v_add_co_ci_u32_e32 v31, vcc_lo, s4, v31, vcc_lo
	s_clause 0x7
	global_load_b32 v58, v[20:21], off
	global_load_b32 v59, v[16:17], off
	global_load_b32 v60, v[22:23], off
	global_load_b32 v61, v[18:19], off
	global_load_b32 v62, v[24:25], off
	global_load_b32 v63, v[26:27], off
	global_load_b32 v64, v[28:29], off
	global_load_b32 v65, v[30:31], off
	v_add_nc_u32_e32 v18, s73, v80
	v_lshlrev_b64 v[32:33], 2, v[32:33]
	v_ashrrev_i32_e32 v37, 31, v36
	v_add_nc_u32_e32 v24, s74, v80
	v_lshlrev_b64 v[16:17], 2, v[34:35]
	v_ashrrev_i32_e32 v19, 31, v18
	v_add_nc_u32_e32 v26, s11, v80
	v_add_co_u32 v20, vcc_lo, s1, v32
	v_lshlrev_b64 v[22:23], 2, v[36:37]
	v_ashrrev_i32_e32 v25, 31, v24
	v_add_co_ci_u32_e32 v21, vcc_lo, s4, v33, vcc_lo
	v_add_co_u32 v16, vcc_lo, s1, v16
	v_lshlrev_b64 v[18:19], 2, v[18:19]
	v_ashrrev_i32_e32 v27, 31, v26
	v_add_co_ci_u32_e32 v17, vcc_lo, s4, v17, vcc_lo
	v_add_co_u32 v22, vcc_lo, s1, v22
	v_lshlrev_b64 v[24:25], 2, v[24:25]
	v_add_co_ci_u32_e32 v23, vcc_lo, s4, v23, vcc_lo
	v_add_co_u32 v18, vcc_lo, s1, v18
	v_lshlrev_b64 v[26:27], 2, v[26:27]
	v_add_co_ci_u32_e32 v19, vcc_lo, s4, v19, vcc_lo
	v_add_co_u32 v24, vcc_lo, s1, v24
	v_add_co_ci_u32_e32 v25, vcc_lo, s4, v25, vcc_lo
	s_delay_alu instid0(VALU_DEP_4)
	v_add_co_u32 v26, vcc_lo, s1, v26
	v_add_co_ci_u32_e32 v27, vcc_lo, s4, v27, vcc_lo
	s_clause 0x5
	global_load_b32 v66, v[20:21], off
	global_load_b32 v67, v[16:17], off
	;; [unrolled: 1-line block ×6, first 2 shown]
	v_mov_b32_e32 v84, 0
	s_and_not1_b32 vcc_lo, exec_lo, s37
	s_waitcnt vmcnt(31)
	ds_store_b32 v109, v38
	s_waitcnt vmcnt(30)
	ds_store_b32 v109, v39 offset:144
	s_waitcnt vmcnt(29)
	ds_store_b32 v109, v40 offset:288
	;; [unrolled: 2-line block ×15, first 2 shown]
	ds_load_b128 v[48:51], v111
	ds_load_b128 v[52:55], v111 offset:16
	ds_load_b128 v[32:35], v111 offset:32
	;; [unrolled: 1-line block ×7, first 2 shown]
	s_waitcnt vmcnt(15)
	ds_store_b32 v109, v56
	s_waitcnt vmcnt(14)
	ds_store_b32 v109, v57 offset:144
	s_waitcnt vmcnt(13)
	ds_store_b32 v109, v58 offset:288
	;; [unrolled: 2-line block ×15, first 2 shown]
	ds_load_b128 v[72:75], v111
	ds_load_b128 v[76:79], v111 offset:16
	ds_load_b128 v[64:67], v111 offset:32
	;; [unrolled: 1-line block ×7, first 2 shown]
	s_cbranch_vccnz .LBB48_9
; %bb.7:                                ;   in Loop: Header=BB48_6 Depth=1
	s_load_b32 s0, s[12:13], 0x0
	v_dual_mov_b32 v84, 0 :: v_dual_mov_b32 v83, 0
	s_waitcnt lgkmcnt(0)
	s_mul_hi_u32 s75, s0, s16
	s_delay_alu instid0(SALU_CYCLE_1) | instskip(NEXT) | instid1(SALU_CYCLE_1)
	s_add_i32 s75, s0, s75
	s_lshr_b32 s75, s75, s17
	s_delay_alu instid0(SALU_CYCLE_1)
	s_cmp_ge_i32 s75, s9
	s_cbranch_scc1 .LBB48_9
; %bb.8:                                ;   in Loop: Header=BB48_6 Depth=1
	v_mad_u64_u32 v[83:84], null, s75, s24, v[80:81]
	s_mul_i32 s75, s75, s18
	s_delay_alu instid0(SALU_CYCLE_1) | instskip(NEXT) | instid1(SALU_CYCLE_1)
	s_sub_i32 s0, s0, s75
	s_mul_i32 s0, s0, s5
	s_delay_alu instid0(VALU_DEP_1) | instid1(SALU_CYCLE_1)
	v_lshl_add_u32 v83, v83, 1, s0
	s_delay_alu instid0(VALU_DEP_1) | instskip(NEXT) | instid1(VALU_DEP_1)
	v_ashrrev_i32_e32 v84, 31, v83
	v_lshlrev_b64 v[83:84], 2, v[83:84]
	s_delay_alu instid0(VALU_DEP_1) | instskip(NEXT) | instid1(VALU_DEP_2)
	v_add_co_u32 v83, vcc_lo, s22, v83
	v_add_co_ci_u32_e32 v84, vcc_lo, s23, v84, vcc_lo
	global_load_b64 v[83:84], v[83:84], off
.LBB48_9:                               ;   in Loop: Header=BB48_6 Depth=1
	v_dual_mov_b32 v85, 0 :: v_dual_mov_b32 v88, 0
	v_mov_b32_e32 v87, 0
	s_and_not1_b32 vcc_lo, exec_lo, s3
	s_cbranch_vccnz .LBB48_12
; %bb.10:                               ;   in Loop: Header=BB48_6 Depth=1
	s_load_b32 s0, s[12:13], 0x4
	v_dual_mov_b32 v88, 0 :: v_dual_mov_b32 v87, 0
	s_waitcnt lgkmcnt(0)
	s_mul_hi_u32 s75, s0, s16
	s_delay_alu instid0(SALU_CYCLE_1) | instskip(NEXT) | instid1(SALU_CYCLE_1)
	s_add_i32 s75, s0, s75
	s_lshr_b32 s75, s75, s17
	s_delay_alu instid0(SALU_CYCLE_1)
	s_cmp_ge_i32 s75, s9
	s_cbranch_scc1 .LBB48_12
; %bb.11:                               ;   in Loop: Header=BB48_6 Depth=1
	v_mad_u64_u32 v[86:87], null, s75, s24, v[80:81]
	s_mul_i32 s75, s75, s18
	s_delay_alu instid0(SALU_CYCLE_1) | instskip(NEXT) | instid1(SALU_CYCLE_1)
	s_sub_i32 s0, s0, s75
	s_mul_i32 s0, s0, s5
	s_delay_alu instid0(VALU_DEP_1) | instid1(SALU_CYCLE_1)
	v_lshl_add_u32 v86, v86, 1, s0
	s_delay_alu instid0(VALU_DEP_1) | instskip(NEXT) | instid1(VALU_DEP_1)
	v_ashrrev_i32_e32 v87, 31, v86
	v_lshlrev_b64 v[86:87], 2, v[86:87]
	s_delay_alu instid0(VALU_DEP_1) | instskip(NEXT) | instid1(VALU_DEP_2)
	v_add_co_u32 v86, vcc_lo, s22, v86
	v_add_co_ci_u32_e32 v87, vcc_lo, s23, v87, vcc_lo
	global_load_b64 v[87:88], v[86:87], off
.LBB48_12:                              ;   in Loop: Header=BB48_6 Depth=1
	v_mov_b32_e32 v86, 0
	s_and_not1_b32 vcc_lo, exec_lo, s38
	s_cbranch_vccnz .LBB48_15
; %bb.13:                               ;   in Loop: Header=BB48_6 Depth=1
	s_load_b32 s0, s[12:13], 0x8
	v_dual_mov_b32 v86, 0 :: v_dual_mov_b32 v85, 0
	s_waitcnt lgkmcnt(0)
	s_mul_hi_u32 s75, s0, s16
	s_delay_alu instid0(SALU_CYCLE_1) | instskip(NEXT) | instid1(SALU_CYCLE_1)
	s_add_i32 s75, s0, s75
	s_lshr_b32 s75, s75, s17
	s_delay_alu instid0(SALU_CYCLE_1)
	s_cmp_ge_i32 s75, s9
	s_cbranch_scc1 .LBB48_15
; %bb.14:                               ;   in Loop: Header=BB48_6 Depth=1
	v_mad_u64_u32 v[85:86], null, s75, s24, v[80:81]
	s_mul_i32 s75, s75, s18
	s_delay_alu instid0(SALU_CYCLE_1) | instskip(NEXT) | instid1(SALU_CYCLE_1)
	s_sub_i32 s0, s0, s75
	s_mul_i32 s0, s0, s5
	s_delay_alu instid0(VALU_DEP_1) | instid1(SALU_CYCLE_1)
	v_lshl_add_u32 v85, v85, 1, s0
	s_delay_alu instid0(VALU_DEP_1) | instskip(NEXT) | instid1(VALU_DEP_1)
	v_ashrrev_i32_e32 v86, 31, v85
	v_lshlrev_b64 v[85:86], 2, v[85:86]
	s_delay_alu instid0(VALU_DEP_1) | instskip(NEXT) | instid1(VALU_DEP_2)
	v_add_co_u32 v85, vcc_lo, s22, v85
	v_add_co_ci_u32_e32 v86, vcc_lo, s23, v86, vcc_lo
	global_load_b64 v[85:86], v[85:86], off
.LBB48_15:                              ;   in Loop: Header=BB48_6 Depth=1
	v_dual_mov_b32 v89, 0 :: v_dual_mov_b32 v92, 0
	v_mov_b32_e32 v91, 0
	s_and_not1_b32 vcc_lo, exec_lo, s39
	s_cbranch_vccnz .LBB48_18
; %bb.16:                               ;   in Loop: Header=BB48_6 Depth=1
	s_load_b32 s0, s[12:13], 0xc
	v_dual_mov_b32 v92, 0 :: v_dual_mov_b32 v91, 0
	s_waitcnt lgkmcnt(0)
	s_mul_hi_u32 s75, s0, s16
	s_delay_alu instid0(SALU_CYCLE_1) | instskip(NEXT) | instid1(SALU_CYCLE_1)
	s_add_i32 s75, s0, s75
	s_lshr_b32 s75, s75, s17
	s_delay_alu instid0(SALU_CYCLE_1)
	s_cmp_ge_i32 s75, s9
	s_cbranch_scc1 .LBB48_18
; %bb.17:                               ;   in Loop: Header=BB48_6 Depth=1
	v_mad_u64_u32 v[90:91], null, s75, s24, v[80:81]
	s_mul_i32 s75, s75, s18
	s_delay_alu instid0(SALU_CYCLE_1) | instskip(NEXT) | instid1(SALU_CYCLE_1)
	s_sub_i32 s0, s0, s75
	s_mul_i32 s0, s0, s5
	s_delay_alu instid0(VALU_DEP_1) | instid1(SALU_CYCLE_1)
	v_lshl_add_u32 v90, v90, 1, s0
	s_delay_alu instid0(VALU_DEP_1) | instskip(NEXT) | instid1(VALU_DEP_1)
	v_ashrrev_i32_e32 v91, 31, v90
	v_lshlrev_b64 v[90:91], 2, v[90:91]
	s_delay_alu instid0(VALU_DEP_1) | instskip(NEXT) | instid1(VALU_DEP_2)
	v_add_co_u32 v90, vcc_lo, s22, v90
	v_add_co_ci_u32_e32 v91, vcc_lo, s23, v91, vcc_lo
	global_load_b64 v[91:92], v[90:91], off
.LBB48_18:                              ;   in Loop: Header=BB48_6 Depth=1
	v_mov_b32_e32 v90, 0
	s_and_not1_b32 vcc_lo, exec_lo, s40
	s_cbranch_vccnz .LBB48_21
; %bb.19:                               ;   in Loop: Header=BB48_6 Depth=1
	s_load_b32 s0, s[12:13], 0x10
	v_dual_mov_b32 v90, 0 :: v_dual_mov_b32 v89, 0
	s_waitcnt lgkmcnt(0)
	s_mul_hi_u32 s75, s0, s16
	s_delay_alu instid0(SALU_CYCLE_1) | instskip(NEXT) | instid1(SALU_CYCLE_1)
	s_add_i32 s75, s0, s75
	s_lshr_b32 s75, s75, s17
	s_delay_alu instid0(SALU_CYCLE_1)
	s_cmp_ge_i32 s75, s9
	s_cbranch_scc1 .LBB48_21
; %bb.20:                               ;   in Loop: Header=BB48_6 Depth=1
	v_mad_u64_u32 v[89:90], null, s75, s24, v[80:81]
	s_mul_i32 s75, s75, s18
	s_delay_alu instid0(SALU_CYCLE_1) | instskip(NEXT) | instid1(SALU_CYCLE_1)
	s_sub_i32 s0, s0, s75
	s_mul_i32 s0, s0, s5
	s_delay_alu instid0(VALU_DEP_1) | instid1(SALU_CYCLE_1)
	v_lshl_add_u32 v89, v89, 1, s0
	s_delay_alu instid0(VALU_DEP_1) | instskip(NEXT) | instid1(VALU_DEP_1)
	v_ashrrev_i32_e32 v90, 31, v89
	v_lshlrev_b64 v[89:90], 2, v[89:90]
	s_delay_alu instid0(VALU_DEP_1) | instskip(NEXT) | instid1(VALU_DEP_2)
	v_add_co_u32 v89, vcc_lo, s22, v89
	v_add_co_ci_u32_e32 v90, vcc_lo, s23, v90, vcc_lo
	global_load_b64 v[89:90], v[89:90], off
.LBB48_21:                              ;   in Loop: Header=BB48_6 Depth=1
	;; [unrolled: 61-line block ×4, first 2 shown]
	v_dual_mov_b32 v101, 0 :: v_dual_mov_b32 v104, 0
	v_mov_b32_e32 v103, 0
	s_and_not1_b32 vcc_lo, exec_lo, s47
	s_cbranch_vccnz .LBB48_36
; %bb.34:                               ;   in Loop: Header=BB48_6 Depth=1
	s_load_b32 s0, s[12:13], 0x24
	v_dual_mov_b32 v104, 0 :: v_dual_mov_b32 v103, 0
	s_waitcnt lgkmcnt(0)
	s_mul_hi_u32 s75, s0, s16
	s_delay_alu instid0(SALU_CYCLE_1) | instskip(NEXT) | instid1(SALU_CYCLE_1)
	s_add_i32 s75, s0, s75
	s_lshr_b32 s75, s75, s17
	s_delay_alu instid0(SALU_CYCLE_1)
	s_cmp_ge_i32 s75, s9
	s_cbranch_scc1 .LBB48_36
; %bb.35:                               ;   in Loop: Header=BB48_6 Depth=1
	v_mad_u64_u32 v[102:103], null, s75, s24, v[80:81]
	s_mul_i32 s75, s75, s18
	s_delay_alu instid0(SALU_CYCLE_1) | instskip(NEXT) | instid1(SALU_CYCLE_1)
	s_sub_i32 s0, s0, s75
	s_mul_i32 s0, s0, s5
	s_delay_alu instid0(VALU_DEP_1) | instid1(SALU_CYCLE_1)
	v_lshl_add_u32 v102, v102, 1, s0
	s_delay_alu instid0(VALU_DEP_1) | instskip(NEXT) | instid1(VALU_DEP_1)
	v_ashrrev_i32_e32 v103, 31, v102
	v_lshlrev_b64 v[102:103], 2, v[102:103]
	s_delay_alu instid0(VALU_DEP_1) | instskip(NEXT) | instid1(VALU_DEP_2)
	v_add_co_u32 v102, vcc_lo, s22, v102
	v_add_co_ci_u32_e32 v103, vcc_lo, s23, v103, vcc_lo
	global_load_b64 v[103:104], v[102:103], off
.LBB48_36:                              ;   in Loop: Header=BB48_6 Depth=1
	v_mov_b32_e32 v102, 0
	s_and_not1_b32 vcc_lo, exec_lo, s20
	s_cbranch_vccnz .LBB48_5
; %bb.37:                               ;   in Loop: Header=BB48_6 Depth=1
	s_load_b32 s0, s[12:13], 0x28
	v_dual_mov_b32 v102, 0 :: v_dual_mov_b32 v101, 0
	s_waitcnt lgkmcnt(0)
	s_mul_hi_u32 s75, s0, s16
	s_delay_alu instid0(SALU_CYCLE_1) | instskip(NEXT) | instid1(SALU_CYCLE_1)
	s_add_i32 s75, s0, s75
	s_lshr_b32 s75, s75, s17
	s_delay_alu instid0(SALU_CYCLE_1)
	s_cmp_ge_i32 s75, s9
	s_cbranch_scc1 .LBB48_5
; %bb.38:                               ;   in Loop: Header=BB48_6 Depth=1
	v_mad_u64_u32 v[101:102], null, s75, s24, v[80:81]
	s_mul_i32 s75, s75, s18
	s_delay_alu instid0(SALU_CYCLE_1) | instskip(NEXT) | instid1(SALU_CYCLE_1)
	s_sub_i32 s0, s0, s75
	s_mul_i32 s0, s0, s5
	s_delay_alu instid0(VALU_DEP_1) | instid1(SALU_CYCLE_1)
	v_lshl_add_u32 v101, v101, 1, s0
	s_delay_alu instid0(VALU_DEP_1) | instskip(NEXT) | instid1(VALU_DEP_1)
	v_ashrrev_i32_e32 v102, 31, v101
	v_lshlrev_b64 v[101:102], 2, v[101:102]
	s_delay_alu instid0(VALU_DEP_1) | instskip(NEXT) | instid1(VALU_DEP_2)
	v_add_co_u32 v101, vcc_lo, s22, v101
	v_add_co_ci_u32_e32 v102, vcc_lo, s23, v102, vcc_lo
	global_load_b64 v[101:102], v[101:102], off
	s_branch .LBB48_5
.LBB48_39:
	s_or_b32 exec_lo, exec_lo, s41
.LBB48_40:
	s_delay_alu instid0(SALU_CYCLE_1)
	s_or_b32 exec_lo, exec_lo, s36
	v_lshrrev_b32_e32 v16, 2, v106
	v_mad_u32_u24 v17, 0x410, v108, 0
	v_lshlrev_b32_e32 v18, 2, v107
	s_waitcnt lgkmcnt(0)
	s_barrier
	v_and_b32_e32 v16, 0xfc, v16
	buffer_gl0_inv
	s_lshl_b64 s[4:5], s[30:31], 2
	v_cmp_gt_u32_e64 s0, 11, v105
	s_add_u32 s1, s34, s4
	v_add3_u32 v16, v17, v16, v18
	s_addc_u32 s3, s35, s5
	s_cmp_gt_i32 s10, 0
	ds_store_2addr_b32 v16, v8, v9 offset1:2
	ds_store_2addr_b32 v16, v10, v11 offset0:4 offset1:6
	ds_store_2addr_b32 v16, v12, v13 offset0:8 offset1:10
	;; [unrolled: 1-line block ×5, first 2 shown]
	v_add_nc_u32_e32 v0, s2, v105
	s_cselect_b32 s4, -1, 0
	v_lshl_add_u32 v3, v106, 2, 0
	v_add_nc_u32_e32 v2, s7, v106
	ds_store_2addr_b32 v16, v4, v5 offset0:24 offset1:26
	ds_store_2addr_b32 v16, v6, v7 offset0:28 offset1:30
	v_cmp_gt_i32_e32 vcc_lo, s33, v0
	s_waitcnt lgkmcnt(0)
	s_barrier
	buffer_gl0_inv
	s_and_b32 s5, s4, vcc_lo
	s_delay_alu instid0(SALU_CYCLE_1) | instskip(NEXT) | instid1(SALU_CYCLE_1)
	s_and_b32 s5, s0, s5
	s_and_saveexec_b32 s0, s5
	s_cbranch_execz .LBB48_43
; %bb.41:
	v_ashrrev_i32_e32 v1, 31, v0
	s_delay_alu instid0(VALU_DEP_1) | instskip(NEXT) | instid1(VALU_DEP_1)
	v_lshlrev_b64 v[0:1], 2, v[0:1]
	v_add_co_u32 v0, vcc_lo, s1, v0
	s_delay_alu instid0(VALU_DEP_2) | instskip(SKIP_3) | instid1(VALU_DEP_1)
	v_add_co_ci_u32_e32 v1, vcc_lo, s3, v1, vcc_lo
	global_load_b32 v0, v[0:1], off
	s_waitcnt vmcnt(0)
	v_mul_hi_u32 v1, v0, s19
	v_add_nc_u32_e32 v1, v0, v1
	s_delay_alu instid0(VALU_DEP_1) | instskip(NEXT) | instid1(VALU_DEP_1)
	v_lshrrev_b32_e32 v1, s26, v1
	v_cmp_gt_i32_e32 vcc_lo, s9, v1
	s_and_b32 exec_lo, exec_lo, vcc_lo
	s_cbranch_execz .LBB48_43
; %bb.42:
	v_mad_u32_u24 v10, 0x410, v105, v3
	v_mul_lo_u32 v11, v1, s27
	ds_load_2addr_b32 v[4:5], v10 offset1:32
	ds_load_2addr_b32 v[6:7], v10 offset0:64 offset1:96
	ds_load_2addr_b32 v[8:9], v10 offset0:128 offset1:160
	v_sub_nc_u32_e32 v0, v0, v11
	s_delay_alu instid0(VALU_DEP_1) | instskip(SKIP_2) | instid1(VALU_DEP_1)
	v_mul_lo_u32 v0, v0, s6
	s_waitcnt lgkmcnt(2)
	v_add_f32_e32 v4, 0, v4
	v_add_f32_e32 v12, v4, v5
	ds_load_2addr_b32 v[4:5], v10 offset0:192 offset1:224
	s_waitcnt lgkmcnt(2)
	v_add_f32_e32 v6, v12, v6
	s_delay_alu instid0(VALU_DEP_1) | instskip(SKIP_2) | instid1(VALU_DEP_2)
	v_add_f32_e32 v6, v6, v7
	v_mul_lo_u32 v7, v1, s25
	s_waitcnt lgkmcnt(1)
	v_dual_mov_b32 v1, 0 :: v_dual_add_f32 v6, v6, v8
	s_delay_alu instid0(VALU_DEP_2) | instskip(NEXT) | instid1(VALU_DEP_2)
	v_add3_u32 v0, v2, v7, v0
	v_add_f32_e32 v6, v6, v9
	s_delay_alu instid0(VALU_DEP_2) | instskip(SKIP_1) | instid1(VALU_DEP_2)
	v_lshlrev_b64 v[0:1], 2, v[0:1]
	s_waitcnt lgkmcnt(0)
	v_add_f32_e32 v4, v6, v4
	s_delay_alu instid0(VALU_DEP_2) | instskip(NEXT) | instid1(VALU_DEP_2)
	v_add_co_u32 v0, vcc_lo, s28, v0
	v_add_f32_e32 v4, v4, v5
	s_delay_alu instid0(VALU_DEP_4)
	v_add_co_ci_u32_e32 v1, vcc_lo, s29, v1, vcc_lo
	global_store_b32 v[0:1], v4, off
.LBB48_43:
	s_or_b32 exec_lo, exec_lo, s0
	s_delay_alu instid0(SALU_CYCLE_1)
	s_mov_b32 s0, exec_lo
	v_cmpx_gt_u32_e32 3, v105
	s_cbranch_execz .LBB48_47
; %bb.44:
	v_or_b32_e32 v0, 8, v105
	s_delay_alu instid0(VALU_DEP_1) | instskip(NEXT) | instid1(VALU_DEP_1)
	v_add_nc_u32_e32 v1, s2, v0
	v_cmp_gt_i32_e32 vcc_lo, s33, v1
	s_and_b32 s0, s4, vcc_lo
	s_delay_alu instid0(SALU_CYCLE_1)
	s_and_b32 exec_lo, exec_lo, s0
	s_cbranch_execz .LBB48_47
; %bb.45:
	s_ashr_i32 s0, s2, 31
	v_add_co_u32 v4, s2, v105, s2
	s_delay_alu instid0(VALU_DEP_1) | instskip(NEXT) | instid1(VALU_DEP_1)
	v_add_co_ci_u32_e64 v5, null, 0, s0, s2
	v_lshlrev_b64 v[4:5], 2, v[4:5]
	s_delay_alu instid0(VALU_DEP_1) | instskip(NEXT) | instid1(VALU_DEP_2)
	v_add_co_u32 v4, vcc_lo, s1, v4
	v_add_co_ci_u32_e32 v5, vcc_lo, s3, v5, vcc_lo
	global_load_b32 v4, v[4:5], off offset:32
	s_waitcnt vmcnt(0)
	v_mul_hi_u32 v1, v4, s19
	s_delay_alu instid0(VALU_DEP_1) | instskip(NEXT) | instid1(VALU_DEP_1)
	v_add_nc_u32_e32 v1, v4, v1
	v_lshrrev_b32_e32 v5, s26, v1
	v_mov_b32_e32 v1, 0
	s_delay_alu instid0(VALU_DEP_2)
	v_cmp_gt_i32_e32 vcc_lo, s9, v5
	s_and_b32 exec_lo, exec_lo, vcc_lo
	s_cbranch_execz .LBB48_47
; %bb.46:
	v_mad_u32_u24 v0, 0x410, v0, v3
	v_mul_lo_u32 v12, v5, s27
	ds_load_2addr_b32 v[6:7], v0 offset1:32
	ds_load_2addr_b32 v[8:9], v0 offset0:64 offset1:96
	ds_load_2addr_b32 v[10:11], v0 offset0:128 offset1:160
	s_waitcnt lgkmcnt(2)
	v_add_f32_e32 v3, 0, v6
	s_delay_alu instid0(VALU_DEP_1)
	v_add_f32_e32 v3, v3, v7
	ds_load_2addr_b32 v[6:7], v0 offset0:192 offset1:224
	s_waitcnt lgkmcnt(2)
	v_add_f32_e32 v0, v3, v8
	v_sub_nc_u32_e32 v3, v4, v12
	v_mul_lo_u32 v4, v5, s25
	s_delay_alu instid0(VALU_DEP_3) | instskip(NEXT) | instid1(VALU_DEP_3)
	v_add_f32_e32 v0, v0, v9
	v_mul_lo_u32 v3, v3, s6
	s_waitcnt lgkmcnt(1)
	s_delay_alu instid0(VALU_DEP_2) | instskip(NEXT) | instid1(VALU_DEP_1)
	v_add_f32_e32 v0, v0, v10
	v_add_f32_e32 v5, v0, v11
	s_delay_alu instid0(VALU_DEP_3) | instskip(SKIP_1) | instid1(VALU_DEP_2)
	v_add3_u32 v0, v2, v4, v3
	s_waitcnt lgkmcnt(0)
	v_add_f32_e32 v2, v5, v6
	s_delay_alu instid0(VALU_DEP_2) | instskip(NEXT) | instid1(VALU_DEP_2)
	v_lshlrev_b64 v[0:1], 2, v[0:1]
	v_add_f32_e32 v2, v2, v7
	s_delay_alu instid0(VALU_DEP_2) | instskip(NEXT) | instid1(VALU_DEP_3)
	v_add_co_u32 v0, vcc_lo, s28, v0
	v_add_co_ci_u32_e32 v1, vcc_lo, s29, v1, vcc_lo
	global_store_b32 v[0:1], v2, off
.LBB48_47:
	s_nop 0
	s_sendmsg sendmsg(MSG_DEALLOC_VGPRS)
	s_endpgm
	.section	.rodata,"a",@progbits
	.p2align	6, 0x0
	.amdhsa_kernel _ZL13mul_mat_f_idsI7__half2Li32ELi11ELi8EEvPKT_PKfPKiS7_S7_Pfiiiiiiiiiiiiii15HIP_vector_typeIjLj3EESA_
		.amdhsa_group_segment_fixed_size 0
		.amdhsa_private_segment_fixed_size 0
		.amdhsa_kernarg_size 128
		.amdhsa_user_sgpr_count 13
		.amdhsa_user_sgpr_dispatch_ptr 0
		.amdhsa_user_sgpr_queue_ptr 0
		.amdhsa_user_sgpr_kernarg_segment_ptr 1
		.amdhsa_user_sgpr_dispatch_id 0
		.amdhsa_user_sgpr_private_segment_size 0
		.amdhsa_wavefront_size32 1
		.amdhsa_uses_dynamic_stack 0
		.amdhsa_enable_private_segment 0
		.amdhsa_system_sgpr_workgroup_id_x 1
		.amdhsa_system_sgpr_workgroup_id_y 1
		.amdhsa_system_sgpr_workgroup_id_z 1
		.amdhsa_system_sgpr_workgroup_info 0
		.amdhsa_system_vgpr_workitem_id 1
		.amdhsa_next_free_vgpr 120
		.amdhsa_next_free_sgpr 76
		.amdhsa_reserve_vcc 1
		.amdhsa_float_round_mode_32 0
		.amdhsa_float_round_mode_16_64 0
		.amdhsa_float_denorm_mode_32 3
		.amdhsa_float_denorm_mode_16_64 3
		.amdhsa_dx10_clamp 1
		.amdhsa_ieee_mode 1
		.amdhsa_fp16_overflow 0
		.amdhsa_workgroup_processor_mode 1
		.amdhsa_memory_ordered 1
		.amdhsa_forward_progress 0
		.amdhsa_shared_vgpr_count 0
		.amdhsa_exception_fp_ieee_invalid_op 0
		.amdhsa_exception_fp_denorm_src 0
		.amdhsa_exception_fp_ieee_div_zero 0
		.amdhsa_exception_fp_ieee_overflow 0
		.amdhsa_exception_fp_ieee_underflow 0
		.amdhsa_exception_fp_ieee_inexact 0
		.amdhsa_exception_int_div_zero 0
	.end_amdhsa_kernel
	.section	.text._ZL13mul_mat_f_idsI7__half2Li32ELi11ELi8EEvPKT_PKfPKiS7_S7_Pfiiiiiiiiiiiiii15HIP_vector_typeIjLj3EESA_,"axG",@progbits,_ZL13mul_mat_f_idsI7__half2Li32ELi11ELi8EEvPKT_PKfPKiS7_S7_Pfiiiiiiiiiiiiii15HIP_vector_typeIjLj3EESA_,comdat
.Lfunc_end48:
	.size	_ZL13mul_mat_f_idsI7__half2Li32ELi11ELi8EEvPKT_PKfPKiS7_S7_Pfiiiiiiiiiiiiii15HIP_vector_typeIjLj3EESA_, .Lfunc_end48-_ZL13mul_mat_f_idsI7__half2Li32ELi11ELi8EEvPKT_PKfPKiS7_S7_Pfiiiiiiiiiiiiii15HIP_vector_typeIjLj3EESA_
                                        ; -- End function
	.section	.AMDGPU.csdata,"",@progbits
; Kernel info:
; codeLenInByte = 5288
; NumSgprs: 78
; NumVgprs: 120
; ScratchSize: 0
; MemoryBound: 0
; FloatMode: 240
; IeeeMode: 1
; LDSByteSize: 0 bytes/workgroup (compile time only)
; SGPRBlocks: 9
; VGPRBlocks: 14
; NumSGPRsForWavesPerEU: 78
; NumVGPRsForWavesPerEU: 120
; Occupancy: 12
; WaveLimiterHint : 1
; COMPUTE_PGM_RSRC2:SCRATCH_EN: 0
; COMPUTE_PGM_RSRC2:USER_SGPR: 13
; COMPUTE_PGM_RSRC2:TRAP_HANDLER: 0
; COMPUTE_PGM_RSRC2:TGID_X_EN: 1
; COMPUTE_PGM_RSRC2:TGID_Y_EN: 1
; COMPUTE_PGM_RSRC2:TGID_Z_EN: 1
; COMPUTE_PGM_RSRC2:TIDIG_COMP_CNT: 1
	.section	.text._ZL9mul_mat_fI7__half2Li32ELi11ELi8ELb1EEvPKT_PKfPKiPfiiiiiiiiiiiiiiii,"axG",@progbits,_ZL9mul_mat_fI7__half2Li32ELi11ELi8ELb1EEvPKT_PKfPKiPfiiiiiiiiiiiiiiii,comdat
	.globl	_ZL9mul_mat_fI7__half2Li32ELi11ELi8ELb1EEvPKT_PKfPKiPfiiiiiiiiiiiiiiii ; -- Begin function _ZL9mul_mat_fI7__half2Li32ELi11ELi8ELb1EEvPKT_PKfPKiPfiiiiiiiiiiiiiiii
	.p2align	8
	.type	_ZL9mul_mat_fI7__half2Li32ELi11ELi8ELb1EEvPKT_PKfPKiPfiiiiiiiiiiiiiiii,@function
_ZL9mul_mat_fI7__half2Li32ELi11ELi8ELb1EEvPKT_PKfPKiPfiiiiiiiiiiiiiiii: ; @_ZL9mul_mat_fI7__half2Li32ELi11ELi8ELb1EEvPKT_PKfPKiPfiiiiiiiiiiiiiiii
; %bb.0:
	s_clause 0x1
	s_load_b256 s[16:23], s[0:1], 0x20
	s_load_b64 s[24:25], s[0:1], 0x10
	v_and_b32_e32 v80, 0x3ff, v0
	v_bfe_u32 v88, v0, 10, 10
	s_load_b128 s[8:11], s[0:1], 0x44
	s_delay_alu instid0(VALU_DEP_2) | instskip(NEXT) | instid1(VALU_DEP_2)
	v_cmp_eq_u32_e32 vcc_lo, 0, v80
	v_lshl_add_u32 v89, v88, 2, 0x100
	s_waitcnt lgkmcnt(0)
	s_add_i32 s2, s17, 10
	s_delay_alu instid0(SALU_CYCLE_1) | instskip(NEXT) | instid1(SALU_CYCLE_1)
	s_mul_hi_i32 s2, s2, 0x2e8ba2e9
	s_lshr_b32 s3, s2, 31
	s_ashr_i32 s2, s2, 1
	s_delay_alu instid0(SALU_CYCLE_1)
	s_add_i32 s2, s2, s3
	s_load_b32 s3, s[0:1], 0x64
	v_cvt_f32_u32_e32 v1, s2
	s_add_u32 s6, s0, 0x60
	s_addc_u32 s7, s1, 0
	s_sub_i32 s5, 0, s2
	s_delay_alu instid0(VALU_DEP_1) | instskip(SKIP_2) | instid1(VALU_DEP_1)
	v_rcp_iflag_f32_e32 v1, v1
	s_waitcnt_depctr 0xfff
	v_mul_f32_e32 v1, 0x4f7ffffe, v1
	v_cvt_u32_f32_e32 v1, v1
	s_delay_alu instid0(VALU_DEP_1) | instskip(NEXT) | instid1(VALU_DEP_1)
	v_readfirstlane_b32 s4, v1
	s_mul_i32 s5, s5, s4
	s_delay_alu instid0(SALU_CYCLE_1) | instskip(NEXT) | instid1(SALU_CYCLE_1)
	s_mul_hi_u32 s5, s4, s5
	s_add_i32 s4, s4, s5
	s_waitcnt lgkmcnt(0)
	s_mul_hi_u32 s4, s3, s4
	s_delay_alu instid0(SALU_CYCLE_1) | instskip(NEXT) | instid1(SALU_CYCLE_1)
	s_mul_i32 s5, s4, s2
	s_sub_i32 s3, s3, s5
	s_add_i32 s5, s4, 1
	s_sub_i32 s12, s3, s2
	s_cmp_ge_u32 s3, s2
	s_cselect_b32 s4, s5, s4
	s_cselect_b32 s3, s12, s3
	s_add_i32 s5, s4, 1
	s_cmp_ge_u32 s3, s2
	s_cselect_b32 s2, s5, s4
	s_abs_i32 s28, s11
	v_cvt_f32_u32_e32 v1, s2
	v_cvt_f32_u32_e32 v2, s28
	s_sub_i32 s4, 0, s2
	s_sub_i32 s26, 0, s28
	s_delay_alu instid0(VALU_DEP_2) | instskip(NEXT) | instid1(VALU_DEP_1)
	v_rcp_iflag_f32_e32 v1, v1
	v_rcp_iflag_f32_e32 v2, v2
	s_waitcnt_depctr 0xfff
	v_dual_mul_f32 v1, 0x4f7ffffe, v1 :: v_dual_mul_f32 v2, 0x4f7ffffe, v2
	s_delay_alu instid0(VALU_DEP_1) | instskip(NEXT) | instid1(VALU_DEP_1)
	v_cvt_u32_f32_e32 v1, v1
	v_readfirstlane_b32 s3, v1
	s_delay_alu instid0(VALU_DEP_3) | instskip(NEXT) | instid1(VALU_DEP_2)
	v_cvt_u32_f32_e32 v1, v2
	s_mul_i32 s4, s4, s3
	s_delay_alu instid0(VALU_DEP_1) | instskip(SKIP_1) | instid1(SALU_CYCLE_1)
	v_readfirstlane_b32 s29, v1
	s_mul_hi_u32 s4, s3, s4
	s_add_i32 s3, s3, s4
	s_delay_alu instid0(SALU_CYCLE_1)
	s_mul_hi_u32 s3, s14, s3
	s_and_saveexec_b32 s4, vcc_lo
	s_cbranch_execz .LBB49_2
; %bb.1:
	v_mov_b32_e32 v1, -1
	ds_store_b32 v89, v1
.LBB49_2:
	s_or_b32 exec_lo, exec_lo, s4
	s_mul_i32 s4, s3, s2
	s_add_i32 s5, s3, 1
	s_sub_i32 s4, s14, s4
	v_mov_b32_e32 v3, 0
	s_sub_i32 s12, s4, s2
	s_cmp_ge_u32 s4, s2
	s_mul_i32 s26, s26, s29
	s_cselect_b32 s3, s5, s3
	s_cselect_b32 s4, s12, s4
	s_add_i32 s5, s3, 1
	s_cmp_ge_u32 s4, s2
	v_cmp_gt_i32_e64 s4, s18, v80
	s_cselect_b32 s3, s5, s3
	s_delay_alu instid0(SALU_CYCLE_1)
	s_mul_i32 s12, s3, 11
	s_mul_i32 s3, s3, s2
	v_add_nc_u32_e32 v1, s12, v88
	s_mul_hi_i32 s31, s12, s23
	s_mul_i32 s30, s12, s23
	s_sub_i32 s14, s14, s3
	s_lshl_b64 s[30:31], s[30:31], 2
	v_cmp_gt_i32_e64 s2, s17, v1
	s_add_u32 s30, s24, s30
	s_addc_u32 s31, s25, s31
	s_delay_alu instid0(VALU_DEP_1)
	s_and_saveexec_b32 s24, s2
	s_cbranch_execz .LBB49_10
; %bb.3:
	v_mov_b32_e32 v3, 0
	s_and_saveexec_b32 s25, s4
	s_cbranch_execz .LBB49_9
; %bb.4:
	v_mul_lo_u32 v1, v88, s23
	v_dual_mov_b32 v3, 0 :: v_dual_mov_b32 v6, v80
	s_lshl_b32 s33, s22, 5
	s_mov_b32 s27, 0
	s_delay_alu instid0(VALU_DEP_2) | instskip(NEXT) | instid1(VALU_DEP_1)
	v_ashrrev_i32_e32 v2, 31, v1
	v_lshlrev_b64 v[4:5], 2, v[1:2]
	v_mul_lo_u32 v1, v80, s22
	s_delay_alu instid0(VALU_DEP_2) | instskip(NEXT) | instid1(VALU_DEP_1)
	v_add_co_u32 v4, s3, s30, v4
	v_add_co_ci_u32_e64 v5, s3, s31, v5, s3
	s_set_inst_prefetch_distance 0x1
	s_branch .LBB49_6
	.p2align	6
.LBB49_5:                               ;   in Loop: Header=BB49_6 Depth=1
	s_or_b32 exec_lo, exec_lo, s34
	v_add_nc_u32_e32 v6, 32, v6
	s_xor_b32 s3, s3, -1
	v_add_nc_u32_e32 v1, s33, v1
	s_delay_alu instid0(VALU_DEP_2) | instskip(NEXT) | instid1(VALU_DEP_1)
	v_cmp_le_i32_e64 s5, s18, v6
	s_or_b32 s3, s3, s5
	s_delay_alu instid0(SALU_CYCLE_1) | instskip(NEXT) | instid1(SALU_CYCLE_1)
	s_and_b32 s3, exec_lo, s3
	s_or_b32 s27, s3, s27
	s_delay_alu instid0(SALU_CYCLE_1)
	s_and_not1_b32 exec_lo, exec_lo, s27
	s_cbranch_execz .LBB49_8
.LBB49_6:                               ; =>This Inner Loop Header: Depth=1
	s_delay_alu instid0(VALU_DEP_3) | instskip(SKIP_1) | instid1(VALU_DEP_1)
	v_ashrrev_i32_e32 v2, 31, v1
	s_mov_b32 s34, exec_lo
	v_lshlrev_b64 v[7:8], 2, v[1:2]
	s_delay_alu instid0(VALU_DEP_1) | instskip(NEXT) | instid1(VALU_DEP_1)
	v_add_co_u32 v7, s3, v4, v7
	v_add_co_ci_u32_e64 v8, s3, v5, v8, s3
	global_load_b32 v2, v[7:8], off
	s_waitcnt vmcnt(0)
	v_cmp_ne_u32_e64 s3, s14, v2
	v_cmpx_eq_u32_e64 s14, v2
	s_cbranch_execz .LBB49_5
; %bb.7:                                ;   in Loop: Header=BB49_6 Depth=1
	v_mov_b32_e32 v3, 1
	ds_store_b32 v89, v6
	s_branch .LBB49_5
.LBB49_8:
	s_set_inst_prefetch_distance 0x2
	s_or_b32 exec_lo, exec_lo, s27
.LBB49_9:
	s_delay_alu instid0(SALU_CYCLE_1)
	s_or_b32 exec_lo, exec_lo, s25
.LBB49_10:
	s_delay_alu instid0(SALU_CYCLE_1)
	s_or_b32 exec_lo, exec_lo, s24
	s_mul_hi_u32 s5, s29, s26
	s_and_saveexec_b32 s3, vcc_lo
	s_cbranch_execz .LBB49_12
; %bb.11:
	v_mov_b32_e32 v1, -1
	ds_store_b32 v89, v1 offset:32
.LBB49_12:
	s_or_b32 exec_lo, exec_lo, s3
	s_load_b128 s[24:27], s[0:1], 0x54
	v_add_nc_u32_e32 v90, 8, v88
	s_waitcnt lgkmcnt(0)
	s_abs_i32 s27, s15
	s_add_i32 s29, s29, s5
	s_delay_alu instid0(VALU_DEP_1) | instskip(NEXT) | instid1(VALU_DEP_1)
	v_add_nc_u32_e32 v1, s12, v90
	v_cmp_gt_i32_e64 s3, s17, v1
	s_delay_alu instid0(VALU_DEP_1)
	s_and_saveexec_b32 s5, s3
	s_cbranch_execz .LBB49_20
; %bb.13:
	s_and_saveexec_b32 s33, s4
	s_cbranch_execz .LBB49_19
; %bb.14:
	v_mul_lo_u32 v1, v90, s23
	v_mov_b32_e32 v6, v80
	s_lshl_b32 s23, s22, 5
	s_delay_alu instid0(VALU_DEP_2) | instskip(NEXT) | instid1(VALU_DEP_1)
	v_ashrrev_i32_e32 v2, 31, v1
	v_lshlrev_b64 v[4:5], 2, v[1:2]
	v_mul_lo_u32 v1, v80, s22
	s_mov_b32 s22, 0
	s_delay_alu instid0(VALU_DEP_2) | instskip(NEXT) | instid1(VALU_DEP_3)
	v_add_co_u32 v4, vcc_lo, s30, v4
	v_add_co_ci_u32_e32 v5, vcc_lo, s31, v5, vcc_lo
	s_set_inst_prefetch_distance 0x1
	s_branch .LBB49_16
	.p2align	6
.LBB49_15:                              ;   in Loop: Header=BB49_16 Depth=1
	s_or_b32 exec_lo, exec_lo, s30
	v_add_nc_u32_e32 v6, 32, v6
	s_xor_b32 s30, vcc_lo, -1
	v_add_nc_u32_e32 v1, s23, v1
	s_delay_alu instid0(VALU_DEP_2) | instskip(NEXT) | instid1(VALU_DEP_1)
	v_cmp_le_i32_e64 s4, s18, v6
	s_or_b32 s4, s30, s4
	s_delay_alu instid0(SALU_CYCLE_1) | instskip(NEXT) | instid1(SALU_CYCLE_1)
	s_and_b32 s4, exec_lo, s4
	s_or_b32 s22, s4, s22
	s_delay_alu instid0(SALU_CYCLE_1)
	s_and_not1_b32 exec_lo, exec_lo, s22
	s_cbranch_execz .LBB49_18
.LBB49_16:                              ; =>This Inner Loop Header: Depth=1
	s_delay_alu instid0(VALU_DEP_3) | instskip(SKIP_1) | instid1(VALU_DEP_1)
	v_ashrrev_i32_e32 v2, 31, v1
	s_mov_b32 s30, exec_lo
	v_lshlrev_b64 v[7:8], 2, v[1:2]
	s_delay_alu instid0(VALU_DEP_1) | instskip(NEXT) | instid1(VALU_DEP_2)
	v_add_co_u32 v7, vcc_lo, v4, v7
	v_add_co_ci_u32_e32 v8, vcc_lo, v5, v8, vcc_lo
	global_load_b32 v2, v[7:8], off
	s_waitcnt vmcnt(0)
	v_cmp_ne_u32_e32 vcc_lo, s14, v2
	v_cmpx_eq_u32_e64 s14, v2
	s_cbranch_execz .LBB49_15
; %bb.17:                               ;   in Loop: Header=BB49_16 Depth=1
	v_mov_b32_e32 v3, 1
	ds_store_b32 v89, v6 offset:32
	s_branch .LBB49_15
.LBB49_18:
	s_set_inst_prefetch_distance 0x2
	s_or_b32 exec_lo, exec_lo, s22
.LBB49_19:
	s_delay_alu instid0(SALU_CYCLE_1)
	s_or_b32 exec_lo, exec_lo, s33
.LBB49_20:
	s_delay_alu instid0(SALU_CYCLE_1)
	s_or_b32 exec_lo, exec_lo, s5
	v_cmp_ne_u32_e32 vcc_lo, 0, v3
	s_load_b64 s[30:31], s[6:7], 0xc
	s_clause 0x1
	s_load_b128 s[4:7], s[0:1], 0x0
	s_load_b64 s[22:23], s[0:1], 0x18
	v_cndmask_b32_e64 v1, 0, 1, vcc_lo
	s_delay_alu instid0(VALU_DEP_1) | instskip(NEXT) | instid1(VALU_DEP_1)
	v_or_b32_dpp v1, v1, v1 row_shl:1 row_mask:0xf bank_mask:0xf bound_ctrl:1
	v_or_b32_dpp v1, v1, v1 row_shl:2 row_mask:0xf bank_mask:0xf bound_ctrl:1
	s_delay_alu instid0(VALU_DEP_1)
	v_or_b32_dpp v1, v1, v1 row_shl:4 row_mask:0xf bank_mask:0xf bound_ctrl:1
	s_waitcnt lgkmcnt(0)
	s_lshr_b32 s1, s30, 16
	s_and_b32 s0, s30, 0xffff
	s_and_b32 s30, s31, 0xffff
	s_mul_i32 s18, s1, s0
	v_or_b32_dpp v1, v1, v1 row_shl:8 row_mask:0xf bank_mask:0xf bound_ctrl:1
	s_bfe_i32 s18, s18, 0x180000
	s_delay_alu instid0(SALU_CYCLE_1) | instskip(NEXT) | instid1(SALU_CYCLE_1)
	s_mul_i32 s18, s18, s30
	s_add_i32 s18, s18, 31
	s_delay_alu instid0(VALU_DEP_1) | instskip(SKIP_1) | instid1(SALU_CYCLE_1)
	v_mov_b32_dpp v1, v1 row_share:0 row_mask:0xf bank_mask:0xf bound_ctrl:1
	s_and_not1_b32 s18, s18, 31
	s_cmp_lg_u32 s18, 32
	s_mul_hi_u32 s18, s27, s29
	s_delay_alu instid0(VALU_DEP_1) | instskip(NEXT) | instid1(VALU_DEP_1)
	v_permlanex16_b32 v2, v1, 0, 0 op_sel:[0,1]
	v_or_b32_e32 v2, v2, v1
	s_cbranch_scc0 .LBB49_29
; %bb.21:
	v_bfe_u32 v0, v0, 20, 10
	s_delay_alu instid0(VALU_DEP_1) | instskip(NEXT) | instid1(VALU_DEP_1)
	v_mad_u32_u24 v3, v0, s1, v88
	v_mad_u64_u32 v[0:1], null, v3, s0, v[80:81]
	v_mbcnt_lo_u32_b32 v1, -1, 0
	s_mov_b32 s0, exec_lo
	s_delay_alu instid0(VALU_DEP_2) | instskip(NEXT) | instid1(VALU_DEP_1)
	v_lshrrev_b32_e32 v3, 5, v0
	v_or_b32_e32 v3, v1, v3
	s_delay_alu instid0(VALU_DEP_1)
	v_cmpx_eq_u32_e32 0, v3
	s_cbranch_execz .LBB49_23
; %bb.22:
	v_mov_b32_e32 v3, 0
	ds_store_b32 v3, v2
.LBB49_23:
	s_or_b32 exec_lo, exec_lo, s0
	v_cmp_eq_u32_e32 vcc_lo, 0, v1
	v_cmp_lt_u32_e64 s0, 31, v0
	s_mov_b32 s1, 0
	s_waitcnt lgkmcnt(0)
	s_barrier
	buffer_gl0_inv
	s_and_b32 s29, s0, vcc_lo
	s_delay_alu instid0(SALU_CYCLE_1)
	s_and_saveexec_b32 s0, s29
	s_cbranch_execz .LBB49_28
; %bb.24:
	s_mov_b32 s29, exec_lo
.LBB49_25:                              ; =>This Inner Loop Header: Depth=1
	s_delay_alu instid0(SALU_CYCLE_1) | instskip(NEXT) | instid1(SALU_CYCLE_1)
	s_ctz_i32_b32 s30, s29
	v_readlane_b32 s31, v2, s30
	s_lshl_b32 s30, 1, s30
	s_delay_alu instid0(SALU_CYCLE_1) | instskip(NEXT) | instid1(VALU_DEP_1)
	s_and_not1_b32 s29, s29, s30
	s_or_b32 s1, s1, s31
	s_cmp_lg_u32 s29, 0
	s_cbranch_scc1 .LBB49_25
; %bb.26:
	v_mbcnt_lo_u32_b32 v0, exec_lo, 0
	s_mov_b32 s29, exec_lo
	s_delay_alu instid0(VALU_DEP_1)
	v_cmpx_eq_u32_e32 0, v0
	s_xor_b32 s29, exec_lo, s29
	s_cbranch_execz .LBB49_28
; %bb.27:
	v_dual_mov_b32 v0, 0 :: v_dual_mov_b32 v1, s1
	ds_or_b32 v0, v1
.LBB49_28:
	s_or_b32 exec_lo, exec_lo, s0
	v_mov_b32_e32 v0, 0
	s_waitcnt lgkmcnt(0)
	s_barrier
	buffer_gl0_inv
	ds_load_b32 v2, v0
	s_waitcnt lgkmcnt(0)
	s_barrier
	buffer_gl0_inv
.LBB49_29:
	s_ashr_i32 s0, s15, 31
	s_ashr_i32 s29, s11, 31
	s_mov_b32 s1, exec_lo
	v_cmpx_ne_u32_e32 0, v2
	s_cbranch_execz .LBB49_76
; %bb.30:
	v_lshlrev_b32_e32 v91, 5, v88
	v_and_b32_e32 v92, 15, v80
	s_mov_b32 s11, exec_lo
                                        ; implicit-def: $sgpr1
	s_delay_alu instid0(VALU_DEP_2) | instskip(NEXT) | instid1(VALU_DEP_1)
	v_add_nc_u32_e32 v93, v91, v80
	v_cmpx_le_i32_e64 s16, v93
	s_xor_b32 s11, exec_lo, s11
; %bb.31:
	v_and_b32_e32 v92, 15, v80
	s_mov_b32 s1, 0
                                        ; implicit-def: $vgpr93
; %bb.32:
	s_or_saveexec_b32 s11, s11
	v_dual_mov_b32 v15, s1 :: v_dual_mov_b32 v14, s1
	v_dual_mov_b32 v13, s1 :: v_dual_mov_b32 v12, s1
	v_dual_mov_b32 v11, s1 :: v_dual_mov_b32 v10, s1
	v_dual_mov_b32 v9, s1 :: v_dual_mov_b32 v8, s1
	v_dual_mov_b32 v7, s1 :: v_dual_mov_b32 v6, s1
	v_dual_mov_b32 v5, s1 :: v_dual_mov_b32 v4, s1
	v_dual_mov_b32 v3, s1 :: v_dual_mov_b32 v2, s1
	v_dual_mov_b32 v1, s1 :: v_dual_mov_b32 v0, s1
	s_lshl_b32 s1, s13, 5
	s_xor_b32 exec_lo, exec_lo, s11
	s_cbranch_execz .LBB49_69
; %bb.33:
	s_mul_i32 s13, s18, s28
	s_xor_b32 s0, s0, s29
	s_sub_i32 s13, s27, s13
	s_add_i32 s27, s18, 1
	s_sub_i32 s29, s13, s28
	s_cmp_ge_u32 s13, s28
	s_mul_i32 s30, s1, s19
	s_cselect_b32 s18, s27, s18
	s_cselect_b32 s13, s29, s13
	s_add_i32 s27, s18, 1
	s_cmp_ge_u32 s13, s28
	s_mul_i32 s28, s14, s8
	s_cselect_b32 s13, s27, s18
	s_ashr_i32 s29, s28, 31
	s_xor_b32 s13, s13, s0
	s_mul_hi_i32 s37, s25, s15
	s_sub_i32 s0, s13, s0
	s_mul_i32 s36, s25, s15
	s_mul_hi_i32 s35, s0, s24
	s_mul_i32 s34, s0, s24
	s_mul_hi_i32 s25, s20, s12
	s_lshl_b64 s[42:43], s[34:35], 2
	s_mul_i32 s24, s20, s12
	s_add_u32 s0, s4, s42
	s_addc_u32 s8, s5, s43
	s_lshl_b64 s[44:45], s[28:29], 2
	v_dual_mov_b32 v95, 0 :: v_dual_lshlrev_b32 v2, 1, v80
	s_add_u32 s0, s0, s44
	s_addc_u32 s13, s8, s45
	s_ashr_i32 s31, s30, 31
	s_delay_alu instid0(VALU_DEP_1)
	v_lshl_add_u32 v81, v88, 6, v2
	s_lshl_b64 s[46:47], s[30:31], 2
	v_dual_mov_b32 v97, 0x100 :: v_dual_lshlrev_b32 v2, 2, v93
	s_add_u32 s8, s0, s46
	s_addc_u32 s13, s13, s47
	s_lshl_b64 s[28:29], s[36:37], 2
	s_lshl_b64 s[24:25], s[24:25], 3
	s_add_u32 s0, s6, s28
	s_addc_u32 s6, s7, s29
	s_add_u32 s14, s0, s24
	s_addc_u32 s18, s6, s25
	s_cmp_lt_i32 s12, s17
	s_movk_i32 s6, 0x900
	s_cselect_b32 s24, -1, 0
	s_add_i32 s0, s12, 1
	v_mad_u32_u24 v1, v88, s6, 0x100
	s_cmp_lt_i32 s0, s17
	s_mov_b32 s6, s19
	s_cselect_b32 s25, -1, 0
	s_add_i32 s0, s12, 2
	v_mul_u32_u24_e32 v0, 0x90, v92
	s_cmp_lt_i32 s0, s17
	v_lshl_add_u32 v94, v80, 2, v1
	s_cselect_b32 s27, -1, 0
	s_add_i32 s0, s12, 3
	s_lshl_b32 s28, s20, 2
	s_cmp_lt_i32 s0, s17
	v_dual_mov_b32 v1, v95 :: v_dual_add_nc_u32 v96, v1, v0
	s_cselect_b32 s29, -1, 0
	s_add_i32 s0, s12, 4
	v_dual_mov_b32 v0, 0 :: v_dual_mov_b32 v3, v95
	s_cmp_lt_i32 s0, s17
	v_mov_b32_e32 v4, v95
	s_cselect_b32 s30, -1, 0
	s_add_i32 s0, s12, 5
	s_lshl_b32 s31, s20, 3
	s_cmp_lt_i32 s0, s17
	v_dual_mov_b32 v5, v95 :: v_dual_mov_b32 v8, 0
	s_cselect_b32 s33, -1, 0
	s_add_i32 s0, s12, 6
	v_mov_b32_e32 v6, v95
	s_cmp_lt_i32 s0, s17
	v_mov_b32_e32 v7, v95
	s_cselect_b32 s34, -1, 0
	s_add_i32 s0, s12, 7
	v_mov_b32_e32 v9, v95
	s_cmp_lt_i32 s0, s17
	v_mov_b32_e32 v10, v95
	;; [unrolled: 5-line block ×3, first 2 shown]
	s_cselect_b32 s38, -1, 0
	s_add_i32 s0, s12, 9
	s_lshl_b32 s39, s20, 4
	s_cmp_lt_i32 s0, s17
	v_mov_b32_e32 v13, v95
	s_cselect_b32 s40, -1, 0
	s_add_i32 s0, s12, 10
	v_mov_b32_e32 v14, v95
	s_cmp_lt_i32 s0, s17
	v_mov_b32_e32 v15, v95
	s_cselect_b32 s17, -1, 0
	s_ashr_i32 s7, s19, 31
	s_mul_i32 s36, s20, 6
	s_lshl_b64 s[6:7], s[6:7], 2
	s_add_u32 s0, s42, s46
	s_addc_u32 s41, s43, s47
	s_add_u32 s0, s0, s44
	s_addc_u32 s41, s41, s45
	;; [unrolled: 2-line block ×3, first 2 shown]
	v_add_co_u32 v82, s0, s0, v2
	s_delay_alu instid0(VALU_DEP_1)
	v_add_co_ci_u32_e64 v83, null, s4, 0, s0
	v_mov_b32_e32 v2, v95
	s_mul_i32 s37, s20, 10
	s_mul_i32 s4, s20, 20
	;; [unrolled: 1-line block ×5, first 2 shown]
	s_lshl_b32 s20, s20, 1
	s_lshl_b32 s43, s19, 1
	s_mul_i32 s44, s19, 3
	s_lshl_b32 s45, s19, 2
	s_mul_i32 s46, s19, 5
	s_mul_i32 s47, s19, 6
	;; [unrolled: 1-line block ×3, first 2 shown]
	s_lshl_b32 s49, s19, 3
	s_mul_i32 s50, s19, 9
	s_mul_i32 s51, s19, 10
	s_mul_i32 s52, s19, 11
	s_mul_i32 s53, s19, 12
	s_mul_i32 s54, s19, 13
	s_mul_i32 s55, s19, 14
	s_mul_i32 s56, s19, 15
	s_lshl_b32 s57, s19, 4
	s_mul_i32 s58, s19, 17
	s_mul_i32 s59, s19, 18
	;; [unrolled: 1-line block ×15, first 2 shown]
	s_mov_b32 s19, 0
	s_branch .LBB49_35
.LBB49_34:                              ;   in Loop: Header=BB49_35 Depth=1
	s_waitcnt vmcnt(0)
	v_cvt_f16_f32_e32 v84, v84
	v_cvt_f16_f32_e32 v85, v85
	v_add_nc_u32_e32 v86, 0x400, v94
	v_add_nc_u32_e32 v87, 0x800, v94
	;; [unrolled: 1-line block ×3, first 2 shown]
	v_add_co_u32 v82, s0, 0x400, v82
	v_pack_b32_f16 v84, v84, v85
	ds_store_2addr_b32 v86, v95, v95 offset0:192 offset1:228
	ds_store_2addr_b32 v87, v95, v95 offset0:8 offset1:44
	ds_store_2addr_b32 v86, v84, v95 offset0:120 offset1:156
	ds_load_b128 v[98:101], v96 offset:64
	ds_load_b128 v[102:105], v96 offset:80
	;; [unrolled: 1-line block ×6, first 2 shown]
	v_cmp_le_i32_e32 vcc_lo, s16, v93
	v_add_nc_u32_e32 v81, 0x200, v81
	v_add_co_ci_u32_e64 v83, s0, 0, v83, s0
	s_or_b32 s19, vcc_lo, s19
	s_waitcnt lgkmcnt(4)
	v_wmma_f32_16x16x16_f16 v[8:15], v[56:63], v[98:105], v[8:15]
	ds_load_b128 v[56:59], v96 offset:160
	ds_load_b128 v[60:63], v96 offset:176
	v_wmma_f32_16x16x16_f16 v[0:7], v[72:79], v[98:105], v[0:7]
	s_waitcnt lgkmcnt(4)
	v_wmma_f32_16x16x16_f16 v[8:15], v[40:47], v[106:113], v[8:15]
	s_delay_alu instid0(VALU_DEP_2) | instskip(SKIP_1) | instid1(VALU_DEP_2)
	v_wmma_f32_16x16x16_f16 v[0:7], v[64:71], v[106:113], v[0:7]
	s_waitcnt lgkmcnt(2)
	v_wmma_f32_16x16x16_f16 v[8:15], v[24:31], v[114:121], v[8:15]
	s_delay_alu instid0(VALU_DEP_2) | instskip(SKIP_1) | instid1(VALU_DEP_2)
	v_wmma_f32_16x16x16_f16 v[0:7], v[48:55], v[114:121], v[0:7]
	s_waitcnt lgkmcnt(0)
	v_wmma_f32_16x16x16_f16 v[8:15], v[16:23], v[56:63], v[8:15]
	s_delay_alu instid0(VALU_DEP_2)
	v_wmma_f32_16x16x16_f16 v[0:7], v[32:39], v[56:63], v[0:7]
	s_and_not1_b32 exec_lo, exec_lo, s19
	s_cbranch_execz .LBB49_68
.LBB49_35:                              ; =>This Inner Loop Header: Depth=1
	v_dual_mov_b32 v85, 0 :: v_dual_add_nc_u32 v16, s43, v93
	v_add_nc_u32_e32 v22, s45, v93
	v_add_nc_u32_e32 v18, s44, v93
	v_add_co_u32 v20, vcc_lo, v82, s6
	s_delay_alu instid0(VALU_DEP_4)
	v_ashrrev_i32_e32 v17, 31, v16
	v_add_co_ci_u32_e32 v21, vcc_lo, s7, v83, vcc_lo
	v_ashrrev_i32_e32 v23, 31, v22
	v_ashrrev_i32_e32 v19, 31, v18
	v_add_nc_u32_e32 v24, s46, v93
	v_lshlrev_b64 v[16:17], 2, v[16:17]
	s_clause 0x1
	global_load_b32 v38, v[82:83], off
	global_load_b32 v39, v[20:21], off
	v_lshlrev_b64 v[20:21], 2, v[22:23]
	v_add_nc_u32_e32 v22, s47, v93
	v_lshlrev_b64 v[18:19], 2, v[18:19]
	v_ashrrev_i32_e32 v25, 31, v24
	v_add_nc_u32_e32 v26, s48, v93
	v_add_co_u32 v16, vcc_lo, s8, v16
	v_ashrrev_i32_e32 v23, 31, v22
	v_add_co_ci_u32_e32 v17, vcc_lo, s13, v17, vcc_lo
	v_add_nc_u32_e32 v28, s49, v93
	v_add_co_u32 v18, vcc_lo, s8, v18
	v_lshlrev_b64 v[24:25], 2, v[24:25]
	v_ashrrev_i32_e32 v27, 31, v26
	v_add_co_ci_u32_e32 v19, vcc_lo, s13, v19, vcc_lo
	v_add_nc_u32_e32 v30, s50, v93
	v_add_co_u32 v20, vcc_lo, s8, v20
	v_lshlrev_b64 v[22:23], 2, v[22:23]
	v_ashrrev_i32_e32 v29, 31, v28
	v_add_co_ci_u32_e32 v21, vcc_lo, s13, v21, vcc_lo
	v_add_co_u32 v24, vcc_lo, s8, v24
	v_lshlrev_b64 v[26:27], 2, v[26:27]
	v_ashrrev_i32_e32 v31, 31, v30
	v_add_co_ci_u32_e32 v25, vcc_lo, s13, v25, vcc_lo
	v_add_co_u32 v22, vcc_lo, s8, v22
	v_lshlrev_b64 v[28:29], 2, v[28:29]
	v_add_co_ci_u32_e32 v23, vcc_lo, s13, v23, vcc_lo
	v_add_nc_u32_e32 v32, s51, v93
	v_add_co_u32 v26, vcc_lo, s8, v26
	v_lshlrev_b64 v[30:31], 2, v[30:31]
	v_add_co_ci_u32_e32 v27, vcc_lo, s13, v27, vcc_lo
	v_add_nc_u32_e32 v34, s52, v93
	v_add_co_u32 v28, vcc_lo, s8, v28
	v_ashrrev_i32_e32 v33, 31, v32
	v_add_co_ci_u32_e32 v29, vcc_lo, s13, v29, vcc_lo
	v_add_nc_u32_e32 v36, s53, v93
	v_add_co_u32 v30, vcc_lo, s8, v30
	v_ashrrev_i32_e32 v35, 31, v34
	v_add_co_ci_u32_e32 v31, vcc_lo, s13, v31, vcc_lo
	s_clause 0x7
	global_load_b32 v40, v[16:17], off
	global_load_b32 v41, v[18:19], off
	global_load_b32 v42, v[20:21], off
	global_load_b32 v43, v[24:25], off
	global_load_b32 v44, v[22:23], off
	global_load_b32 v45, v[26:27], off
	global_load_b32 v46, v[28:29], off
	global_load_b32 v47, v[30:31], off
	v_add_nc_u32_e32 v18, s54, v93
	v_lshlrev_b64 v[32:33], 2, v[32:33]
	v_ashrrev_i32_e32 v37, 31, v36
	v_add_nc_u32_e32 v24, s55, v93
	v_lshlrev_b64 v[16:17], 2, v[34:35]
	v_ashrrev_i32_e32 v19, 31, v18
	v_add_nc_u32_e32 v26, s56, v93
	v_add_co_u32 v20, vcc_lo, s8, v32
	v_lshlrev_b64 v[22:23], 2, v[36:37]
	v_ashrrev_i32_e32 v25, 31, v24
	v_add_co_ci_u32_e32 v21, vcc_lo, s13, v33, vcc_lo
	v_add_nc_u32_e32 v28, s57, v93
	v_add_co_u32 v16, vcc_lo, s8, v16
	v_lshlrev_b64 v[18:19], 2, v[18:19]
	v_ashrrev_i32_e32 v27, 31, v26
	v_add_co_ci_u32_e32 v17, vcc_lo, s13, v17, vcc_lo
	v_add_nc_u32_e32 v30, s58, v93
	v_add_co_u32 v22, vcc_lo, s8, v22
	v_lshlrev_b64 v[24:25], 2, v[24:25]
	v_ashrrev_i32_e32 v29, 31, v28
	v_add_co_ci_u32_e32 v23, vcc_lo, s13, v23, vcc_lo
	v_add_co_u32 v18, vcc_lo, s8, v18
	v_lshlrev_b64 v[26:27], 2, v[26:27]
	v_ashrrev_i32_e32 v31, 31, v30
	v_add_co_ci_u32_e32 v19, vcc_lo, s13, v19, vcc_lo
	v_add_co_u32 v24, vcc_lo, s8, v24
	v_lshlrev_b64 v[28:29], 2, v[28:29]
	v_add_co_ci_u32_e32 v25, vcc_lo, s13, v25, vcc_lo
	v_add_nc_u32_e32 v32, s59, v93
	v_add_co_u32 v26, vcc_lo, s8, v26
	v_lshlrev_b64 v[30:31], 2, v[30:31]
	v_add_co_ci_u32_e32 v27, vcc_lo, s13, v27, vcc_lo
	v_add_nc_u32_e32 v34, s60, v93
	v_add_co_u32 v28, vcc_lo, s8, v28
	v_ashrrev_i32_e32 v33, 31, v32
	v_add_co_ci_u32_e32 v29, vcc_lo, s13, v29, vcc_lo
	v_add_nc_u32_e32 v36, s61, v93
	v_add_co_u32 v30, vcc_lo, s8, v30
	v_ashrrev_i32_e32 v35, 31, v34
	v_add_co_ci_u32_e32 v31, vcc_lo, s13, v31, vcc_lo
	s_clause 0x7
	global_load_b32 v48, v[20:21], off
	global_load_b32 v49, v[16:17], off
	global_load_b32 v50, v[22:23], off
	global_load_b32 v51, v[18:19], off
	global_load_b32 v52, v[24:25], off
	global_load_b32 v53, v[26:27], off
	global_load_b32 v54, v[28:29], off
	global_load_b32 v55, v[30:31], off
	v_add_nc_u32_e32 v18, s62, v93
	v_lshlrev_b64 v[32:33], 2, v[32:33]
	v_ashrrev_i32_e32 v37, 31, v36
	v_add_nc_u32_e32 v24, s63, v93
	v_lshlrev_b64 v[16:17], 2, v[34:35]
	v_ashrrev_i32_e32 v19, 31, v18
	v_add_nc_u32_e32 v26, s64, v93
	v_add_co_u32 v20, vcc_lo, s8, v32
	v_lshlrev_b64 v[22:23], 2, v[36:37]
	;; [unrolled: 49-line block ×3, first 2 shown]
	v_ashrrev_i32_e32 v25, 31, v24
	v_add_co_ci_u32_e32 v21, vcc_lo, s13, v33, vcc_lo
	v_add_co_u32 v16, vcc_lo, s8, v16
	v_lshlrev_b64 v[18:19], 2, v[18:19]
	v_ashrrev_i32_e32 v27, 31, v26
	v_add_co_ci_u32_e32 v17, vcc_lo, s13, v17, vcc_lo
	v_add_co_u32 v22, vcc_lo, s8, v22
	v_lshlrev_b64 v[24:25], 2, v[24:25]
	v_add_co_ci_u32_e32 v23, vcc_lo, s13, v23, vcc_lo
	v_add_co_u32 v18, vcc_lo, s8, v18
	v_lshlrev_b64 v[26:27], 2, v[26:27]
	v_add_co_ci_u32_e32 v19, vcc_lo, s13, v19, vcc_lo
	v_add_co_u32 v24, vcc_lo, s8, v24
	v_add_co_ci_u32_e32 v25, vcc_lo, s13, v25, vcc_lo
	s_delay_alu instid0(VALU_DEP_4)
	v_add_co_u32 v26, vcc_lo, s8, v26
	v_add_co_ci_u32_e32 v27, vcc_lo, s13, v27, vcc_lo
	s_clause 0x5
	global_load_b32 v32, v[20:21], off
	global_load_b32 v33, v[16:17], off
	;; [unrolled: 1-line block ×6, first 2 shown]
	v_mov_b32_e32 v84, 0
	s_and_not1_b32 vcc_lo, exec_lo, s24
	s_waitcnt vmcnt(31)
	ds_store_b32 v94, v38 offset:64
	s_waitcnt vmcnt(30)
	ds_store_b32 v94, v39 offset:208
	;; [unrolled: 2-line block ×16, first 2 shown]
	ds_load_b128 v[56:59], v96 offset:64
	ds_load_b128 v[60:63], v96 offset:80
	;; [unrolled: 1-line block ×8, first 2 shown]
	s_waitcnt vmcnt(15)
	ds_store_b32 v94, v54 offset:64
	s_waitcnt vmcnt(14)
	ds_store_b32 v94, v55 offset:208
	;; [unrolled: 2-line block ×16, first 2 shown]
	ds_load_b128 v[72:75], v96 offset:64
	ds_load_b128 v[76:79], v96 offset:80
	ds_load_b128 v[64:67], v96 offset:96
	ds_load_b128 v[68:71], v96 offset:112
	ds_load_b128 v[48:51], v96 offset:128
	ds_load_b128 v[52:55], v96 offset:144
	ds_load_b128 v[32:35], v96 offset:160
	ds_load_b128 v[36:39], v96 offset:176
	s_cbranch_vccnz .LBB49_38
; %bb.36:                               ;   in Loop: Header=BB49_35 Depth=1
	ds_load_b32 v86, v97
	v_dual_mov_b32 v84, 0 :: v_dual_mov_b32 v85, 0
	s_waitcnt lgkmcnt(0)
	v_cmp_gt_i32_e32 vcc_lo, 0, v86
	s_cbranch_vccnz .LBB49_38
; %bb.37:                               ;   in Loop: Header=BB49_35 Depth=1
	v_mad_u64_u32 v[84:85], null, v86, s9, v[81:82]
	s_delay_alu instid0(VALU_DEP_1) | instskip(NEXT) | instid1(VALU_DEP_1)
	v_ashrrev_i32_e32 v85, 31, v84
	v_lshlrev_b64 v[84:85], 2, v[84:85]
	s_delay_alu instid0(VALU_DEP_1) | instskip(NEXT) | instid1(VALU_DEP_2)
	v_add_co_u32 v84, vcc_lo, s14, v84
	v_add_co_ci_u32_e32 v85, vcc_lo, s18, v85, vcc_lo
	global_load_b64 v[84:85], v[84:85], off
.LBB49_38:                              ;   in Loop: Header=BB49_35 Depth=1
	s_waitcnt vmcnt(0)
	v_cvt_f16_f32_e32 v84, v84
	v_cvt_f16_f32_e32 v85, v85
	v_mov_b32_e32 v87, 0
	s_and_not1_b32 vcc_lo, exec_lo, s25
	v_mov_b32_e32 v86, 0
	s_delay_alu instid0(VALU_DEP_3)
	v_pack_b32_f16 v84, v84, v85
	v_mov_b32_e32 v85, 0
	ds_store_b32 v94, v84 offset:64
	s_cbranch_vccnz .LBB49_41
; %bb.39:                               ;   in Loop: Header=BB49_35 Depth=1
	ds_load_b32 v84, v97 offset:4
	v_dual_mov_b32 v86, 0 :: v_dual_mov_b32 v87, 0
	s_waitcnt lgkmcnt(0)
	v_cmp_gt_i32_e32 vcc_lo, 0, v84
	s_cbranch_vccnz .LBB49_41
; %bb.40:                               ;   in Loop: Header=BB49_35 Depth=1
	v_mul_lo_u32 v84, v84, s9
	s_delay_alu instid0(VALU_DEP_1) | instskip(NEXT) | instid1(VALU_DEP_1)
	v_add3_u32 v86, v84, s20, v81
	v_ashrrev_i32_e32 v87, 31, v86
	s_delay_alu instid0(VALU_DEP_1) | instskip(NEXT) | instid1(VALU_DEP_1)
	v_lshlrev_b64 v[86:87], 2, v[86:87]
	v_add_co_u32 v86, vcc_lo, s14, v86
	s_delay_alu instid0(VALU_DEP_2)
	v_add_co_ci_u32_e32 v87, vcc_lo, s18, v87, vcc_lo
	global_load_b64 v[86:87], v[86:87], off
.LBB49_41:                              ;   in Loop: Header=BB49_35 Depth=1
	s_waitcnt vmcnt(0)
	v_cvt_f16_f32_e32 v84, v86
	v_cvt_f16_f32_e32 v86, v87
	s_and_not1_b32 vcc_lo, exec_lo, s27
	s_delay_alu instid0(VALU_DEP_1)
	v_pack_b32_f16 v86, v84, v86
	v_mov_b32_e32 v84, 0
	ds_store_b32 v94, v86 offset:208
	s_cbranch_vccnz .LBB49_44
; %bb.42:                               ;   in Loop: Header=BB49_35 Depth=1
	ds_load_b32 v86, v97 offset:8
	v_dual_mov_b32 v84, 0 :: v_dual_mov_b32 v85, 0
	s_waitcnt lgkmcnt(0)
	v_cmp_gt_i32_e32 vcc_lo, 0, v86
	s_cbranch_vccnz .LBB49_44
; %bb.43:                               ;   in Loop: Header=BB49_35 Depth=1
	v_mul_lo_u32 v84, v86, s9
	s_delay_alu instid0(VALU_DEP_1) | instskip(NEXT) | instid1(VALU_DEP_1)
	v_add3_u32 v84, v84, s28, v81
	v_ashrrev_i32_e32 v85, 31, v84
	s_delay_alu instid0(VALU_DEP_1) | instskip(NEXT) | instid1(VALU_DEP_1)
	v_lshlrev_b64 v[84:85], 2, v[84:85]
	v_add_co_u32 v84, vcc_lo, s14, v84
	s_delay_alu instid0(VALU_DEP_2)
	v_add_co_ci_u32_e32 v85, vcc_lo, s18, v85, vcc_lo
	global_load_b64 v[84:85], v[84:85], off
.LBB49_44:                              ;   in Loop: Header=BB49_35 Depth=1
	s_waitcnt vmcnt(0)
	v_cvt_f16_f32_e32 v84, v84
	v_cvt_f16_f32_e32 v85, v85
	v_mov_b32_e32 v87, 0
	s_and_not1_b32 vcc_lo, exec_lo, s29
	v_mov_b32_e32 v86, 0
	s_delay_alu instid0(VALU_DEP_3)
	v_pack_b32_f16 v84, v84, v85
	v_mov_b32_e32 v85, 0
	ds_store_b32 v94, v84 offset:352
	s_cbranch_vccnz .LBB49_47
; %bb.45:                               ;   in Loop: Header=BB49_35 Depth=1
	ds_load_b32 v84, v97 offset:12
	v_dual_mov_b32 v86, 0 :: v_dual_mov_b32 v87, 0
	s_waitcnt lgkmcnt(0)
	v_cmp_gt_i32_e32 vcc_lo, 0, v84
	s_cbranch_vccnz .LBB49_47
; %bb.46:                               ;   in Loop: Header=BB49_35 Depth=1
	v_mul_lo_u32 v84, v84, s9
	s_delay_alu instid0(VALU_DEP_1) | instskip(NEXT) | instid1(VALU_DEP_1)
	v_add3_u32 v86, v84, s36, v81
	v_ashrrev_i32_e32 v87, 31, v86
	s_delay_alu instid0(VALU_DEP_1) | instskip(NEXT) | instid1(VALU_DEP_1)
	v_lshlrev_b64 v[86:87], 2, v[86:87]
	v_add_co_u32 v86, vcc_lo, s14, v86
	s_delay_alu instid0(VALU_DEP_2)
	v_add_co_ci_u32_e32 v87, vcc_lo, s18, v87, vcc_lo
	global_load_b64 v[86:87], v[86:87], off
.LBB49_47:                              ;   in Loop: Header=BB49_35 Depth=1
	s_waitcnt vmcnt(0)
	v_cvt_f16_f32_e32 v84, v86
	v_cvt_f16_f32_e32 v86, v87
	s_and_not1_b32 vcc_lo, exec_lo, s30
	s_delay_alu instid0(VALU_DEP_1)
	v_pack_b32_f16 v86, v84, v86
	v_mov_b32_e32 v84, 0
	ds_store_b32 v94, v86 offset:496
	s_cbranch_vccnz .LBB49_50
; %bb.48:                               ;   in Loop: Header=BB49_35 Depth=1
	ds_load_b32 v86, v97 offset:16
	v_dual_mov_b32 v84, 0 :: v_dual_mov_b32 v85, 0
	s_waitcnt lgkmcnt(0)
	v_cmp_gt_i32_e32 vcc_lo, 0, v86
	s_cbranch_vccnz .LBB49_50
; %bb.49:                               ;   in Loop: Header=BB49_35 Depth=1
	v_mul_lo_u32 v84, v86, s9
	s_delay_alu instid0(VALU_DEP_1) | instskip(NEXT) | instid1(VALU_DEP_1)
	v_add3_u32 v84, v84, s31, v81
	v_ashrrev_i32_e32 v85, 31, v84
	s_delay_alu instid0(VALU_DEP_1) | instskip(NEXT) | instid1(VALU_DEP_1)
	v_lshlrev_b64 v[84:85], 2, v[84:85]
	v_add_co_u32 v84, vcc_lo, s14, v84
	s_delay_alu instid0(VALU_DEP_2)
	v_add_co_ci_u32_e32 v85, vcc_lo, s18, v85, vcc_lo
	global_load_b64 v[84:85], v[84:85], off
.LBB49_50:                              ;   in Loop: Header=BB49_35 Depth=1
	;; [unrolled: 56-line block ×4, first 2 shown]
	s_waitcnt vmcnt(0)
	v_cvt_f16_f32_e32 v84, v84
	v_cvt_f16_f32_e32 v85, v85
	v_mov_b32_e32 v87, 0
	s_and_not1_b32 vcc_lo, exec_lo, s40
	v_mov_b32_e32 v86, 0
	s_delay_alu instid0(VALU_DEP_3)
	v_pack_b32_f16 v84, v84, v85
	v_mov_b32_e32 v85, 0
	ds_store_b32 v94, v84 offset:1216
	s_cbranch_vccnz .LBB49_65
; %bb.63:                               ;   in Loop: Header=BB49_35 Depth=1
	ds_load_b32 v84, v97 offset:36
	v_dual_mov_b32 v86, 0 :: v_dual_mov_b32 v87, 0
	s_waitcnt lgkmcnt(0)
	v_cmp_gt_i32_e32 vcc_lo, 0, v84
	s_cbranch_vccnz .LBB49_65
; %bb.64:                               ;   in Loop: Header=BB49_35 Depth=1
	v_mul_lo_u32 v84, v84, s9
	s_delay_alu instid0(VALU_DEP_1) | instskip(NEXT) | instid1(VALU_DEP_1)
	v_add3_u32 v86, v84, s5, v81
	v_ashrrev_i32_e32 v87, 31, v86
	s_delay_alu instid0(VALU_DEP_1) | instskip(NEXT) | instid1(VALU_DEP_1)
	v_lshlrev_b64 v[86:87], 2, v[86:87]
	v_add_co_u32 v86, vcc_lo, s14, v86
	s_delay_alu instid0(VALU_DEP_2)
	v_add_co_ci_u32_e32 v87, vcc_lo, s18, v87, vcc_lo
	global_load_b64 v[86:87], v[86:87], off
.LBB49_65:                              ;   in Loop: Header=BB49_35 Depth=1
	s_waitcnt vmcnt(0)
	v_cvt_f16_f32_e32 v84, v86
	v_cvt_f16_f32_e32 v86, v87
	s_and_not1_b32 vcc_lo, exec_lo, s17
	s_delay_alu instid0(VALU_DEP_1)
	v_pack_b32_f16 v86, v84, v86
	v_mov_b32_e32 v84, 0
	ds_store_b32 v94, v86 offset:1360
	s_cbranch_vccnz .LBB49_34
; %bb.66:                               ;   in Loop: Header=BB49_35 Depth=1
	ds_load_b32 v86, v97 offset:40
	v_dual_mov_b32 v84, 0 :: v_dual_mov_b32 v85, 0
	s_waitcnt lgkmcnt(0)
	v_cmp_gt_i32_e32 vcc_lo, 0, v86
	s_cbranch_vccnz .LBB49_34
; %bb.67:                               ;   in Loop: Header=BB49_35 Depth=1
	v_mul_lo_u32 v84, v86, s9
	s_delay_alu instid0(VALU_DEP_1) | instskip(NEXT) | instid1(VALU_DEP_1)
	v_add3_u32 v84, v84, s4, v81
	v_ashrrev_i32_e32 v85, 31, v84
	s_delay_alu instid0(VALU_DEP_1) | instskip(NEXT) | instid1(VALU_DEP_1)
	v_lshlrev_b64 v[84:85], 2, v[84:85]
	v_add_co_u32 v84, vcc_lo, s14, v84
	s_delay_alu instid0(VALU_DEP_2)
	v_add_co_ci_u32_e32 v85, vcc_lo, s18, v85, vcc_lo
	global_load_b64 v[84:85], v[84:85], off
	s_branch .LBB49_34
.LBB49_68:
	s_or_b32 exec_lo, exec_lo, s19
.LBB49_69:
	s_delay_alu instid0(SALU_CYCLE_1) | instskip(SKIP_4) | instid1(VALU_DEP_3)
	s_or_b32 exec_lo, exec_lo, s11
	v_lshrrev_b32_e32 v16, 2, v80
	s_movk_i32 s0, 0x410
	v_lshlrev_b32_e32 v17, 2, v91
	v_mad_u32_u24 v18, v92, s0, 0x100
	v_and_b32_e32 v16, 0xfc, v16
	s_barrier
	buffer_gl0_inv
	s_mov_b32 s0, exec_lo
	v_add3_u32 v17, v18, v16, v17
	v_lshl_add_u32 v16, v80, 2, 0x100
	ds_store_2addr_b32 v17, v8, v9 offset0:16 offset1:18
	ds_store_2addr_b32 v17, v10, v11 offset0:20 offset1:22
	;; [unrolled: 1-line block ×7, first 2 shown]
	v_mov_b32_e32 v9, -1
	v_mad_u32_u24 v0, 0x410, v88, v16
	ds_store_2addr_b32 v17, v6, v7 offset0:44 offset1:46
	s_waitcnt lgkmcnt(0)
	s_barrier
	buffer_gl0_inv
	ds_load_2addr_b32 v[6:7], v0 offset0:16 offset1:48
	ds_load_2addr_b32 v[4:5], v0 offset0:80 offset1:112
	;; [unrolled: 1-line block ×4, first 2 shown]
	v_cmpx_gt_u32_e32 11, v88
	s_cbranch_execz .LBB49_71
; %bb.70:
	ds_load_b32 v9, v89
.LBB49_71:
	s_or_b32 exec_lo, exec_lo, s0
	s_mul_hi_i32 s5, s26, s15
	s_mul_i32 s4, s26, s15
	s_mul_hi_i32 s7, s12, s21
	s_lshl_b64 s[4:5], s[4:5], 2
	s_mul_i32 s6, s12, s21
	s_waitcnt lgkmcnt(0)
	v_cmp_lt_i32_e32 vcc_lo, -1, v9
	s_add_u32 s0, s22, s4
	s_addc_u32 s8, s23, s5
	s_lshl_b64 s[4:5], s[6:7], 2
	v_add_nc_u32_e32 v8, s1, v80
	s_add_u32 s0, s0, s4
	s_addc_u32 s1, s8, s5
	s_and_b32 s4, vcc_lo, s2
	s_delay_alu instid0(SALU_CYCLE_1)
	s_and_saveexec_b32 s2, s4
	s_cbranch_execz .LBB49_73
; %bb.72:
	v_add_f32_e32 v6, 0, v6
	s_delay_alu instid0(VALU_DEP_1) | instskip(NEXT) | instid1(VALU_DEP_1)
	v_add_f32_e32 v6, v6, v7
	v_add_f32_e32 v4, v6, v4
	v_mul_lo_u32 v6, v88, s21
	s_delay_alu instid0(VALU_DEP_2) | instskip(SKIP_1) | instid1(VALU_DEP_2)
	v_add_f32_e32 v4, v4, v5
	v_mul_lo_u32 v5, v9, s10
	v_add_f32_e32 v2, v4, v2
	v_mov_b32_e32 v4, 0
	s_delay_alu instid0(VALU_DEP_2) | instskip(NEXT) | instid1(VALU_DEP_4)
	v_add_f32_e32 v2, v2, v3
	v_add3_u32 v3, v8, v6, v5
	s_delay_alu instid0(VALU_DEP_2) | instskip(NEXT) | instid1(VALU_DEP_2)
	v_add_f32_e32 v0, v2, v0
	v_lshlrev_b64 v[2:3], 2, v[3:4]
	s_delay_alu instid0(VALU_DEP_2) | instskip(NEXT) | instid1(VALU_DEP_2)
	v_add_f32_e32 v4, v0, v1
	v_add_co_u32 v0, vcc_lo, s0, v2
	s_delay_alu instid0(VALU_DEP_3)
	v_add_co_ci_u32_e32 v1, vcc_lo, s1, v3, vcc_lo
	global_store_b32 v[0:1], v4, off
.LBB49_73:
	s_or_b32 exec_lo, exec_lo, s2
	v_cmp_gt_u32_e32 vcc_lo, 3, v88
	s_and_b32 exec_lo, exec_lo, vcc_lo
	s_cbranch_execz .LBB49_76
; %bb.74:
	ds_load_b32 v0, v89 offset:32
	s_waitcnt lgkmcnt(0)
	v_cmp_lt_i32_e32 vcc_lo, -1, v0
	s_and_b32 s2, vcc_lo, s3
	s_delay_alu instid0(SALU_CYCLE_1)
	s_and_b32 exec_lo, exec_lo, s2
	s_cbranch_execz .LBB49_76
; %bb.75:
	v_mul_u32_u24_e32 v1, 0x410, v88
	v_mul_lo_u32 v0, v0, s10
	s_delay_alu instid0(VALU_DEP_2) | instskip(NEXT) | instid1(VALU_DEP_1)
	v_add_nc_u32_e32 v7, v1, v16
	v_add_nc_u32_e32 v5, 0x2000, v7
	ds_load_2addr_b32 v[1:2], v5 offset0:48 offset1:80
	ds_load_2addr_b32 v[3:4], v5 offset0:112 offset1:144
	;; [unrolled: 1-line block ×3, first 2 shown]
	s_waitcnt lgkmcnt(2)
	v_add_f32_e32 v1, 0, v1
	s_delay_alu instid0(VALU_DEP_1) | instskip(SKIP_1) | instid1(VALU_DEP_1)
	v_add_f32_e32 v9, v1, v2
	s_waitcnt lgkmcnt(1)
	v_add_f32_e32 v3, v9, v3
	s_delay_alu instid0(VALU_DEP_1) | instskip(SKIP_2) | instid1(VALU_DEP_2)
	v_dual_add_f32 v3, v3, v4 :: v_dual_mov_b32 v4, 0
	v_add_nc_u32_e32 v7, 0x2200, v7
	s_waitcnt lgkmcnt(0)
	v_add_f32_e32 v3, v3, v5
	ds_load_2addr_b32 v[1:2], v7 offset0:112 offset1:144
	v_mul_lo_u32 v7, v90, s21
	v_add_f32_e32 v5, v3, v6
	s_delay_alu instid0(VALU_DEP_2) | instskip(SKIP_1) | instid1(VALU_DEP_2)
	v_add3_u32 v3, v8, v7, v0
	s_waitcnt lgkmcnt(0)
	v_add_f32_e32 v5, v5, v1
	s_delay_alu instid0(VALU_DEP_2) | instskip(NEXT) | instid1(VALU_DEP_2)
	v_lshlrev_b64 v[0:1], 2, v[3:4]
	v_add_f32_e32 v2, v5, v2
	s_delay_alu instid0(VALU_DEP_2) | instskip(NEXT) | instid1(VALU_DEP_3)
	v_add_co_u32 v0, vcc_lo, s0, v0
	v_add_co_ci_u32_e32 v1, vcc_lo, s1, v1, vcc_lo
	global_store_b32 v[0:1], v2, off
.LBB49_76:
	s_nop 0
	s_sendmsg sendmsg(MSG_DEALLOC_VGPRS)
	s_endpgm
	.section	.rodata,"a",@progbits
	.p2align	6, 0x0
	.amdhsa_kernel _ZL9mul_mat_fI7__half2Li32ELi11ELi8ELb1EEvPKT_PKfPKiPfiiiiiiiiiiiiiiii
		.amdhsa_group_segment_fixed_size 256
		.amdhsa_private_segment_fixed_size 0
		.amdhsa_kernarg_size 352
		.amdhsa_user_sgpr_count 13
		.amdhsa_user_sgpr_dispatch_ptr 0
		.amdhsa_user_sgpr_queue_ptr 0
		.amdhsa_user_sgpr_kernarg_segment_ptr 1
		.amdhsa_user_sgpr_dispatch_id 0
		.amdhsa_user_sgpr_private_segment_size 0
		.amdhsa_wavefront_size32 1
		.amdhsa_uses_dynamic_stack 0
		.amdhsa_enable_private_segment 0
		.amdhsa_system_sgpr_workgroup_id_x 1
		.amdhsa_system_sgpr_workgroup_id_y 1
		.amdhsa_system_sgpr_workgroup_id_z 1
		.amdhsa_system_sgpr_workgroup_info 0
		.amdhsa_system_vgpr_workitem_id 2
		.amdhsa_next_free_vgpr 122
		.amdhsa_next_free_sgpr 73
		.amdhsa_reserve_vcc 1
		.amdhsa_float_round_mode_32 0
		.amdhsa_float_round_mode_16_64 0
		.amdhsa_float_denorm_mode_32 3
		.amdhsa_float_denorm_mode_16_64 3
		.amdhsa_dx10_clamp 1
		.amdhsa_ieee_mode 1
		.amdhsa_fp16_overflow 0
		.amdhsa_workgroup_processor_mode 1
		.amdhsa_memory_ordered 1
		.amdhsa_forward_progress 0
		.amdhsa_shared_vgpr_count 0
		.amdhsa_exception_fp_ieee_invalid_op 0
		.amdhsa_exception_fp_denorm_src 0
		.amdhsa_exception_fp_ieee_div_zero 0
		.amdhsa_exception_fp_ieee_overflow 0
		.amdhsa_exception_fp_ieee_underflow 0
		.amdhsa_exception_fp_ieee_inexact 0
		.amdhsa_exception_int_div_zero 0
	.end_amdhsa_kernel
	.section	.text._ZL9mul_mat_fI7__half2Li32ELi11ELi8ELb1EEvPKT_PKfPKiPfiiiiiiiiiiiiiiii,"axG",@progbits,_ZL9mul_mat_fI7__half2Li32ELi11ELi8ELb1EEvPKT_PKfPKiPfiiiiiiiiiiiiiiii,comdat
.Lfunc_end49:
	.size	_ZL9mul_mat_fI7__half2Li32ELi11ELi8ELb1EEvPKT_PKfPKiPfiiiiiiiiiiiiiiii, .Lfunc_end49-_ZL9mul_mat_fI7__half2Li32ELi11ELi8ELb1EEvPKT_PKfPKiPfiiiiiiiiiiiiiiii
                                        ; -- End function
	.section	.AMDGPU.csdata,"",@progbits
; Kernel info:
; codeLenInByte = 6276
; NumSgprs: 75
; NumVgprs: 122
; ScratchSize: 0
; MemoryBound: 0
; FloatMode: 240
; IeeeMode: 1
; LDSByteSize: 256 bytes/workgroup (compile time only)
; SGPRBlocks: 9
; VGPRBlocks: 15
; NumSGPRsForWavesPerEU: 75
; NumVGPRsForWavesPerEU: 122
; Occupancy: 10
; WaveLimiterHint : 0
; COMPUTE_PGM_RSRC2:SCRATCH_EN: 0
; COMPUTE_PGM_RSRC2:USER_SGPR: 13
; COMPUTE_PGM_RSRC2:TRAP_HANDLER: 0
; COMPUTE_PGM_RSRC2:TGID_X_EN: 1
; COMPUTE_PGM_RSRC2:TGID_Y_EN: 1
; COMPUTE_PGM_RSRC2:TGID_Z_EN: 1
; COMPUTE_PGM_RSRC2:TIDIG_COMP_CNT: 2
	.section	.text._ZL9mul_mat_fI7__half2Li32ELi11ELi8ELb0EEvPKT_PKfPKiPfiiiiiiiiiiiiiiii,"axG",@progbits,_ZL9mul_mat_fI7__half2Li32ELi11ELi8ELb0EEvPKT_PKfPKiPfiiiiiiiiiiiiiiii,comdat
	.globl	_ZL9mul_mat_fI7__half2Li32ELi11ELi8ELb0EEvPKT_PKfPKiPfiiiiiiiiiiiiiiii ; -- Begin function _ZL9mul_mat_fI7__half2Li32ELi11ELi8ELb0EEvPKT_PKfPKiPfiiiiiiiiiiiiiiii
	.p2align	8
	.type	_ZL9mul_mat_fI7__half2Li32ELi11ELi8ELb0EEvPKT_PKfPKiPfiiiiiiiiiiiiiiii,@function
_ZL9mul_mat_fI7__half2Li32ELi11ELi8ELb0EEvPKT_PKfPKiPfiiiiiiiiiiiiiiii: ; @_ZL9mul_mat_fI7__half2Li32ELi11ELi8ELb0EEvPKT_PKfPKiPfiiiiiiiiiiiiiiii
; %bb.0:
	s_clause 0x2
	s_load_b256 s[4:11], s[0:1], 0x40
	s_load_b32 s22, s[0:1], 0x20
	s_load_b128 s[16:19], s[0:1], 0x2c
	v_bfe_u32 v72, v0, 10, 10
	v_and_b32_e32 v73, 0x3ff, v0
	s_mov_b32 s12, 0
	s_ashr_i32 s24, s15, 31
	s_waitcnt lgkmcnt(0)
	s_mov_b32 s19, exec_lo
	v_and_b32_e32 v75, 15, v73
	s_abs_i32 s2, s4
	s_abs_i32 s23, s8
	v_cvt_f32_u32_e32 v1, s2
	v_cvt_f32_u32_e32 v2, s23
	s_delay_alu instid0(VALU_DEP_2) | instskip(NEXT) | instid1(VALU_DEP_1)
	v_rcp_iflag_f32_e32 v1, v1
	v_rcp_iflag_f32_e32 v2, v2
	v_lshlrev_b32_e32 v74, 5, v72
	s_waitcnt_depctr 0xfff
	v_dual_mul_f32 v0, 0x4f7ffffe, v1 :: v_dual_mul_f32 v1, 0x4f7ffffe, v2
	v_add_nc_u32_e32 v76, v74, v73
	s_delay_alu instid0(VALU_DEP_2) | instskip(NEXT) | instid1(VALU_DEP_3)
	v_cvt_u32_f32_e32 v0, v0
	v_cvt_u32_f32_e32 v1, v1
	s_delay_alu instid0(VALU_DEP_2) | instskip(NEXT) | instid1(VALU_DEP_2)
	v_readfirstlane_b32 s25, v0
	v_readfirstlane_b32 s3, v1
	v_cmpx_le_i32_e64 s22, v76
	s_xor_b32 s19, exec_lo, s19
; %bb.1:
	v_and_b32_e32 v75, 15, v73
                                        ; implicit-def: $vgpr76
; %bb.2:
	s_or_saveexec_b32 s19, s19
	s_load_b64 s[20:21], s[0:1], 0x18
	v_dual_mov_b32 v15, s12 :: v_dual_mov_b32 v14, s12
	v_dual_mov_b32 v13, s12 :: v_dual_mov_b32 v12, s12
	;; [unrolled: 1-line block ×8, first 2 shown]
	s_lshl_b32 s12, s13, 5
	s_xor_b32 exec_lo, exec_lo, s19
	s_cbranch_execz .LBB50_6
; %bb.3:
	s_sub_i32 s13, 0, s2
	s_sub_i32 s26, 0, s23
	s_mul_i32 s13, s13, s25
	s_mul_i32 s26, s26, s3
	s_mul_hi_u32 s13, s25, s13
	s_mul_hi_u32 s26, s3, s26
	s_abs_i32 s27, s14
	s_add_i32 s25, s25, s13
	s_add_i32 s26, s3, s26
	s_mul_hi_u32 s3, s27, s25
	s_ashr_i32 s25, s14, 31
	s_ashr_i32 s4, s4, 31
	s_mul_i32 s28, s3, s2
	s_xor_b32 s4, s25, s4
	s_sub_i32 s25, s27, s28
	s_abs_i32 s13, s15
	s_ashr_i32 s8, s8, 31
	s_add_i32 s27, s3, 1
	s_sub_i32 s28, s25, s2
	s_cmp_ge_u32 s25, s2
	s_mul_hi_u32 s26, s13, s26
	s_cselect_b32 s3, s27, s3
	s_cselect_b32 s25, s28, s25
	s_add_i32 s27, s3, 1
	s_cmp_ge_u32 s25, s2
	s_mul_i32 s28, s14, s6
	s_cselect_b32 s25, s27, s3
	s_load_b128 s[0:3], s[0:1], 0x0
	s_xor_b32 s25, s25, s4
	s_xor_b32 s8, s24, s8
	s_sub_i32 s4, s25, s4
	s_mul_i32 s25, s26, s23
	s_add_i32 s24, s26, 1
	s_sub_i32 s13, s13, s25
	s_mul_i32 s4, s4, s5
	s_sub_i32 s25, s13, s23
	s_cmp_ge_u32 s13, s23
	s_mul_hi_i32 s27, s10, s15
	s_cselect_b32 s24, s24, s26
	s_cselect_b32 s13, s25, s13
	s_add_i32 s25, s24, 1
	s_cmp_ge_u32 s13, s23
	s_mul_i32 s26, s10, s15
	s_cselect_b32 s13, s25, s24
	s_ashr_i32 s5, s4, 31
	s_xor_b32 s13, s13, s8
	v_lshlrev_b32_e32 v3, 7, v72
	s_sub_i32 s8, s13, s8
	v_mad_u32_u24 v1, 0x900, v72, 0
	s_mul_hi_i32 s25, s8, s9
	s_mul_i32 s24, s8, s9
	s_mul_i32 s8, s12, s16
	s_lshl_b64 s[24:25], s[24:25], 2
	v_dual_mov_b32 v79, 0 :: v_dual_lshlrev_b32 v0, 2, v73
	s_waitcnt lgkmcnt(0)
	s_add_u32 s13, s0, s24
	s_addc_u32 s23, s1, s25
	s_ashr_i32 s9, s8, 31
	s_lshl_b64 s[4:5], s[4:5], 2
	s_lshl_b64 s[8:9], s[8:9], 2
	v_lshlrev_b32_e32 v5, 8, v72
	s_add_u32 s30, s4, s8
	s_addc_u32 s31, s5, s9
	s_add_u32 s6, s30, s13
	s_addc_u32 s8, s31, s23
	s_ashr_i32 s29, s28, 31
	s_lshl_b64 s[4:5], s[26:27], 2
	s_lshl_b64 s[26:27], s[28:29], 2
	v_add_nc_u32_e32 v77, v1, v0
	s_add_u32 s13, s2, s26
	s_addc_u32 s23, s3, s27
	s_add_u32 s9, s13, s4
	s_addc_u32 s10, s23, s5
	s_ashr_i32 s3, s16, 31
	s_mov_b32 s2, s16
	s_ashr_i32 s27, s17, 31
	s_lshl_b64 s[2:3], s[2:3], 2
	s_add_u32 s24, s30, s24
	s_addc_u32 s25, s31, s25
	v_add_co_u32 v3, s24, s24, v3
	s_delay_alu instid0(VALU_DEP_1) | instskip(SKIP_1) | instid1(VALU_DEP_3)
	v_add_co_ci_u32_e64 v4, null, s25, 0, s24
	v_lshlrev_b32_e32 v6, 3, v73
	v_add_co_u32 v0, vcc_lo, v3, v0
	s_delay_alu instid0(VALU_DEP_3) | instskip(SKIP_1) | instid1(VALU_DEP_3)
	v_add_co_ci_u32_e32 v3, vcc_lo, 0, v4, vcc_lo
	v_add_co_u32 v4, s4, s4, v5
	v_add_co_u32 v16, vcc_lo, s0, v0
	v_add_co_ci_u32_e64 v5, null, s5, 0, s4
	s_delay_alu instid0(VALU_DEP_4) | instskip(NEXT) | instid1(VALU_DEP_4)
	v_add_co_ci_u32_e32 v17, vcc_lo, s1, v3, vcc_lo
	v_add_co_u32 v0, vcc_lo, v4, v6
	s_delay_alu instid0(VALU_DEP_3) | instskip(SKIP_1) | instid1(VALU_DEP_3)
	v_add_co_ci_u32_e32 v3, vcc_lo, 0, v5, vcc_lo
	v_mul_u32_u24_e32 v2, 0x90, v75
	v_add_co_u32 v18, vcc_lo, s13, v0
	v_mov_b32_e32 v0, 0
	s_delay_alu instid0(VALU_DEP_4) | instskip(NEXT) | instid1(VALU_DEP_4)
	v_add_co_ci_u32_e32 v19, vcc_lo, s23, v3, vcc_lo
	v_add_nc_u32_e32 v78, v1, v2
	s_mov_b32 s26, s17
	s_delay_alu instid0(VALU_DEP_3)
	v_mov_b32_e32 v3, v0
	v_mov_b32_e32 v1, v0
	;; [unrolled: 1-line block ×15, first 2 shown]
	s_lshl_b64 s[4:5], s[26:27], 3
	s_mul_i32 s1, s16, 31
	s_lshl_b32 s13, s17, 1
	s_mul_i32 s23, s17, 3
	s_lshl_b32 s24, s17, 2
	s_mul_i32 s25, s17, 5
	s_mul_i32 s26, s17, 6
	;; [unrolled: 1-line block ×3, first 2 shown]
	s_lshl_b32 s28, s17, 3
	s_mul_i32 s29, s17, 9
	s_mul_i32 s17, s17, 10
	s_lshl_b32 s30, s16, 1
	s_mul_i32 s31, s16, 3
	s_lshl_b32 s33, s16, 2
	s_mul_i32 s34, s16, 5
	s_mul_i32 s35, s16, 6
	;; [unrolled: 1-line block ×3, first 2 shown]
	s_lshl_b32 s37, s16, 3
	s_mul_i32 s38, s16, 9
	s_mul_i32 s39, s16, 10
	;; [unrolled: 1-line block ×7, first 2 shown]
	s_lshl_b32 s45, s16, 4
	s_mul_i32 s46, s16, 17
	s_mul_i32 s47, s16, 18
	;; [unrolled: 1-line block ×14, first 2 shown]
	s_mov_b32 s16, 0
.LBB50_4:                               ; =>This Inner Loop Header: Depth=1
	v_add_nc_u32_e32 v20, s30, v76
	v_add_nc_u32_e32 v22, s31, v76
	;; [unrolled: 1-line block ×4, first 2 shown]
	v_add_co_u32 v106, vcc_lo, v16, s2
	v_ashrrev_i32_e32 v21, 31, v20
	v_ashrrev_i32_e32 v23, 31, v22
	;; [unrolled: 1-line block ×3, first 2 shown]
	v_add_nc_u32_e32 v28, s35, v76
	v_add_co_ci_u32_e32 v107, vcc_lo, s3, v17, vcc_lo
	v_lshlrev_b64 v[20:21], 2, v[20:21]
	v_add_co_u32 v110, vcc_lo, v18, s4
	v_lshlrev_b64 v[22:23], 2, v[22:23]
	v_ashrrev_i32_e32 v27, 31, v26
	v_add_nc_u32_e32 v30, s36, v76
	v_add_co_ci_u32_e32 v111, vcc_lo, s5, v19, vcc_lo
	v_lshlrev_b64 v[24:25], 2, v[24:25]
	v_add_co_u32 v20, vcc_lo, s6, v20
	v_ashrrev_i32_e32 v29, 31, v28
	v_add_nc_u32_e32 v32, s37, v76
	v_add_co_ci_u32_e32 v21, vcc_lo, s8, v21, vcc_lo
	v_lshlrev_b64 v[26:27], 2, v[26:27]
	v_add_co_u32 v22, vcc_lo, s6, v22
	;; [unrolled: 5-line block ×34, first 2 shown]
	v_ashrrev_i32_e32 v103, 31, v102
	v_add_co_ci_u32_e32 v95, vcc_lo, s10, v95, vcc_lo
	v_lshlrev_b64 v[100:101], 3, v[100:101]
	v_add_co_u32 v96, vcc_lo, s9, v96
	v_ashrrev_i32_e32 v105, 31, v104
	v_add_co_ci_u32_e32 v97, vcc_lo, s10, v97, vcc_lo
	v_lshlrev_b64 v[102:103], 3, v[102:103]
	v_add_co_u32 v98, vcc_lo, s9, v98
	v_add_co_ci_u32_e32 v99, vcc_lo, s10, v99, vcc_lo
	global_load_b64 v[108:109], v[18:19], off
	global_load_b32 v112, v[16:17], off
	v_lshlrev_b64 v[104:105], 3, v[104:105]
	v_add_co_u32 v100, vcc_lo, s9, v100
	v_add_co_ci_u32_e32 v101, vcc_lo, s10, v101, vcc_lo
	global_load_b32 v113, v[106:107], off
	global_load_b64 v[106:107], v[110:111], off
	v_add_co_u32 v102, vcc_lo, s9, v102
	v_add_co_ci_u32_e32 v103, vcc_lo, s10, v103, vcc_lo
	v_add_co_u32 v104, vcc_lo, s9, v104
	v_add_co_ci_u32_e32 v105, vcc_lo, s10, v105, vcc_lo
	s_clause 0xd
	global_load_b32 v110, v[20:21], off
	global_load_b32 v111, v[22:23], off
	;; [unrolled: 1-line block ×14, first 2 shown]
	s_clause 0x8
	global_load_b64 v[20:21], v[88:89], off
	global_load_b64 v[22:23], v[90:91], off
	;; [unrolled: 1-line block ×9, first 2 shown]
	s_clause 0xf
	global_load_b32 v88, v[48:49], off
	global_load_b32 v89, v[50:51], off
	;; [unrolled: 1-line block ×16, first 2 shown]
	v_add_nc_u32_e32 v76, 0x100, v76
	v_add_co_u32 v16, vcc_lo, 0x400, v16
	v_add_co_ci_u32_e32 v17, vcc_lo, 0, v17, vcc_lo
	v_add_co_u32 v18, vcc_lo, 0x800, v18
	s_delay_alu instid0(VALU_DEP_4) | instskip(SKIP_1) | instid1(VALU_DEP_2)
	v_cmp_le_i32_e64 s0, s22, v76
	v_add_co_ci_u32_e32 v19, vcc_lo, 0, v19, vcc_lo
	s_or_b32 s16, s0, s16
	s_waitcnt vmcnt(24)
	v_cvt_f16_f32_e32 v70, v20
	v_cvt_f16_f32_e32 v71, v21
	s_waitcnt vmcnt(23)
	v_cvt_f16_f32_e32 v96, v22
	v_cvt_f16_f32_e32 v97, v23
	;; [unrolled: 3-line block ×4, first 2 shown]
	v_cvt_f16_f32_e32 v43, v108
	v_cvt_f16_f32_e32 v44, v109
	ds_store_b32 v77, v112
	s_waitcnt vmcnt(20)
	v_cvt_f16_f32_e32 v102, v28
	v_cvt_f16_f32_e32 v103, v29
	s_waitcnt vmcnt(19)
	v_cvt_f16_f32_e32 v104, v30
	ds_store_b32 v77, v113 offset:144
	v_cvt_f16_f32_e32 v45, v106
	v_cvt_f16_f32_e32 v46, v107
	v_pack_b32_f16 v68, v43, v44
	ds_store_b32 v77, v110 offset:288
	ds_store_b32 v77, v111 offset:432
	;; [unrolled: 1-line block ×14, first 2 shown]
	v_cvt_f16_f32_e32 v105, v31
	s_waitcnt vmcnt(18)
	v_cvt_f16_f32_e32 v106, v32
	v_pack_b32_f16 v69, v45, v46
	v_cvt_f16_f32_e32 v107, v33
	s_waitcnt vmcnt(17)
	v_cvt_f16_f32_e32 v108, v34
	v_cvt_f16_f32_e32 v109, v35
	s_waitcnt vmcnt(16)
	v_cvt_f16_f32_e32 v110, v36
	v_cvt_f16_f32_e32 v111, v37
	ds_load_b128 v[20:23], v78
	ds_load_b128 v[24:27], v78 offset:16
	ds_load_b128 v[28:31], v78 offset:32
	;; [unrolled: 1-line block ×7, first 2 shown]
	s_waitcnt vmcnt(15)
	ds_store_b32 v77, v88
	s_waitcnt vmcnt(14)
	ds_store_b32 v77, v89 offset:144
	s_waitcnt vmcnt(13)
	ds_store_b32 v77, v52 offset:288
	;; [unrolled: 2-line block ×15, first 2 shown]
	ds_load_b128 v[52:55], v78
	ds_load_b128 v[56:59], v78 offset:16
	ds_load_b128 v[60:63], v78 offset:32
	ds_load_b128 v[64:67], v78 offset:48
	ds_load_b128 v[80:83], v78 offset:64
	ds_load_b128 v[84:87], v78 offset:80
	ds_load_b128 v[88:91], v78 offset:96
	ds_load_b128 v[92:95], v78 offset:112
	ds_store_b32 v77, v68
	v_pack_b32_f16 v68, v70, v71
	v_pack_b32_f16 v70, v96, v97
	;; [unrolled: 1-line block ×9, first 2 shown]
	ds_store_b32 v77, v69 offset:144
	ds_store_b32 v77, v68 offset:288
	;; [unrolled: 1-line block ×15, first 2 shown]
	ds_load_b128 v[96:99], v78
	ds_load_b128 v[100:103], v78 offset:16
	ds_load_b128 v[104:107], v78 offset:32
	;; [unrolled: 1-line block ×5, first 2 shown]
	s_waitcnt lgkmcnt(4)
	v_wmma_f32_16x16x16_f16 v[8:15], v[20:27], v[96:103], v[8:15]
	ds_load_b128 v[20:23], v78 offset:96
	ds_load_b128 v[24:27], v78 offset:112
	v_wmma_f32_16x16x16_f16 v[0:7], v[52:59], v[96:103], v[0:7]
	s_waitcnt lgkmcnt(4)
	v_wmma_f32_16x16x16_f16 v[8:15], v[28:35], v[104:111], v[8:15]
	s_delay_alu instid0(VALU_DEP_2) | instskip(SKIP_1) | instid1(VALU_DEP_2)
	v_wmma_f32_16x16x16_f16 v[0:7], v[60:67], v[104:111], v[0:7]
	s_waitcnt lgkmcnt(2)
	v_wmma_f32_16x16x16_f16 v[8:15], v[36:43], v[112:119], v[8:15]
	s_delay_alu instid0(VALU_DEP_2) | instskip(SKIP_1) | instid1(VALU_DEP_2)
	v_wmma_f32_16x16x16_f16 v[0:7], v[80:87], v[112:119], v[0:7]
	s_waitcnt lgkmcnt(0)
	v_wmma_f32_16x16x16_f16 v[8:15], v[44:51], v[20:27], v[8:15]
	s_delay_alu instid0(VALU_DEP_2)
	v_wmma_f32_16x16x16_f16 v[0:7], v[88:95], v[20:27], v[0:7]
	s_and_not1_b32 exec_lo, exec_lo, s16
	s_cbranch_execnz .LBB50_4
; %bb.5:
	s_or_b32 exec_lo, exec_lo, s16
.LBB50_6:
	s_delay_alu instid0(SALU_CYCLE_1)
	s_or_b32 exec_lo, exec_lo, s19
	v_lshrrev_b32_e32 v16, 2, v73
	v_mad_u32_u24 v17, 0x410, v75, 0
	v_lshlrev_b32_e32 v18, 2, v74
	s_waitcnt lgkmcnt(0)
	s_barrier
	v_and_b32_e32 v16, 0xfc, v16
	buffer_gl0_inv
	s_mul_hi_i32 s1, s11, s15
	s_mul_i32 s0, s11, s15
	s_mul_i32 s2, s14, s7
	v_add3_u32 v17, v17, v16, v18
	v_lshl_add_u32 v16, v73, 2, 0
	s_lshl_b64 s[0:1], s[0:1], 2
	ds_store_2addr_b32 v17, v8, v9 offset1:2
	ds_store_2addr_b32 v17, v10, v11 offset0:4 offset1:6
	ds_store_2addr_b32 v17, v12, v13 offset0:8 offset1:10
	;; [unrolled: 1-line block ×6, first 2 shown]
	v_mad_u32_u24 v8, 0x410, v72, v16
	ds_store_2addr_b32 v17, v6, v7 offset0:28 offset1:30
	s_waitcnt lgkmcnt(0)
	s_barrier
	buffer_gl0_inv
	ds_load_2addr_b32 v[0:1], v8 offset1:32
	ds_load_2addr_b32 v[2:3], v8 offset0:64 offset1:96
	ds_load_2addr_b32 v[4:5], v8 offset0:128 offset1:160
	ds_load_2addr_b32 v[6:7], v8 offset0:192 offset1:224
	s_add_u32 s4, s20, s0
	s_addc_u32 s5, s21, s1
	s_ashr_i32 s3, s2, 31
	s_delay_alu instid0(SALU_CYCLE_1)
	s_lshl_b64 s[0:1], s[2:3], 2
	s_mov_b32 s2, exec_lo
	s_add_u32 s0, s4, s0
	s_addc_u32 s1, s5, s1
	s_waitcnt lgkmcnt(3)
	v_add_f32_e32 v0, 0, v0
	s_delay_alu instid0(VALU_DEP_1) | instskip(SKIP_1) | instid1(VALU_DEP_1)
	v_add_f32_e32 v0, v0, v1
	s_waitcnt lgkmcnt(2)
	v_add_f32_e32 v0, v0, v2
	s_delay_alu instid0(VALU_DEP_1) | instskip(SKIP_1) | instid1(VALU_DEP_1)
	v_dual_add_f32 v1, v0, v3 :: v_dual_add_nc_u32 v0, s12, v73
	s_waitcnt lgkmcnt(1)
	v_add_f32_e32 v3, v1, v4
	s_delay_alu instid0(VALU_DEP_2) | instskip(NEXT) | instid1(VALU_DEP_2)
	v_mad_u64_u32 v[1:2], null, v72, s18, v[0:1]
	v_dual_mov_b32 v2, 0 :: v_dual_add_f32 v3, v3, v5
	s_waitcnt lgkmcnt(0)
	s_delay_alu instid0(VALU_DEP_1) | instskip(NEXT) | instid1(VALU_DEP_2)
	v_add_f32_e32 v5, v3, v6
	v_lshlrev_b64 v[3:4], 2, v[1:2]
	s_delay_alu instid0(VALU_DEP_2) | instskip(NEXT) | instid1(VALU_DEP_2)
	v_add_f32_e32 v1, v5, v7
	v_add_co_u32 v3, vcc_lo, s0, v3
	s_delay_alu instid0(VALU_DEP_3)
	v_add_co_ci_u32_e32 v4, vcc_lo, s1, v4, vcc_lo
	global_store_b32 v[3:4], v1, off
	v_cmpx_gt_u32_e32 3, v72
	s_cbranch_execz .LBB50_8
; %bb.7:
	v_or_b32_e32 v1, 8, v72
	s_delay_alu instid0(VALU_DEP_1)
	v_mad_u32_u24 v9, 0x410, v1, v16
	ds_load_2addr_b32 v[3:4], v9 offset1:32
	ds_load_2addr_b32 v[5:6], v9 offset0:64 offset1:96
	ds_load_2addr_b32 v[7:8], v9 offset0:128 offset1:160
	s_waitcnt lgkmcnt(2)
	v_add_f32_e32 v3, 0, v3
	s_delay_alu instid0(VALU_DEP_1) | instskip(SKIP_3) | instid1(VALU_DEP_1)
	v_add_f32_e32 v10, v3, v4
	ds_load_2addr_b32 v[3:4], v9 offset0:192 offset1:224
	s_waitcnt lgkmcnt(2)
	v_add_f32_e32 v5, v10, v5
	v_add_f32_e32 v5, v5, v6
	s_waitcnt lgkmcnt(1)
	s_delay_alu instid0(VALU_DEP_1) | instskip(SKIP_2) | instid1(VALU_DEP_3)
	v_add_f32_e32 v7, v5, v7
	v_mad_u64_u32 v[5:6], null, v1, s18, v[0:1]
	v_mov_b32_e32 v6, v2
	v_add_f32_e32 v0, v7, v8
	s_waitcnt lgkmcnt(0)
	s_delay_alu instid0(VALU_DEP_1) | instskip(NEXT) | instid1(VALU_DEP_3)
	v_add_f32_e32 v2, v0, v3
	v_lshlrev_b64 v[0:1], 2, v[5:6]
	s_delay_alu instid0(VALU_DEP_2) | instskip(NEXT) | instid1(VALU_DEP_2)
	v_add_f32_e32 v2, v2, v4
	v_add_co_u32 v0, vcc_lo, s0, v0
	s_delay_alu instid0(VALU_DEP_3)
	v_add_co_ci_u32_e32 v1, vcc_lo, s1, v1, vcc_lo
	global_store_b32 v[0:1], v2, off
.LBB50_8:
	s_nop 0
	s_sendmsg sendmsg(MSG_DEALLOC_VGPRS)
	s_endpgm
	.section	.rodata,"a",@progbits
	.p2align	6, 0x0
	.amdhsa_kernel _ZL9mul_mat_fI7__half2Li32ELi11ELi8ELb0EEvPKT_PKfPKiPfiiiiiiiiiiiiiiii
		.amdhsa_group_segment_fixed_size 0
		.amdhsa_private_segment_fixed_size 0
		.amdhsa_kernarg_size 96
		.amdhsa_user_sgpr_count 13
		.amdhsa_user_sgpr_dispatch_ptr 0
		.amdhsa_user_sgpr_queue_ptr 0
		.amdhsa_user_sgpr_kernarg_segment_ptr 1
		.amdhsa_user_sgpr_dispatch_id 0
		.amdhsa_user_sgpr_private_segment_size 0
		.amdhsa_wavefront_size32 1
		.amdhsa_uses_dynamic_stack 0
		.amdhsa_enable_private_segment 0
		.amdhsa_system_sgpr_workgroup_id_x 1
		.amdhsa_system_sgpr_workgroup_id_y 1
		.amdhsa_system_sgpr_workgroup_id_z 1
		.amdhsa_system_sgpr_workgroup_info 0
		.amdhsa_system_vgpr_workitem_id 1
		.amdhsa_next_free_vgpr 121
		.amdhsa_next_free_sgpr 60
		.amdhsa_reserve_vcc 1
		.amdhsa_float_round_mode_32 0
		.amdhsa_float_round_mode_16_64 0
		.amdhsa_float_denorm_mode_32 3
		.amdhsa_float_denorm_mode_16_64 3
		.amdhsa_dx10_clamp 1
		.amdhsa_ieee_mode 1
		.amdhsa_fp16_overflow 0
		.amdhsa_workgroup_processor_mode 1
		.amdhsa_memory_ordered 1
		.amdhsa_forward_progress 0
		.amdhsa_shared_vgpr_count 0
		.amdhsa_exception_fp_ieee_invalid_op 0
		.amdhsa_exception_fp_denorm_src 0
		.amdhsa_exception_fp_ieee_div_zero 0
		.amdhsa_exception_fp_ieee_overflow 0
		.amdhsa_exception_fp_ieee_underflow 0
		.amdhsa_exception_fp_ieee_inexact 0
		.amdhsa_exception_int_div_zero 0
	.end_amdhsa_kernel
	.section	.text._ZL9mul_mat_fI7__half2Li32ELi11ELi8ELb0EEvPKT_PKfPKiPfiiiiiiiiiiiiiiii,"axG",@progbits,_ZL9mul_mat_fI7__half2Li32ELi11ELi8ELb0EEvPKT_PKfPKiPfiiiiiiiiiiiiiiii,comdat
.Lfunc_end50:
	.size	_ZL9mul_mat_fI7__half2Li32ELi11ELi8ELb0EEvPKT_PKfPKiPfiiiiiiiiiiiiiiii, .Lfunc_end50-_ZL9mul_mat_fI7__half2Li32ELi11ELi8ELb0EEvPKT_PKfPKiPfiiiiiiiiiiiiiiii
                                        ; -- End function
	.section	.AMDGPU.csdata,"",@progbits
; Kernel info:
; codeLenInByte = 3948
; NumSgprs: 62
; NumVgprs: 121
; ScratchSize: 0
; MemoryBound: 0
; FloatMode: 240
; IeeeMode: 1
; LDSByteSize: 0 bytes/workgroup (compile time only)
; SGPRBlocks: 7
; VGPRBlocks: 15
; NumSGPRsForWavesPerEU: 62
; NumVGPRsForWavesPerEU: 121
; Occupancy: 10
; WaveLimiterHint : 0
; COMPUTE_PGM_RSRC2:SCRATCH_EN: 0
; COMPUTE_PGM_RSRC2:USER_SGPR: 13
; COMPUTE_PGM_RSRC2:TRAP_HANDLER: 0
; COMPUTE_PGM_RSRC2:TGID_X_EN: 1
; COMPUTE_PGM_RSRC2:TGID_Y_EN: 1
; COMPUTE_PGM_RSRC2:TGID_Z_EN: 1
; COMPUTE_PGM_RSRC2:TIDIG_COMP_CNT: 1
	.section	.text._ZL13mul_mat_f_idsI15__hip_bfloat162Li32ELi11ELi1EEvPKT_PKfPKiS7_S7_Pfiiiiiiiiiiiiii15HIP_vector_typeIjLj3EESA_,"axG",@progbits,_ZL13mul_mat_f_idsI15__hip_bfloat162Li32ELi11ELi1EEvPKT_PKfPKiS7_S7_Pfiiiiiiiiiiiiii15HIP_vector_typeIjLj3EESA_,comdat
	.globl	_ZL13mul_mat_f_idsI15__hip_bfloat162Li32ELi11ELi1EEvPKT_PKfPKiS7_S7_Pfiiiiiiiiiiiiii15HIP_vector_typeIjLj3EESA_ ; -- Begin function _ZL13mul_mat_f_idsI15__hip_bfloat162Li32ELi11ELi1EEvPKT_PKfPKiS7_S7_Pfiiiiiiiiiiiiii15HIP_vector_typeIjLj3EESA_
	.p2align	8
	.type	_ZL13mul_mat_f_idsI15__hip_bfloat162Li32ELi11ELi1EEvPKT_PKfPKiS7_S7_Pfiiiiiiiiiiiiii15HIP_vector_typeIjLj3EESA_,@function
_ZL13mul_mat_f_idsI15__hip_bfloat162Li32ELi11ELi1EEvPKT_PKfPKiS7_S7_Pfiiiiiiiiiiiiii15HIP_vector_typeIjLj3EESA_: ; @_ZL13mul_mat_f_idsI15__hip_bfloat162Li32ELi11ELi1EEvPKT_PKfPKiS7_S7_Pfiiiiiiiiiiiiii15HIP_vector_typeIjLj3EESA_
; %bb.0:
	s_load_b64 s[4:5], s[0:1], 0x20
	s_mov_b32 s2, s15
	s_ashr_i32 s15, s14, 31
	s_delay_alu instid0(SALU_CYCLE_1)
	s_lshl_b64 s[6:7], s[14:15], 2
	s_waitcnt lgkmcnt(0)
	s_add_u32 s4, s4, s6
	s_addc_u32 s5, s5, s7
	s_load_b64 s[30:31], s[4:5], 0x0
	s_waitcnt lgkmcnt(0)
	s_sub_i32 s33, s31, s30
	s_delay_alu instid0(SALU_CYCLE_1) | instskip(NEXT) | instid1(SALU_CYCLE_1)
	s_add_i32 s3, s33, 10
	s_mul_hi_i32 s3, s3, 0x2e8ba2e9
	s_delay_alu instid0(SALU_CYCLE_1) | instskip(SKIP_1) | instid1(SALU_CYCLE_1)
	s_lshr_b32 s4, s3, 31
	s_ashr_i32 s3, s3, 1
	s_add_i32 s3, s3, s4
	s_delay_alu instid0(SALU_CYCLE_1)
	s_cmp_ge_i32 s2, s3
	s_cbranch_scc1 .LBB51_161
; %bb.1:
	s_clause 0x4
	s_load_b128 s[8:11], s[0:1], 0x30
	s_load_b64 s[24:25], s[0:1], 0x40
	s_load_b128 s[4:7], s[0:1], 0x4c
	s_load_b128 s[16:19], s[0:1], 0x68
	s_load_b64 s[26:27], s[0:1], 0x78
	v_bfe_u32 v105, v0, 10, 10
	v_and_b32_e32 v106, 0x3ff, v0
	s_ashr_i32 s31, s30, 31
	s_waitcnt lgkmcnt(0)
	s_mov_b32 s7, exec_lo
                                        ; implicit-def: $sgpr3
                                        ; implicit-def: $vgpr108
	v_lshlrev_b32_e32 v107, 5, v105
	v_and_b32_e32 v16, 15, v106
	s_delay_alu instid0(VALU_DEP_2) | instskip(NEXT) | instid1(VALU_DEP_1)
	v_or_b32_e32 v80, v107, v106
	v_cmpx_le_i32_e64 s8, v80
	s_xor_b32 s7, exec_lo, s7
; %bb.2:
	s_delay_alu instid0(VALU_DEP_3)
	v_mul_u32_u24_e32 v108, 0x90, v16
	s_mov_b32 s3, 0
                                        ; implicit-def: $vgpr80
                                        ; implicit-def: $vgpr16
; %bb.3:
	s_or_saveexec_b32 s36, s7
	s_clause 0x1
	s_load_b64 s[34:35], s[0:1], 0x18
	s_load_b64 s[28:29], s[0:1], 0x28
	v_dual_mov_b32 v7, s3 :: v_dual_mov_b32 v6, s3
	v_dual_mov_b32 v5, s3 :: v_dual_mov_b32 v4, s3
	;; [unrolled: 1-line block ×8, first 2 shown]
	s_lshl_b32 s7, s13, 5
	s_mul_i32 s2, s2, 11
	s_xor_b32 exec_lo, exec_lo, s36
	s_cbranch_execz .LBB51_128
; %bb.4:
	s_clause 0x1
	s_load_b128 s[20:23], s[0:1], 0x0
	s_load_b64 s[12:13], s[0:1], 0x10
	s_mul_i32 s0, s7, s11
	s_mul_i32 s14, s14, s4
	s_ashr_i32 s1, s0, 31
	s_ashr_i32 s15, s14, 31
	s_lshl_b64 s[0:1], s[0:1], 2
	s_lshl_b64 s[14:15], s[14:15], 2
	v_dual_mov_b32 v110, 0 :: v_dual_lshlrev_b32 v1, 2, v106
	s_add_u32 s0, s14, s0
	s_addc_u32 s47, s15, s1
	v_lshlrev_b32_e32 v2, 7, v105
	v_mad_u32_u24 v0, 0x900, v105, 0
	v_mov_b32_e32 v9, v110
	v_mul_u32_u24_e32 v108, 0x90, v16
	v_mov_b32_e32 v8, 0
	s_delay_alu instid0(VALU_DEP_4)
	v_dual_mov_b32 v10, v110 :: v_dual_add_nc_u32 v109, v0, v1
	v_mov_b32_e32 v11, v110
	s_waitcnt lgkmcnt(0)
	s_add_u32 s1, s0, s20
	s_addc_u32 s4, s47, s21
	s_lshl_b64 s[14:15], s[30:31], 2
	v_add_co_u32 v2, s0, s0, v2
	s_add_u32 s14, s12, s14
	s_addc_u32 s15, s13, s15
	s_cmp_lt_i32 s2, s33
	v_add_co_ci_u32_e64 v3, null, s47, 0, s0
	s_cselect_b32 s37, -1, 0
	s_ashr_i32 s3, s2, 31
	v_add_co_u32 v1, vcc_lo, v2, v1
	s_lshl_b64 s[12:13], s[2:3], 2
	v_add_co_ci_u32_e32 v2, vcc_lo, 0, v3, vcc_lo
	s_add_u32 s12, s14, s12
	s_addc_u32 s13, s15, s13
	s_add_i32 s3, s2, 1
	v_add_co_u32 v81, vcc_lo, s20, v1
	s_cmp_lt_i32 s3, s33
	v_add_co_ci_u32_e32 v82, vcc_lo, s21, v2, vcc_lo
	s_cselect_b32 s3, -1, 0
	s_add_i32 s14, s2, 2
	v_add_nc_u32_e32 v111, v0, v108
	s_cmp_lt_i32 s14, s33
	v_mov_b32_e32 v12, v110
	s_cselect_b32 s38, -1, 0
	s_add_i32 s14, s2, 3
	v_mov_b32_e32 v13, v110
	s_cmp_lt_i32 s14, s33
	v_mov_b32_e32 v14, v110
	s_cselect_b32 s39, -1, 0
	s_add_i32 s14, s2, 4
	v_mov_b32_e32 v15, v110
	;; [unrolled: 5-line block ×6, first 2 shown]
	s_cmp_lt_i32 s15, s33
	s_mov_b32 s14, s11
	s_cselect_b32 s46, -1, 0
	s_add_i32 s15, s2, 9
	s_mov_b32 s41, 0
	s_cmp_lt_i32 s15, s33
	s_mul_i32 s45, s11, 3
	s_cselect_b32 s47, -1, 0
	s_add_i32 s0, s2, 10
	s_mul_i32 s49, s11, 5
	s_cmp_lt_i32 s0, s33
	s_mul_i32 s50, s11, 6
	s_cselect_b32 s20, -1, 0
	s_ashr_i32 s15, s11, 31
	s_lshl_b32 s21, s11, 1
	s_lshl_b32 s48, s11, 2
	s_lshl_b64 s[14:15], s[14:15], 2
	s_mul_i32 s51, s11, 7
	s_lshl_b32 s52, s11, 3
	s_mul_i32 s53, s11, 9
	s_mul_i32 s54, s11, 10
	;; [unrolled: 1-line block ×7, first 2 shown]
	s_lshl_b32 s60, s11, 4
	s_mul_i32 s61, s11, 17
	s_mul_i32 s62, s11, 18
	;; [unrolled: 1-line block ×15, first 2 shown]
	s_branch .LBB51_6
.LBB51_5:                               ;   in Loop: Header=BB51_6 Depth=1
	s_or_b32 exec_lo, exec_lo, s0
	s_delay_alu instid0(VALU_DEP_1)
	v_perm_b32 v83, v83, v85, 0x7060302
	v_add_nc_u32_e32 v84, 0x400, v109
	v_add_nc_u32_e32 v85, 0x600, v109
	;; [unrolled: 1-line block ×3, first 2 shown]
	v_add_co_u32 v81, s0, 0x80, v81
	ds_store_2addr_b32 v84, v83, v110 offset0:104 offset1:140
	ds_store_2addr_b32 v84, v110, v110 offset0:176 offset1:212
	;; [unrolled: 1-line block ×3, first 2 shown]
	ds_load_b128 v[83:86], v111
	ds_load_b128 v[87:90], v111 offset:16
	ds_load_b128 v[91:94], v111 offset:32
	;; [unrolled: 1-line block ×5, first 2 shown]
	v_cmp_le_i32_e32 vcc_lo, s8, v80
	v_add_co_ci_u32_e64 v82, s0, 0, v82, s0
	s_or_b32 s41, vcc_lo, s41
	s_waitcnt lgkmcnt(4)
	v_wmma_f32_16x16x16_bf16 v[8:15], v[56:63], v[83:90], v[8:15]
	ds_load_b128 v[56:59], v111 offset:96
	ds_load_b128 v[60:63], v111 offset:112
	v_wmma_f32_16x16x16_bf16 v[0:7], v[72:79], v[83:90], v[0:7]
	s_waitcnt lgkmcnt(4)
	v_wmma_f32_16x16x16_bf16 v[8:15], v[40:47], v[91:98], v[8:15]
	s_delay_alu instid0(VALU_DEP_2) | instskip(SKIP_1) | instid1(VALU_DEP_2)
	v_wmma_f32_16x16x16_bf16 v[0:7], v[64:71], v[91:98], v[0:7]
	s_waitcnt lgkmcnt(2)
	v_wmma_f32_16x16x16_bf16 v[8:15], v[24:31], v[112:119], v[8:15]
	s_delay_alu instid0(VALU_DEP_2) | instskip(SKIP_1) | instid1(VALU_DEP_2)
	v_wmma_f32_16x16x16_bf16 v[0:7], v[48:55], v[112:119], v[0:7]
	s_waitcnt lgkmcnt(0)
	v_wmma_f32_16x16x16_bf16 v[8:15], v[16:23], v[56:63], v[8:15]
	s_delay_alu instid0(VALU_DEP_2)
	v_wmma_f32_16x16x16_bf16 v[0:7], v[32:39], v[56:63], v[0:7]
	s_and_not1_b32 exec_lo, exec_lo, s41
	s_cbranch_execz .LBB51_127
.LBB51_6:                               ; =>This Inner Loop Header: Depth=1
	v_dual_mov_b32 v103, 0 :: v_dual_add_nc_u32 v16, s21, v80
	v_add_nc_u32_e32 v22, s48, v80
	v_add_nc_u32_e32 v18, s45, v80
	v_add_co_u32 v20, vcc_lo, v81, s14
	s_delay_alu instid0(VALU_DEP_4)
	v_ashrrev_i32_e32 v17, 31, v16
	v_add_co_ci_u32_e32 v21, vcc_lo, s15, v82, vcc_lo
	v_ashrrev_i32_e32 v23, 31, v22
	v_ashrrev_i32_e32 v19, 31, v18
	v_add_nc_u32_e32 v24, s49, v80
	v_lshlrev_b64 v[16:17], 2, v[16:17]
	s_clause 0x1
	global_load_b32 v38, v[81:82], off
	global_load_b32 v39, v[20:21], off
	v_lshlrev_b64 v[20:21], 2, v[22:23]
	v_add_nc_u32_e32 v22, s50, v80
	v_lshlrev_b64 v[18:19], 2, v[18:19]
	v_ashrrev_i32_e32 v25, 31, v24
	v_add_nc_u32_e32 v26, s51, v80
	v_add_co_u32 v16, vcc_lo, s1, v16
	v_ashrrev_i32_e32 v23, 31, v22
	v_add_co_ci_u32_e32 v17, vcc_lo, s4, v17, vcc_lo
	v_add_nc_u32_e32 v28, s52, v80
	v_add_co_u32 v18, vcc_lo, s1, v18
	v_lshlrev_b64 v[24:25], 2, v[24:25]
	v_ashrrev_i32_e32 v27, 31, v26
	v_add_co_ci_u32_e32 v19, vcc_lo, s4, v19, vcc_lo
	v_add_nc_u32_e32 v30, s53, v80
	v_add_co_u32 v20, vcc_lo, s1, v20
	v_lshlrev_b64 v[22:23], 2, v[22:23]
	v_ashrrev_i32_e32 v29, 31, v28
	v_add_co_ci_u32_e32 v21, vcc_lo, s4, v21, vcc_lo
	v_add_co_u32 v24, vcc_lo, s1, v24
	v_lshlrev_b64 v[26:27], 2, v[26:27]
	v_ashrrev_i32_e32 v31, 31, v30
	v_add_co_ci_u32_e32 v25, vcc_lo, s4, v25, vcc_lo
	v_add_co_u32 v22, vcc_lo, s1, v22
	v_lshlrev_b64 v[28:29], 2, v[28:29]
	v_add_co_ci_u32_e32 v23, vcc_lo, s4, v23, vcc_lo
	v_add_nc_u32_e32 v32, s54, v80
	v_add_co_u32 v26, vcc_lo, s1, v26
	v_lshlrev_b64 v[30:31], 2, v[30:31]
	v_add_co_ci_u32_e32 v27, vcc_lo, s4, v27, vcc_lo
	v_add_nc_u32_e32 v34, s55, v80
	v_add_co_u32 v28, vcc_lo, s1, v28
	v_ashrrev_i32_e32 v33, 31, v32
	v_add_co_ci_u32_e32 v29, vcc_lo, s4, v29, vcc_lo
	v_add_nc_u32_e32 v36, s56, v80
	v_add_co_u32 v30, vcc_lo, s1, v30
	v_ashrrev_i32_e32 v35, 31, v34
	v_add_co_ci_u32_e32 v31, vcc_lo, s4, v31, vcc_lo
	s_clause 0x7
	global_load_b32 v40, v[16:17], off
	global_load_b32 v41, v[18:19], off
	global_load_b32 v42, v[20:21], off
	global_load_b32 v43, v[24:25], off
	global_load_b32 v44, v[22:23], off
	global_load_b32 v45, v[26:27], off
	global_load_b32 v46, v[28:29], off
	global_load_b32 v47, v[30:31], off
	v_add_nc_u32_e32 v18, s57, v80
	v_lshlrev_b64 v[32:33], 2, v[32:33]
	v_ashrrev_i32_e32 v37, 31, v36
	v_add_nc_u32_e32 v24, s58, v80
	v_lshlrev_b64 v[16:17], 2, v[34:35]
	v_ashrrev_i32_e32 v19, 31, v18
	v_add_nc_u32_e32 v26, s59, v80
	v_add_co_u32 v20, vcc_lo, s1, v32
	v_lshlrev_b64 v[22:23], 2, v[36:37]
	v_ashrrev_i32_e32 v25, 31, v24
	v_add_co_ci_u32_e32 v21, vcc_lo, s4, v33, vcc_lo
	v_add_nc_u32_e32 v28, s60, v80
	v_add_co_u32 v16, vcc_lo, s1, v16
	v_lshlrev_b64 v[18:19], 2, v[18:19]
	v_ashrrev_i32_e32 v27, 31, v26
	v_add_co_ci_u32_e32 v17, vcc_lo, s4, v17, vcc_lo
	v_add_nc_u32_e32 v30, s61, v80
	v_add_co_u32 v22, vcc_lo, s1, v22
	v_lshlrev_b64 v[24:25], 2, v[24:25]
	v_ashrrev_i32_e32 v29, 31, v28
	v_add_co_ci_u32_e32 v23, vcc_lo, s4, v23, vcc_lo
	v_add_co_u32 v18, vcc_lo, s1, v18
	v_lshlrev_b64 v[26:27], 2, v[26:27]
	v_ashrrev_i32_e32 v31, 31, v30
	v_add_co_ci_u32_e32 v19, vcc_lo, s4, v19, vcc_lo
	v_add_co_u32 v24, vcc_lo, s1, v24
	v_lshlrev_b64 v[28:29], 2, v[28:29]
	v_add_co_ci_u32_e32 v25, vcc_lo, s4, v25, vcc_lo
	v_add_nc_u32_e32 v32, s62, v80
	v_add_co_u32 v26, vcc_lo, s1, v26
	v_lshlrev_b64 v[30:31], 2, v[30:31]
	v_add_co_ci_u32_e32 v27, vcc_lo, s4, v27, vcc_lo
	v_add_nc_u32_e32 v34, s63, v80
	v_add_co_u32 v28, vcc_lo, s1, v28
	v_ashrrev_i32_e32 v33, 31, v32
	v_add_co_ci_u32_e32 v29, vcc_lo, s4, v29, vcc_lo
	v_add_nc_u32_e32 v36, s64, v80
	v_add_co_u32 v30, vcc_lo, s1, v30
	v_ashrrev_i32_e32 v35, 31, v34
	v_add_co_ci_u32_e32 v31, vcc_lo, s4, v31, vcc_lo
	s_clause 0x7
	global_load_b32 v48, v[20:21], off
	global_load_b32 v49, v[16:17], off
	global_load_b32 v50, v[22:23], off
	global_load_b32 v51, v[18:19], off
	global_load_b32 v52, v[24:25], off
	global_load_b32 v53, v[26:27], off
	global_load_b32 v54, v[28:29], off
	global_load_b32 v55, v[30:31], off
	v_add_nc_u32_e32 v18, s65, v80
	v_lshlrev_b64 v[32:33], 2, v[32:33]
	v_ashrrev_i32_e32 v37, 31, v36
	v_add_nc_u32_e32 v24, s66, v80
	v_lshlrev_b64 v[16:17], 2, v[34:35]
	v_ashrrev_i32_e32 v19, 31, v18
	v_add_nc_u32_e32 v26, s67, v80
	v_add_co_u32 v20, vcc_lo, s1, v32
	v_lshlrev_b64 v[22:23], 2, v[36:37]
	;; [unrolled: 49-line block ×3, first 2 shown]
	v_ashrrev_i32_e32 v25, 31, v24
	v_add_co_ci_u32_e32 v21, vcc_lo, s4, v33, vcc_lo
	v_add_co_u32 v16, vcc_lo, s1, v16
	v_lshlrev_b64 v[18:19], 2, v[18:19]
	v_ashrrev_i32_e32 v27, 31, v26
	v_add_co_ci_u32_e32 v17, vcc_lo, s4, v17, vcc_lo
	v_add_co_u32 v22, vcc_lo, s1, v22
	v_lshlrev_b64 v[24:25], 2, v[24:25]
	v_add_co_ci_u32_e32 v23, vcc_lo, s4, v23, vcc_lo
	v_add_co_u32 v18, vcc_lo, s1, v18
	v_lshlrev_b64 v[26:27], 2, v[26:27]
	v_add_co_ci_u32_e32 v19, vcc_lo, s4, v19, vcc_lo
	v_add_co_u32 v24, vcc_lo, s1, v24
	v_add_co_ci_u32_e32 v25, vcc_lo, s4, v25, vcc_lo
	s_delay_alu instid0(VALU_DEP_4)
	v_add_co_u32 v26, vcc_lo, s1, v26
	v_add_co_ci_u32_e32 v27, vcc_lo, s4, v27, vcc_lo
	s_clause 0x5
	global_load_b32 v32, v[20:21], off
	global_load_b32 v33, v[16:17], off
	global_load_b32 v34, v[22:23], off
	global_load_b32 v35, v[18:19], off
	global_load_b32 v36, v[24:25], off
	global_load_b32 v37, v[26:27], off
	v_mov_b32_e32 v104, 0
	s_and_not1_b32 vcc_lo, exec_lo, s37
	s_waitcnt vmcnt(31)
	ds_store_b32 v109, v38
	s_waitcnt vmcnt(30)
	ds_store_b32 v109, v39 offset:144
	s_waitcnt vmcnt(29)
	ds_store_b32 v109, v40 offset:288
	s_waitcnt vmcnt(28)
	ds_store_b32 v109, v41 offset:432
	s_waitcnt vmcnt(27)
	ds_store_b32 v109, v42 offset:576
	s_waitcnt vmcnt(26)
	ds_store_b32 v109, v43 offset:720
	s_waitcnt vmcnt(25)
	ds_store_b32 v109, v44 offset:864
	s_waitcnt vmcnt(24)
	ds_store_b32 v109, v45 offset:1008
	s_waitcnt vmcnt(23)
	ds_store_b32 v109, v46 offset:1152
	s_waitcnt vmcnt(22)
	ds_store_b32 v109, v47 offset:1296
	s_waitcnt vmcnt(21)
	ds_store_b32 v109, v48 offset:1440
	s_waitcnt vmcnt(20)
	ds_store_b32 v109, v49 offset:1584
	s_waitcnt vmcnt(19)
	ds_store_b32 v109, v50 offset:1728
	s_waitcnt vmcnt(18)
	ds_store_b32 v109, v51 offset:1872
	s_waitcnt vmcnt(17)
	ds_store_b32 v109, v52 offset:2016
	s_waitcnt vmcnt(16)
	ds_store_b32 v109, v53 offset:2160
	ds_load_b128 v[56:59], v111
	ds_load_b128 v[60:63], v111 offset:16
	ds_load_b128 v[40:43], v111 offset:32
	;; [unrolled: 1-line block ×7, first 2 shown]
	s_waitcnt vmcnt(15)
	ds_store_b32 v109, v54
	s_waitcnt vmcnt(14)
	ds_store_b32 v109, v55 offset:144
	s_waitcnt vmcnt(13)
	ds_store_b32 v109, v64 offset:288
	;; [unrolled: 2-line block ×15, first 2 shown]
	ds_load_b128 v[72:75], v111
	ds_load_b128 v[76:79], v111 offset:16
	ds_load_b128 v[64:67], v111 offset:32
	;; [unrolled: 1-line block ×7, first 2 shown]
	s_cbranch_vccnz .LBB51_9
; %bb.7:                                ;   in Loop: Header=BB51_6 Depth=1
	s_load_b32 s0, s[12:13], 0x0
	v_dual_mov_b32 v104, 0 :: v_dual_mov_b32 v103, 0
	s_waitcnt lgkmcnt(0)
	s_mul_hi_u32 s75, s0, s16
	s_delay_alu instid0(SALU_CYCLE_1) | instskip(NEXT) | instid1(SALU_CYCLE_1)
	s_add_i32 s75, s0, s75
	s_lshr_b32 s75, s75, s17
	s_delay_alu instid0(SALU_CYCLE_1)
	s_cmp_ge_i32 s75, s9
	s_cbranch_scc1 .LBB51_9
; %bb.8:                                ;   in Loop: Header=BB51_6 Depth=1
	v_mad_u64_u32 v[83:84], null, s75, s24, v[80:81]
	s_mul_i32 s75, s75, s18
	s_delay_alu instid0(SALU_CYCLE_1) | instskip(NEXT) | instid1(SALU_CYCLE_1)
	s_sub_i32 s0, s0, s75
	s_mul_i32 s0, s0, s5
	s_delay_alu instid0(VALU_DEP_1) | instid1(SALU_CYCLE_1)
	v_lshl_add_u32 v83, v83, 1, s0
	s_delay_alu instid0(VALU_DEP_1) | instskip(NEXT) | instid1(VALU_DEP_1)
	v_ashrrev_i32_e32 v84, 31, v83
	v_lshlrev_b64 v[83:84], 2, v[83:84]
	s_delay_alu instid0(VALU_DEP_1) | instskip(NEXT) | instid1(VALU_DEP_2)
	v_add_co_u32 v83, vcc_lo, s22, v83
	v_add_co_ci_u32_e32 v84, vcc_lo, s23, v84, vcc_lo
	global_load_b64 v[103:104], v[83:84], off
.LBB51_9:                               ;   in Loop: Header=BB51_6 Depth=1
	v_dual_mov_b32 v97, 0 :: v_dual_mov_b32 v102, 0
	v_mov_b32_e32 v101, 0
	s_and_not1_b32 vcc_lo, exec_lo, s3
	s_cbranch_vccnz .LBB51_12
; %bb.10:                               ;   in Loop: Header=BB51_6 Depth=1
	s_load_b32 s0, s[12:13], 0x4
	v_dual_mov_b32 v102, 0 :: v_dual_mov_b32 v101, 0
	s_waitcnt lgkmcnt(0)
	s_mul_hi_u32 s75, s0, s16
	s_delay_alu instid0(SALU_CYCLE_1) | instskip(NEXT) | instid1(SALU_CYCLE_1)
	s_add_i32 s75, s0, s75
	s_lshr_b32 s75, s75, s17
	s_delay_alu instid0(SALU_CYCLE_1)
	s_cmp_ge_i32 s75, s9
	s_cbranch_scc1 .LBB51_12
; %bb.11:                               ;   in Loop: Header=BB51_6 Depth=1
	v_mad_u64_u32 v[83:84], null, s75, s24, v[80:81]
	s_mul_i32 s75, s75, s18
	s_delay_alu instid0(SALU_CYCLE_1) | instskip(NEXT) | instid1(SALU_CYCLE_1)
	s_sub_i32 s0, s0, s75
	s_mul_i32 s0, s0, s5
	s_delay_alu instid0(VALU_DEP_1) | instid1(SALU_CYCLE_1)
	v_lshl_add_u32 v83, v83, 1, s0
	s_delay_alu instid0(VALU_DEP_1) | instskip(NEXT) | instid1(VALU_DEP_1)
	v_ashrrev_i32_e32 v84, 31, v83
	v_lshlrev_b64 v[83:84], 2, v[83:84]
	s_delay_alu instid0(VALU_DEP_1) | instskip(NEXT) | instid1(VALU_DEP_2)
	v_add_co_u32 v83, vcc_lo, s22, v83
	v_add_co_ci_u32_e32 v84, vcc_lo, s23, v84, vcc_lo
	global_load_b64 v[101:102], v[83:84], off
.LBB51_12:                              ;   in Loop: Header=BB51_6 Depth=1
	v_mov_b32_e32 v98, 0
	s_and_not1_b32 vcc_lo, exec_lo, s38
	s_cbranch_vccnz .LBB51_15
; %bb.13:                               ;   in Loop: Header=BB51_6 Depth=1
	s_load_b32 s0, s[12:13], 0x8
	v_dual_mov_b32 v98, 0 :: v_dual_mov_b32 v97, 0
	s_waitcnt lgkmcnt(0)
	s_mul_hi_u32 s75, s0, s16
	s_delay_alu instid0(SALU_CYCLE_1) | instskip(NEXT) | instid1(SALU_CYCLE_1)
	s_add_i32 s75, s0, s75
	s_lshr_b32 s75, s75, s17
	s_delay_alu instid0(SALU_CYCLE_1)
	s_cmp_ge_i32 s75, s9
	s_cbranch_scc1 .LBB51_15
; %bb.14:                               ;   in Loop: Header=BB51_6 Depth=1
	v_mad_u64_u32 v[83:84], null, s75, s24, v[80:81]
	s_mul_i32 s75, s75, s18
	s_delay_alu instid0(SALU_CYCLE_1) | instskip(NEXT) | instid1(SALU_CYCLE_1)
	s_sub_i32 s0, s0, s75
	s_mul_i32 s0, s0, s5
	s_delay_alu instid0(VALU_DEP_1) | instid1(SALU_CYCLE_1)
	v_lshl_add_u32 v83, v83, 1, s0
	s_delay_alu instid0(VALU_DEP_1) | instskip(NEXT) | instid1(VALU_DEP_1)
	v_ashrrev_i32_e32 v84, 31, v83
	v_lshlrev_b64 v[83:84], 2, v[83:84]
	s_delay_alu instid0(VALU_DEP_1) | instskip(NEXT) | instid1(VALU_DEP_2)
	v_add_co_u32 v83, vcc_lo, s22, v83
	v_add_co_ci_u32_e32 v84, vcc_lo, s23, v84, vcc_lo
	global_load_b64 v[97:98], v[83:84], off
.LBB51_15:                              ;   in Loop: Header=BB51_6 Depth=1
	v_dual_mov_b32 v93, 0 :: v_dual_mov_b32 v100, 0
	v_mov_b32_e32 v99, 0
	s_and_not1_b32 vcc_lo, exec_lo, s39
	s_cbranch_vccnz .LBB51_18
; %bb.16:                               ;   in Loop: Header=BB51_6 Depth=1
	s_load_b32 s0, s[12:13], 0xc
	v_dual_mov_b32 v100, 0 :: v_dual_mov_b32 v99, 0
	s_waitcnt lgkmcnt(0)
	s_mul_hi_u32 s75, s0, s16
	s_delay_alu instid0(SALU_CYCLE_1) | instskip(NEXT) | instid1(SALU_CYCLE_1)
	s_add_i32 s75, s0, s75
	s_lshr_b32 s75, s75, s17
	s_delay_alu instid0(SALU_CYCLE_1)
	s_cmp_ge_i32 s75, s9
	s_cbranch_scc1 .LBB51_18
; %bb.17:                               ;   in Loop: Header=BB51_6 Depth=1
	v_mad_u64_u32 v[83:84], null, s75, s24, v[80:81]
	s_mul_i32 s75, s75, s18
	s_delay_alu instid0(SALU_CYCLE_1) | instskip(NEXT) | instid1(SALU_CYCLE_1)
	s_sub_i32 s0, s0, s75
	s_mul_i32 s0, s0, s5
	s_delay_alu instid0(VALU_DEP_1) | instid1(SALU_CYCLE_1)
	v_lshl_add_u32 v83, v83, 1, s0
	s_delay_alu instid0(VALU_DEP_1) | instskip(NEXT) | instid1(VALU_DEP_1)
	v_ashrrev_i32_e32 v84, 31, v83
	v_lshlrev_b64 v[83:84], 2, v[83:84]
	s_delay_alu instid0(VALU_DEP_1) | instskip(NEXT) | instid1(VALU_DEP_2)
	v_add_co_u32 v83, vcc_lo, s22, v83
	v_add_co_ci_u32_e32 v84, vcc_lo, s23, v84, vcc_lo
	global_load_b64 v[99:100], v[83:84], off
.LBB51_18:                              ;   in Loop: Header=BB51_6 Depth=1
	v_mov_b32_e32 v94, 0
	s_and_not1_b32 vcc_lo, exec_lo, s40
	s_cbranch_vccnz .LBB51_21
; %bb.19:                               ;   in Loop: Header=BB51_6 Depth=1
	s_load_b32 s0, s[12:13], 0x10
	v_dual_mov_b32 v94, 0 :: v_dual_mov_b32 v93, 0
	s_waitcnt lgkmcnt(0)
	s_mul_hi_u32 s75, s0, s16
	s_delay_alu instid0(SALU_CYCLE_1) | instskip(NEXT) | instid1(SALU_CYCLE_1)
	s_add_i32 s75, s0, s75
	s_lshr_b32 s75, s75, s17
	s_delay_alu instid0(SALU_CYCLE_1)
	s_cmp_ge_i32 s75, s9
	s_cbranch_scc1 .LBB51_21
; %bb.20:                               ;   in Loop: Header=BB51_6 Depth=1
	v_mad_u64_u32 v[83:84], null, s75, s24, v[80:81]
	s_mul_i32 s75, s75, s18
	s_delay_alu instid0(SALU_CYCLE_1) | instskip(NEXT) | instid1(SALU_CYCLE_1)
	s_sub_i32 s0, s0, s75
	s_mul_i32 s0, s0, s5
	s_delay_alu instid0(VALU_DEP_1) | instid1(SALU_CYCLE_1)
	v_lshl_add_u32 v83, v83, 1, s0
	s_delay_alu instid0(VALU_DEP_1) | instskip(NEXT) | instid1(VALU_DEP_1)
	v_ashrrev_i32_e32 v84, 31, v83
	v_lshlrev_b64 v[83:84], 2, v[83:84]
	s_delay_alu instid0(VALU_DEP_1) | instskip(NEXT) | instid1(VALU_DEP_2)
	v_add_co_u32 v83, vcc_lo, s22, v83
	v_add_co_ci_u32_e32 v84, vcc_lo, s23, v84, vcc_lo
	global_load_b64 v[93:94], v[83:84], off
.LBB51_21:                              ;   in Loop: Header=BB51_6 Depth=1
	;; [unrolled: 61-line block ×5, first 2 shown]
	s_waitcnt vmcnt(0)
	v_and_b32_e32 v112, 0x7f800000, v103
	s_delay_alu instid0(VALU_DEP_1) | instskip(SKIP_1) | instid1(SALU_CYCLE_1)
	v_cmp_ne_u32_e32 vcc_lo, 0x7f800000, v112
                                        ; implicit-def: $vgpr112
	s_and_saveexec_b32 s0, vcc_lo
	s_xor_b32 s0, exec_lo, s0
; %bb.40:                               ;   in Loop: Header=BB51_6 Depth=1
	v_bfe_u32 v112, v103, 16, 1
	s_delay_alu instid0(VALU_DEP_1)
	v_add3_u32 v112, v103, v112, 0x7fff
; %bb.41:                               ;   in Loop: Header=BB51_6 Depth=1
	s_and_not1_saveexec_b32 s0, s0
; %bb.42:                               ;   in Loop: Header=BB51_6 Depth=1
	v_and_b32_e32 v112, 0xffff, v103
	v_or_b32_e32 v113, 0x10000, v103
	s_delay_alu instid0(VALU_DEP_2) | instskip(NEXT) | instid1(VALU_DEP_2)
	v_cmp_eq_u32_e32 vcc_lo, 0, v112
	v_cndmask_b32_e32 v112, v113, v103, vcc_lo
; %bb.43:                               ;   in Loop: Header=BB51_6 Depth=1
	s_or_b32 exec_lo, exec_lo, s0
	v_and_b32_e32 v103, 0x7f800000, v104
	s_delay_alu instid0(VALU_DEP_1) | instskip(SKIP_1) | instid1(SALU_CYCLE_1)
	v_cmp_ne_u32_e32 vcc_lo, 0x7f800000, v103
                                        ; implicit-def: $vgpr103
	s_and_saveexec_b32 s0, vcc_lo
	s_xor_b32 s0, exec_lo, s0
; %bb.44:                               ;   in Loop: Header=BB51_6 Depth=1
	v_bfe_u32 v103, v104, 16, 1
	s_delay_alu instid0(VALU_DEP_1)
	v_add3_u32 v103, v104, v103, 0x7fff
                                        ; implicit-def: $vgpr104
; %bb.45:                               ;   in Loop: Header=BB51_6 Depth=1
	s_and_not1_saveexec_b32 s0, s0
; %bb.46:                               ;   in Loop: Header=BB51_6 Depth=1
	v_and_b32_e32 v103, 0xffff, v104
	v_or_b32_e32 v113, 0x10000, v104
	s_delay_alu instid0(VALU_DEP_2) | instskip(NEXT) | instid1(VALU_DEP_2)
	v_cmp_eq_u32_e32 vcc_lo, 0, v103
	v_cndmask_b32_e32 v103, v113, v104, vcc_lo
; %bb.47:                               ;   in Loop: Header=BB51_6 Depth=1
	s_or_b32 exec_lo, exec_lo, s0
	v_and_b32_e32 v104, 0x7f800000, v101
	s_delay_alu instid0(VALU_DEP_2)
	v_perm_b32 v103, v103, v112, 0x7060302
	s_mov_b32 s0, exec_lo
	ds_store_b32 v109, v103
                                        ; implicit-def: $vgpr103
	v_cmpx_ne_u32_e32 0x7f800000, v104
	s_xor_b32 s0, exec_lo, s0
; %bb.48:                               ;   in Loop: Header=BB51_6 Depth=1
	v_bfe_u32 v103, v101, 16, 1
	s_delay_alu instid0(VALU_DEP_1)
	v_add3_u32 v103, v101, v103, 0x7fff
; %bb.49:                               ;   in Loop: Header=BB51_6 Depth=1
	s_and_not1_saveexec_b32 s0, s0
; %bb.50:                               ;   in Loop: Header=BB51_6 Depth=1
	v_and_b32_e32 v103, 0xffff, v101
	v_or_b32_e32 v104, 0x10000, v101
	s_delay_alu instid0(VALU_DEP_2) | instskip(NEXT) | instid1(VALU_DEP_2)
	v_cmp_eq_u32_e32 vcc_lo, 0, v103
	v_cndmask_b32_e32 v103, v104, v101, vcc_lo
; %bb.51:                               ;   in Loop: Header=BB51_6 Depth=1
	s_or_b32 exec_lo, exec_lo, s0
	v_and_b32_e32 v101, 0x7f800000, v102
	s_delay_alu instid0(VALU_DEP_1) | instskip(SKIP_1) | instid1(SALU_CYCLE_1)
	v_cmp_ne_u32_e32 vcc_lo, 0x7f800000, v101
                                        ; implicit-def: $vgpr101
	s_and_saveexec_b32 s0, vcc_lo
	s_xor_b32 s0, exec_lo, s0
; %bb.52:                               ;   in Loop: Header=BB51_6 Depth=1
	v_bfe_u32 v101, v102, 16, 1
	s_delay_alu instid0(VALU_DEP_1)
	v_add3_u32 v101, v102, v101, 0x7fff
                                        ; implicit-def: $vgpr102
; %bb.53:                               ;   in Loop: Header=BB51_6 Depth=1
	s_and_not1_saveexec_b32 s0, s0
; %bb.54:                               ;   in Loop: Header=BB51_6 Depth=1
	v_and_b32_e32 v101, 0xffff, v102
	v_or_b32_e32 v104, 0x10000, v102
	s_delay_alu instid0(VALU_DEP_2) | instskip(NEXT) | instid1(VALU_DEP_2)
	v_cmp_eq_u32_e32 vcc_lo, 0, v101
	v_cndmask_b32_e32 v101, v104, v102, vcc_lo
; %bb.55:                               ;   in Loop: Header=BB51_6 Depth=1
	s_or_b32 exec_lo, exec_lo, s0
	v_and_b32_e32 v102, 0x7f800000, v97
	s_delay_alu instid0(VALU_DEP_2)
	v_perm_b32 v101, v101, v103, 0x7060302
	s_mov_b32 s0, exec_lo
	ds_store_b32 v109, v101 offset:144
                                        ; implicit-def: $vgpr101
	v_cmpx_ne_u32_e32 0x7f800000, v102
	s_xor_b32 s0, exec_lo, s0
; %bb.56:                               ;   in Loop: Header=BB51_6 Depth=1
	v_bfe_u32 v101, v97, 16, 1
	s_delay_alu instid0(VALU_DEP_1)
	v_add3_u32 v101, v97, v101, 0x7fff
; %bb.57:                               ;   in Loop: Header=BB51_6 Depth=1
	s_and_not1_saveexec_b32 s0, s0
; %bb.58:                               ;   in Loop: Header=BB51_6 Depth=1
	v_and_b32_e32 v101, 0xffff, v97
	v_or_b32_e32 v102, 0x10000, v97
	s_delay_alu instid0(VALU_DEP_2) | instskip(NEXT) | instid1(VALU_DEP_2)
	v_cmp_eq_u32_e32 vcc_lo, 0, v101
	v_cndmask_b32_e32 v101, v102, v97, vcc_lo
; %bb.59:                               ;   in Loop: Header=BB51_6 Depth=1
	s_or_b32 exec_lo, exec_lo, s0
	v_and_b32_e32 v97, 0x7f800000, v98
	s_delay_alu instid0(VALU_DEP_1) | instskip(SKIP_1) | instid1(SALU_CYCLE_1)
	v_cmp_ne_u32_e32 vcc_lo, 0x7f800000, v97
                                        ; implicit-def: $vgpr97
	s_and_saveexec_b32 s0, vcc_lo
	s_xor_b32 s0, exec_lo, s0
; %bb.60:                               ;   in Loop: Header=BB51_6 Depth=1
	v_bfe_u32 v97, v98, 16, 1
	s_delay_alu instid0(VALU_DEP_1)
	v_add3_u32 v97, v98, v97, 0x7fff
                                        ; implicit-def: $vgpr98
; %bb.61:                               ;   in Loop: Header=BB51_6 Depth=1
	s_and_not1_saveexec_b32 s0, s0
; %bb.62:                               ;   in Loop: Header=BB51_6 Depth=1
	v_and_b32_e32 v97, 0xffff, v98
	v_or_b32_e32 v102, 0x10000, v98
	s_delay_alu instid0(VALU_DEP_2) | instskip(NEXT) | instid1(VALU_DEP_2)
	v_cmp_eq_u32_e32 vcc_lo, 0, v97
	v_cndmask_b32_e32 v97, v102, v98, vcc_lo
; %bb.63:                               ;   in Loop: Header=BB51_6 Depth=1
	s_or_b32 exec_lo, exec_lo, s0
	v_and_b32_e32 v98, 0x7f800000, v99
	s_delay_alu instid0(VALU_DEP_2)
	v_perm_b32 v97, v97, v101, 0x7060302
	s_mov_b32 s0, exec_lo
	ds_store_b32 v109, v97 offset:288
                                        ; implicit-def: $vgpr97
	v_cmpx_ne_u32_e32 0x7f800000, v98
	s_xor_b32 s0, exec_lo, s0
; %bb.64:                               ;   in Loop: Header=BB51_6 Depth=1
	v_bfe_u32 v97, v99, 16, 1
	s_delay_alu instid0(VALU_DEP_1)
	v_add3_u32 v97, v99, v97, 0x7fff
; %bb.65:                               ;   in Loop: Header=BB51_6 Depth=1
	s_and_not1_saveexec_b32 s0, s0
; %bb.66:                               ;   in Loop: Header=BB51_6 Depth=1
	v_and_b32_e32 v97, 0xffff, v99
	v_or_b32_e32 v98, 0x10000, v99
	s_delay_alu instid0(VALU_DEP_2) | instskip(NEXT) | instid1(VALU_DEP_2)
	v_cmp_eq_u32_e32 vcc_lo, 0, v97
	v_cndmask_b32_e32 v97, v98, v99, vcc_lo
; %bb.67:                               ;   in Loop: Header=BB51_6 Depth=1
	s_or_b32 exec_lo, exec_lo, s0
	v_and_b32_e32 v98, 0x7f800000, v100
	s_delay_alu instid0(VALU_DEP_1) | instskip(SKIP_1) | instid1(SALU_CYCLE_1)
	v_cmp_ne_u32_e32 vcc_lo, 0x7f800000, v98
                                        ; implicit-def: $vgpr98
	s_and_saveexec_b32 s0, vcc_lo
	s_xor_b32 s0, exec_lo, s0
; %bb.68:                               ;   in Loop: Header=BB51_6 Depth=1
	v_bfe_u32 v98, v100, 16, 1
	s_delay_alu instid0(VALU_DEP_1)
	v_add3_u32 v98, v100, v98, 0x7fff
                                        ; implicit-def: $vgpr100
; %bb.69:                               ;   in Loop: Header=BB51_6 Depth=1
	s_and_not1_saveexec_b32 s0, s0
; %bb.70:                               ;   in Loop: Header=BB51_6 Depth=1
	v_and_b32_e32 v98, 0xffff, v100
	v_or_b32_e32 v99, 0x10000, v100
	s_delay_alu instid0(VALU_DEP_2) | instskip(NEXT) | instid1(VALU_DEP_2)
	v_cmp_eq_u32_e32 vcc_lo, 0, v98
	v_cndmask_b32_e32 v98, v99, v100, vcc_lo
; %bb.71:                               ;   in Loop: Header=BB51_6 Depth=1
	s_or_b32 exec_lo, exec_lo, s0
	v_and_b32_e32 v99, 0x7f800000, v93
	s_delay_alu instid0(VALU_DEP_2)
	v_perm_b32 v97, v98, v97, 0x7060302
	s_mov_b32 s0, exec_lo
	ds_store_b32 v109, v97 offset:432
                                        ; implicit-def: $vgpr97
	v_cmpx_ne_u32_e32 0x7f800000, v99
	s_xor_b32 s0, exec_lo, s0
; %bb.72:                               ;   in Loop: Header=BB51_6 Depth=1
	v_bfe_u32 v97, v93, 16, 1
	s_delay_alu instid0(VALU_DEP_1)
	v_add3_u32 v97, v93, v97, 0x7fff
; %bb.73:                               ;   in Loop: Header=BB51_6 Depth=1
	s_and_not1_saveexec_b32 s0, s0
; %bb.74:                               ;   in Loop: Header=BB51_6 Depth=1
	v_and_b32_e32 v97, 0xffff, v93
	v_or_b32_e32 v98, 0x10000, v93
	s_delay_alu instid0(VALU_DEP_2) | instskip(NEXT) | instid1(VALU_DEP_2)
	v_cmp_eq_u32_e32 vcc_lo, 0, v97
	v_cndmask_b32_e32 v97, v98, v93, vcc_lo
; %bb.75:                               ;   in Loop: Header=BB51_6 Depth=1
	s_or_b32 exec_lo, exec_lo, s0
	v_and_b32_e32 v93, 0x7f800000, v94
	s_delay_alu instid0(VALU_DEP_1) | instskip(SKIP_1) | instid1(SALU_CYCLE_1)
	v_cmp_ne_u32_e32 vcc_lo, 0x7f800000, v93
                                        ; implicit-def: $vgpr93
	s_and_saveexec_b32 s0, vcc_lo
	s_xor_b32 s0, exec_lo, s0
; %bb.76:                               ;   in Loop: Header=BB51_6 Depth=1
	v_bfe_u32 v93, v94, 16, 1
	s_delay_alu instid0(VALU_DEP_1)
	v_add3_u32 v93, v94, v93, 0x7fff
                                        ; implicit-def: $vgpr94
; %bb.77:                               ;   in Loop: Header=BB51_6 Depth=1
	s_and_not1_saveexec_b32 s0, s0
; %bb.78:                               ;   in Loop: Header=BB51_6 Depth=1
	v_and_b32_e32 v93, 0xffff, v94
	v_or_b32_e32 v98, 0x10000, v94
	s_delay_alu instid0(VALU_DEP_2) | instskip(NEXT) | instid1(VALU_DEP_2)
	v_cmp_eq_u32_e32 vcc_lo, 0, v93
	v_cndmask_b32_e32 v93, v98, v94, vcc_lo
; %bb.79:                               ;   in Loop: Header=BB51_6 Depth=1
	s_or_b32 exec_lo, exec_lo, s0
	v_and_b32_e32 v94, 0x7f800000, v95
	s_delay_alu instid0(VALU_DEP_2)
	v_perm_b32 v93, v93, v97, 0x7060302
	s_mov_b32 s0, exec_lo
	ds_store_b32 v109, v93 offset:576
                                        ; implicit-def: $vgpr93
	v_cmpx_ne_u32_e32 0x7f800000, v94
	s_xor_b32 s0, exec_lo, s0
; %bb.80:                               ;   in Loop: Header=BB51_6 Depth=1
	v_bfe_u32 v93, v95, 16, 1
	s_delay_alu instid0(VALU_DEP_1)
	v_add3_u32 v93, v95, v93, 0x7fff
; %bb.81:                               ;   in Loop: Header=BB51_6 Depth=1
	s_and_not1_saveexec_b32 s0, s0
; %bb.82:                               ;   in Loop: Header=BB51_6 Depth=1
	v_and_b32_e32 v93, 0xffff, v95
	v_or_b32_e32 v94, 0x10000, v95
	s_delay_alu instid0(VALU_DEP_2) | instskip(NEXT) | instid1(VALU_DEP_2)
	v_cmp_eq_u32_e32 vcc_lo, 0, v93
	v_cndmask_b32_e32 v93, v94, v95, vcc_lo
; %bb.83:                               ;   in Loop: Header=BB51_6 Depth=1
	s_or_b32 exec_lo, exec_lo, s0
	v_and_b32_e32 v94, 0x7f800000, v96
	s_delay_alu instid0(VALU_DEP_1) | instskip(SKIP_1) | instid1(SALU_CYCLE_1)
	v_cmp_ne_u32_e32 vcc_lo, 0x7f800000, v94
                                        ; implicit-def: $vgpr94
	s_and_saveexec_b32 s0, vcc_lo
	s_xor_b32 s0, exec_lo, s0
; %bb.84:                               ;   in Loop: Header=BB51_6 Depth=1
	v_bfe_u32 v94, v96, 16, 1
	s_delay_alu instid0(VALU_DEP_1)
	v_add3_u32 v94, v96, v94, 0x7fff
                                        ; implicit-def: $vgpr96
; %bb.85:                               ;   in Loop: Header=BB51_6 Depth=1
	s_and_not1_saveexec_b32 s0, s0
; %bb.86:                               ;   in Loop: Header=BB51_6 Depth=1
	v_and_b32_e32 v94, 0xffff, v96
	v_or_b32_e32 v95, 0x10000, v96
	s_delay_alu instid0(VALU_DEP_2) | instskip(NEXT) | instid1(VALU_DEP_2)
	v_cmp_eq_u32_e32 vcc_lo, 0, v94
	v_cndmask_b32_e32 v94, v95, v96, vcc_lo
; %bb.87:                               ;   in Loop: Header=BB51_6 Depth=1
	s_or_b32 exec_lo, exec_lo, s0
	v_and_b32_e32 v95, 0x7f800000, v89
	s_delay_alu instid0(VALU_DEP_2)
	v_perm_b32 v93, v94, v93, 0x7060302
	s_mov_b32 s0, exec_lo
	ds_store_b32 v109, v93 offset:720
                                        ; implicit-def: $vgpr93
	v_cmpx_ne_u32_e32 0x7f800000, v95
	s_xor_b32 s0, exec_lo, s0
; %bb.88:                               ;   in Loop: Header=BB51_6 Depth=1
	v_bfe_u32 v93, v89, 16, 1
	s_delay_alu instid0(VALU_DEP_1)
	v_add3_u32 v93, v89, v93, 0x7fff
; %bb.89:                               ;   in Loop: Header=BB51_6 Depth=1
	s_and_not1_saveexec_b32 s0, s0
; %bb.90:                               ;   in Loop: Header=BB51_6 Depth=1
	v_and_b32_e32 v93, 0xffff, v89
	v_or_b32_e32 v94, 0x10000, v89
	s_delay_alu instid0(VALU_DEP_2) | instskip(NEXT) | instid1(VALU_DEP_2)
	v_cmp_eq_u32_e32 vcc_lo, 0, v93
	v_cndmask_b32_e32 v93, v94, v89, vcc_lo
; %bb.91:                               ;   in Loop: Header=BB51_6 Depth=1
	s_or_b32 exec_lo, exec_lo, s0
	v_and_b32_e32 v89, 0x7f800000, v90
	s_delay_alu instid0(VALU_DEP_1) | instskip(SKIP_1) | instid1(SALU_CYCLE_1)
	v_cmp_ne_u32_e32 vcc_lo, 0x7f800000, v89
                                        ; implicit-def: $vgpr89
	s_and_saveexec_b32 s0, vcc_lo
	s_xor_b32 s0, exec_lo, s0
; %bb.92:                               ;   in Loop: Header=BB51_6 Depth=1
	v_bfe_u32 v89, v90, 16, 1
	s_delay_alu instid0(VALU_DEP_1)
	v_add3_u32 v89, v90, v89, 0x7fff
                                        ; implicit-def: $vgpr90
; %bb.93:                               ;   in Loop: Header=BB51_6 Depth=1
	s_and_not1_saveexec_b32 s0, s0
; %bb.94:                               ;   in Loop: Header=BB51_6 Depth=1
	v_and_b32_e32 v89, 0xffff, v90
	v_or_b32_e32 v94, 0x10000, v90
	s_delay_alu instid0(VALU_DEP_2) | instskip(NEXT) | instid1(VALU_DEP_2)
	v_cmp_eq_u32_e32 vcc_lo, 0, v89
	v_cndmask_b32_e32 v89, v94, v90, vcc_lo
; %bb.95:                               ;   in Loop: Header=BB51_6 Depth=1
	s_or_b32 exec_lo, exec_lo, s0
	v_and_b32_e32 v90, 0x7f800000, v91
	s_delay_alu instid0(VALU_DEP_2)
	v_perm_b32 v89, v89, v93, 0x7060302
	s_mov_b32 s0, exec_lo
	ds_store_b32 v109, v89 offset:864
                                        ; implicit-def: $vgpr89
	v_cmpx_ne_u32_e32 0x7f800000, v90
	s_xor_b32 s0, exec_lo, s0
; %bb.96:                               ;   in Loop: Header=BB51_6 Depth=1
	v_bfe_u32 v89, v91, 16, 1
	s_delay_alu instid0(VALU_DEP_1)
	v_add3_u32 v89, v91, v89, 0x7fff
; %bb.97:                               ;   in Loop: Header=BB51_6 Depth=1
	s_and_not1_saveexec_b32 s0, s0
; %bb.98:                               ;   in Loop: Header=BB51_6 Depth=1
	v_and_b32_e32 v89, 0xffff, v91
	v_or_b32_e32 v90, 0x10000, v91
	s_delay_alu instid0(VALU_DEP_2) | instskip(NEXT) | instid1(VALU_DEP_2)
	v_cmp_eq_u32_e32 vcc_lo, 0, v89
	v_cndmask_b32_e32 v89, v90, v91, vcc_lo
; %bb.99:                               ;   in Loop: Header=BB51_6 Depth=1
	s_or_b32 exec_lo, exec_lo, s0
	v_and_b32_e32 v90, 0x7f800000, v92
	s_delay_alu instid0(VALU_DEP_1) | instskip(SKIP_1) | instid1(SALU_CYCLE_1)
	v_cmp_ne_u32_e32 vcc_lo, 0x7f800000, v90
                                        ; implicit-def: $vgpr90
	s_and_saveexec_b32 s0, vcc_lo
	s_xor_b32 s0, exec_lo, s0
; %bb.100:                              ;   in Loop: Header=BB51_6 Depth=1
	v_bfe_u32 v90, v92, 16, 1
	s_delay_alu instid0(VALU_DEP_1)
	v_add3_u32 v90, v92, v90, 0x7fff
                                        ; implicit-def: $vgpr92
; %bb.101:                              ;   in Loop: Header=BB51_6 Depth=1
	s_and_not1_saveexec_b32 s0, s0
; %bb.102:                              ;   in Loop: Header=BB51_6 Depth=1
	v_and_b32_e32 v90, 0xffff, v92
	v_or_b32_e32 v91, 0x10000, v92
	s_delay_alu instid0(VALU_DEP_2) | instskip(NEXT) | instid1(VALU_DEP_2)
	v_cmp_eq_u32_e32 vcc_lo, 0, v90
	v_cndmask_b32_e32 v90, v91, v92, vcc_lo
; %bb.103:                              ;   in Loop: Header=BB51_6 Depth=1
	s_or_b32 exec_lo, exec_lo, s0
	v_and_b32_e32 v91, 0x7f800000, v85
	s_delay_alu instid0(VALU_DEP_2)
	v_perm_b32 v89, v90, v89, 0x7060302
	s_mov_b32 s0, exec_lo
	ds_store_b32 v109, v89 offset:1008
                                        ; implicit-def: $vgpr89
	v_cmpx_ne_u32_e32 0x7f800000, v91
	s_xor_b32 s0, exec_lo, s0
; %bb.104:                              ;   in Loop: Header=BB51_6 Depth=1
	v_bfe_u32 v89, v85, 16, 1
	s_delay_alu instid0(VALU_DEP_1)
	v_add3_u32 v89, v85, v89, 0x7fff
; %bb.105:                              ;   in Loop: Header=BB51_6 Depth=1
	s_and_not1_saveexec_b32 s0, s0
; %bb.106:                              ;   in Loop: Header=BB51_6 Depth=1
	v_and_b32_e32 v89, 0xffff, v85
	v_or_b32_e32 v90, 0x10000, v85
	s_delay_alu instid0(VALU_DEP_2) | instskip(NEXT) | instid1(VALU_DEP_2)
	v_cmp_eq_u32_e32 vcc_lo, 0, v89
	v_cndmask_b32_e32 v89, v90, v85, vcc_lo
; %bb.107:                              ;   in Loop: Header=BB51_6 Depth=1
	s_or_b32 exec_lo, exec_lo, s0
	v_and_b32_e32 v85, 0x7f800000, v86
	s_delay_alu instid0(VALU_DEP_1) | instskip(SKIP_1) | instid1(SALU_CYCLE_1)
	v_cmp_ne_u32_e32 vcc_lo, 0x7f800000, v85
                                        ; implicit-def: $vgpr85
	s_and_saveexec_b32 s0, vcc_lo
	s_xor_b32 s0, exec_lo, s0
; %bb.108:                              ;   in Loop: Header=BB51_6 Depth=1
	v_bfe_u32 v85, v86, 16, 1
	s_delay_alu instid0(VALU_DEP_1)
	v_add3_u32 v85, v86, v85, 0x7fff
                                        ; implicit-def: $vgpr86
; %bb.109:                              ;   in Loop: Header=BB51_6 Depth=1
	s_and_not1_saveexec_b32 s0, s0
; %bb.110:                              ;   in Loop: Header=BB51_6 Depth=1
	v_and_b32_e32 v85, 0xffff, v86
	v_or_b32_e32 v90, 0x10000, v86
	s_delay_alu instid0(VALU_DEP_2) | instskip(NEXT) | instid1(VALU_DEP_2)
	v_cmp_eq_u32_e32 vcc_lo, 0, v85
	v_cndmask_b32_e32 v85, v90, v86, vcc_lo
; %bb.111:                              ;   in Loop: Header=BB51_6 Depth=1
	s_or_b32 exec_lo, exec_lo, s0
	v_and_b32_e32 v86, 0x7f800000, v87
	s_delay_alu instid0(VALU_DEP_2)
	v_perm_b32 v85, v85, v89, 0x7060302
	s_mov_b32 s0, exec_lo
	ds_store_b32 v109, v85 offset:1152
                                        ; implicit-def: $vgpr85
	v_cmpx_ne_u32_e32 0x7f800000, v86
	s_xor_b32 s0, exec_lo, s0
; %bb.112:                              ;   in Loop: Header=BB51_6 Depth=1
	v_bfe_u32 v85, v87, 16, 1
	s_delay_alu instid0(VALU_DEP_1)
	v_add3_u32 v85, v87, v85, 0x7fff
; %bb.113:                              ;   in Loop: Header=BB51_6 Depth=1
	s_and_not1_saveexec_b32 s0, s0
; %bb.114:                              ;   in Loop: Header=BB51_6 Depth=1
	v_and_b32_e32 v85, 0xffff, v87
	v_or_b32_e32 v86, 0x10000, v87
	s_delay_alu instid0(VALU_DEP_2) | instskip(NEXT) | instid1(VALU_DEP_2)
	v_cmp_eq_u32_e32 vcc_lo, 0, v85
	v_cndmask_b32_e32 v85, v86, v87, vcc_lo
; %bb.115:                              ;   in Loop: Header=BB51_6 Depth=1
	s_or_b32 exec_lo, exec_lo, s0
	v_and_b32_e32 v86, 0x7f800000, v88
	s_delay_alu instid0(VALU_DEP_1) | instskip(SKIP_1) | instid1(SALU_CYCLE_1)
	v_cmp_ne_u32_e32 vcc_lo, 0x7f800000, v86
                                        ; implicit-def: $vgpr86
	s_and_saveexec_b32 s0, vcc_lo
	s_xor_b32 s0, exec_lo, s0
; %bb.116:                              ;   in Loop: Header=BB51_6 Depth=1
	v_bfe_u32 v86, v88, 16, 1
	s_delay_alu instid0(VALU_DEP_1)
	v_add3_u32 v86, v88, v86, 0x7fff
                                        ; implicit-def: $vgpr88
; %bb.117:                              ;   in Loop: Header=BB51_6 Depth=1
	s_and_not1_saveexec_b32 s0, s0
; %bb.118:                              ;   in Loop: Header=BB51_6 Depth=1
	v_and_b32_e32 v86, 0xffff, v88
	v_or_b32_e32 v87, 0x10000, v88
	s_delay_alu instid0(VALU_DEP_2) | instskip(NEXT) | instid1(VALU_DEP_2)
	v_cmp_eq_u32_e32 vcc_lo, 0, v86
	v_cndmask_b32_e32 v86, v87, v88, vcc_lo
; %bb.119:                              ;   in Loop: Header=BB51_6 Depth=1
	s_or_b32 exec_lo, exec_lo, s0
	v_and_b32_e32 v87, 0x7f800000, v83
	s_delay_alu instid0(VALU_DEP_2)
	v_perm_b32 v85, v86, v85, 0x7060302
	s_mov_b32 s0, exec_lo
	ds_store_b32 v109, v85 offset:1296
                                        ; implicit-def: $vgpr85
	v_cmpx_ne_u32_e32 0x7f800000, v87
	s_xor_b32 s0, exec_lo, s0
; %bb.120:                              ;   in Loop: Header=BB51_6 Depth=1
	v_bfe_u32 v85, v83, 16, 1
	s_delay_alu instid0(VALU_DEP_1)
	v_add3_u32 v85, v83, v85, 0x7fff
; %bb.121:                              ;   in Loop: Header=BB51_6 Depth=1
	s_and_not1_saveexec_b32 s0, s0
; %bb.122:                              ;   in Loop: Header=BB51_6 Depth=1
	v_and_b32_e32 v85, 0xffff, v83
	v_or_b32_e32 v86, 0x10000, v83
	s_delay_alu instid0(VALU_DEP_2) | instskip(NEXT) | instid1(VALU_DEP_2)
	v_cmp_eq_u32_e32 vcc_lo, 0, v85
	v_cndmask_b32_e32 v85, v86, v83, vcc_lo
; %bb.123:                              ;   in Loop: Header=BB51_6 Depth=1
	s_or_b32 exec_lo, exec_lo, s0
	v_and_b32_e32 v83, 0x7f800000, v84
	s_delay_alu instid0(VALU_DEP_1) | instskip(SKIP_1) | instid1(SALU_CYCLE_1)
	v_cmp_ne_u32_e32 vcc_lo, 0x7f800000, v83
                                        ; implicit-def: $vgpr83
	s_and_saveexec_b32 s0, vcc_lo
	s_xor_b32 s0, exec_lo, s0
; %bb.124:                              ;   in Loop: Header=BB51_6 Depth=1
	v_bfe_u32 v83, v84, 16, 1
	s_delay_alu instid0(VALU_DEP_1)
	v_add3_u32 v83, v84, v83, 0x7fff
                                        ; implicit-def: $vgpr84
; %bb.125:                              ;   in Loop: Header=BB51_6 Depth=1
	s_and_not1_saveexec_b32 s0, s0
	s_cbranch_execz .LBB51_5
; %bb.126:                              ;   in Loop: Header=BB51_6 Depth=1
	v_and_b32_e32 v83, 0xffff, v84
	v_or_b32_e32 v86, 0x10000, v84
	s_delay_alu instid0(VALU_DEP_2) | instskip(NEXT) | instid1(VALU_DEP_2)
	v_cmp_eq_u32_e32 vcc_lo, 0, v83
	v_cndmask_b32_e32 v83, v86, v84, vcc_lo
	s_branch .LBB51_5
.LBB51_127:
	s_or_b32 exec_lo, exec_lo, s41
.LBB51_128:
	s_delay_alu instid0(SALU_CYCLE_1)
	s_or_b32 exec_lo, exec_lo, s36
	v_lshrrev_b32_e32 v16, 2, v106
	v_add_nc_u32_e32 v17, 0, v108
	v_lshlrev_b32_e32 v18, 2, v107
	s_lshl_b64 s[4:5], s[30:31], 2
	v_cmp_gt_u32_e64 s0, 11, v105
	v_and_b32_e32 v16, 0xfc, v16
	s_waitcnt lgkmcnt(0)
	s_add_u32 s1, s34, s4
	s_addc_u32 s4, s35, s5
	s_cmp_gt_i32 s10, 0
	s_cselect_b32 s3, -1, 0
	v_add3_u32 v17, v17, v16, v18
	v_add_nc_u32_e32 v16, s2, v105
	v_lshl_add_u32 v18, v106, 2, 0
	ds_store_2addr_b32 v17, v8, v9 offset1:2
	ds_store_2addr_b32 v17, v10, v11 offset0:4 offset1:6
	ds_store_2addr_b32 v17, v12, v13 offset0:8 offset1:10
	;; [unrolled: 1-line block ×5, first 2 shown]
	v_cmp_gt_i32_e32 vcc_lo, s33, v16
	v_add_nc_u32_e32 v2, s7, v106
	v_mul_u32_u24_e32 v3, 0x90, v105
	ds_store_2addr_b32 v17, v4, v5 offset0:24 offset1:26
	ds_store_2addr_b32 v17, v6, v7 offset0:28 offset1:30
	s_and_b32 s5, s3, vcc_lo
	s_delay_alu instid0(SALU_CYCLE_1) | instskip(NEXT) | instid1(SALU_CYCLE_1)
	s_and_b32 s5, s0, s5
	s_and_saveexec_b32 s0, s5
	s_cbranch_execz .LBB51_131
; %bb.129:
	v_ashrrev_i32_e32 v17, 31, v16
	s_delay_alu instid0(VALU_DEP_1) | instskip(NEXT) | instid1(VALU_DEP_1)
	v_lshlrev_b64 v[0:1], 2, v[16:17]
	v_add_co_u32 v0, vcc_lo, s1, v0
	s_delay_alu instid0(VALU_DEP_2) | instskip(SKIP_3) | instid1(VALU_DEP_1)
	v_add_co_ci_u32_e32 v1, vcc_lo, s4, v1, vcc_lo
	global_load_b32 v0, v[0:1], off
	s_waitcnt vmcnt(0)
	v_mul_hi_u32 v1, v0, s19
	v_add_nc_u32_e32 v1, v0, v1
	s_delay_alu instid0(VALU_DEP_1) | instskip(NEXT) | instid1(VALU_DEP_1)
	v_lshrrev_b32_e32 v1, s26, v1
	v_cmp_gt_i32_e32 vcc_lo, s9, v1
	s_and_b32 exec_lo, exec_lo, vcc_lo
	s_cbranch_execz .LBB51_131
; %bb.130:
	v_mul_lo_u32 v4, v1, s27
	v_add_nc_u32_e32 v5, v18, v3
	s_delay_alu instid0(VALU_DEP_2) | instskip(SKIP_4) | instid1(VALU_DEP_1)
	v_sub_nc_u32_e32 v0, v0, v4
	ds_load_b32 v4, v5
	v_mul_lo_u32 v5, v1, s25
	v_mov_b32_e32 v1, 0
	v_mul_lo_u32 v0, v0, s6
	v_add3_u32 v0, v2, v5, v0
	s_delay_alu instid0(VALU_DEP_1) | instskip(SKIP_2) | instid1(VALU_DEP_2)
	v_lshlrev_b64 v[0:1], 2, v[0:1]
	s_waitcnt lgkmcnt(0)
	v_add_f32_e32 v4, 0, v4
	v_add_co_u32 v0, vcc_lo, s28, v0
	s_delay_alu instid0(VALU_DEP_3)
	v_add_co_ci_u32_e32 v1, vcc_lo, s29, v1, vcc_lo
	global_store_b32 v[0:1], v4, off
.LBB51_131:
	s_or_b32 exec_lo, exec_lo, s0
	v_add_nc_u32_e32 v0, 1, v16
	v_cmp_gt_u32_e64 s0, 10, v105
	s_delay_alu instid0(VALU_DEP_2)
	v_cmp_gt_i32_e32 vcc_lo, s33, v0
	s_and_b32 s5, s3, vcc_lo
	s_delay_alu instid0(VALU_DEP_2) | instid1(SALU_CYCLE_1)
	s_and_b32 s5, s0, s5
	s_delay_alu instid0(SALU_CYCLE_1)
	s_and_saveexec_b32 s0, s5
	s_cbranch_execz .LBB51_134
; %bb.132:
	s_ashr_i32 s5, s2, 31
	v_add_co_u32 v0, s7, v105, s2
	s_delay_alu instid0(VALU_DEP_1) | instskip(NEXT) | instid1(VALU_DEP_1)
	v_add_co_ci_u32_e64 v1, null, 0, s5, s7
	v_lshlrev_b64 v[0:1], 2, v[0:1]
	s_delay_alu instid0(VALU_DEP_1) | instskip(NEXT) | instid1(VALU_DEP_2)
	v_add_co_u32 v0, vcc_lo, s1, v0
	v_add_co_ci_u32_e32 v1, vcc_lo, s4, v1, vcc_lo
	global_load_b32 v0, v[0:1], off offset:4
	s_waitcnt vmcnt(0)
	v_mul_hi_u32 v1, v0, s19
	s_delay_alu instid0(VALU_DEP_1) | instskip(NEXT) | instid1(VALU_DEP_1)
	v_add_nc_u32_e32 v1, v0, v1
	v_lshrrev_b32_e32 v4, s26, v1
	v_mov_b32_e32 v1, 0
	s_delay_alu instid0(VALU_DEP_2)
	v_cmp_gt_i32_e32 vcc_lo, s9, v4
	s_and_b32 exec_lo, exec_lo, vcc_lo
	s_cbranch_execz .LBB51_134
; %bb.133:
	v_mul_lo_u32 v5, v4, s27
	v_add_nc_u32_e32 v6, v3, v18
	v_mul_lo_u32 v4, v4, s25
	s_delay_alu instid0(VALU_DEP_3) | instskip(SKIP_2) | instid1(VALU_DEP_1)
	v_sub_nc_u32_e32 v0, v0, v5
	ds_load_b32 v5, v6 offset:144
	v_mul_lo_u32 v0, v0, s6
	v_add3_u32 v0, v2, v4, v0
	s_delay_alu instid0(VALU_DEP_1) | instskip(SKIP_2) | instid1(VALU_DEP_2)
	v_lshlrev_b64 v[0:1], 2, v[0:1]
	s_waitcnt lgkmcnt(0)
	v_add_f32_e32 v4, 0, v5
	v_add_co_u32 v0, vcc_lo, s28, v0
	s_delay_alu instid0(VALU_DEP_3)
	v_add_co_ci_u32_e32 v1, vcc_lo, s29, v1, vcc_lo
	global_store_b32 v[0:1], v4, off
.LBB51_134:
	s_or_b32 exec_lo, exec_lo, s0
	v_add_nc_u32_e32 v0, 2, v16
	v_cmp_gt_u32_e64 s0, 9, v105
	s_delay_alu instid0(VALU_DEP_2)
	v_cmp_gt_i32_e32 vcc_lo, s33, v0
	s_and_b32 s5, s3, vcc_lo
	s_delay_alu instid0(VALU_DEP_2) | instid1(SALU_CYCLE_1)
	s_and_b32 s5, s0, s5
	s_delay_alu instid0(SALU_CYCLE_1)
	s_and_saveexec_b32 s0, s5
	s_cbranch_execz .LBB51_137
; %bb.135:
	s_ashr_i32 s5, s2, 31
	v_add_co_u32 v0, s7, v105, s2
	s_delay_alu instid0(VALU_DEP_1) | instskip(NEXT) | instid1(VALU_DEP_1)
	v_add_co_ci_u32_e64 v1, null, 0, s5, s7
	v_lshlrev_b64 v[0:1], 2, v[0:1]
	s_delay_alu instid0(VALU_DEP_1) | instskip(NEXT) | instid1(VALU_DEP_2)
	v_add_co_u32 v0, vcc_lo, s1, v0
	v_add_co_ci_u32_e32 v1, vcc_lo, s4, v1, vcc_lo
	global_load_b32 v0, v[0:1], off offset:8
	s_waitcnt vmcnt(0)
	v_mul_hi_u32 v1, v0, s19
	s_delay_alu instid0(VALU_DEP_1) | instskip(NEXT) | instid1(VALU_DEP_1)
	v_add_nc_u32_e32 v1, v0, v1
	v_lshrrev_b32_e32 v4, s26, v1
	v_mov_b32_e32 v1, 0
	s_delay_alu instid0(VALU_DEP_2)
	v_cmp_gt_i32_e32 vcc_lo, s9, v4
	s_and_b32 exec_lo, exec_lo, vcc_lo
	s_cbranch_execz .LBB51_137
; %bb.136:
	v_mul_lo_u32 v5, v4, s27
	v_add_nc_u32_e32 v6, v18, v3
	v_mul_lo_u32 v4, v4, s25
	s_delay_alu instid0(VALU_DEP_3) | instskip(SKIP_2) | instid1(VALU_DEP_1)
	v_sub_nc_u32_e32 v0, v0, v5
	ds_load_b32 v5, v6 offset:288
	v_mul_lo_u32 v0, v0, s6
	v_add3_u32 v0, v2, v4, v0
	s_delay_alu instid0(VALU_DEP_1) | instskip(SKIP_2) | instid1(VALU_DEP_2)
	v_lshlrev_b64 v[0:1], 2, v[0:1]
	s_waitcnt lgkmcnt(0)
	v_add_f32_e32 v4, 0, v5
	v_add_co_u32 v0, vcc_lo, s28, v0
	s_delay_alu instid0(VALU_DEP_3)
	v_add_co_ci_u32_e32 v1, vcc_lo, s29, v1, vcc_lo
	global_store_b32 v[0:1], v4, off
.LBB51_137:
	;; [unrolled: 49-line block ×9, first 2 shown]
	s_or_b32 exec_lo, exec_lo, s0
	v_add_nc_u32_e32 v0, 10, v16
	v_cmp_eq_u32_e64 s0, 0, v105
	s_delay_alu instid0(VALU_DEP_2)
	v_cmp_gt_i32_e32 vcc_lo, s33, v0
	s_and_b32 s3, s3, vcc_lo
	s_delay_alu instid0(VALU_DEP_2) | instid1(SALU_CYCLE_1)
	s_and_b32 s0, s0, s3
	s_delay_alu instid0(SALU_CYCLE_1)
	s_and_saveexec_b32 s3, s0
	s_cbranch_execz .LBB51_161
; %bb.159:
	s_ashr_i32 s3, s2, 31
	s_delay_alu instid0(SALU_CYCLE_1) | instskip(NEXT) | instid1(SALU_CYCLE_1)
	s_lshl_b64 s[2:3], s[2:3], 2
	s_add_u32 s0, s1, s2
	s_addc_u32 s1, s4, s3
	s_load_b32 s0, s[0:1], 0x28
	s_waitcnt lgkmcnt(0)
	s_mul_hi_u32 s1, s0, s19
	s_delay_alu instid0(SALU_CYCLE_1) | instskip(NEXT) | instid1(SALU_CYCLE_1)
	s_add_i32 s1, s0, s1
	s_lshr_b32 s1, s1, s26
	s_delay_alu instid0(SALU_CYCLE_1)
	s_cmp_ge_i32 s1, s9
	s_cbranch_scc1 .LBB51_161
; %bb.160:
	v_dual_mov_b32 v1, 0 :: v_dual_add_nc_u32 v0, v18, v3
	s_mul_i32 s2, s1, s27
	s_mul_i32 s1, s1, s25
	s_sub_i32 s0, s0, s2
	ds_load_b32 v3, v0 offset:1440
	s_mul_i32 s0, s0, s6
	s_delay_alu instid0(SALU_CYCLE_1) | instskip(NEXT) | instid1(VALU_DEP_1)
	v_add3_u32 v0, s0, s1, v2
	v_lshlrev_b64 v[0:1], 2, v[0:1]
	s_delay_alu instid0(VALU_DEP_1) | instskip(NEXT) | instid1(VALU_DEP_2)
	v_add_co_u32 v0, vcc_lo, s28, v0
	v_add_co_ci_u32_e32 v1, vcc_lo, s29, v1, vcc_lo
	s_waitcnt lgkmcnt(0)
	v_add_f32_e32 v2, 0, v3
	global_store_b32 v[0:1], v2, off
.LBB51_161:
	s_nop 0
	s_sendmsg sendmsg(MSG_DEALLOC_VGPRS)
	s_endpgm
	.section	.rodata,"a",@progbits
	.p2align	6, 0x0
	.amdhsa_kernel _ZL13mul_mat_f_idsI15__hip_bfloat162Li32ELi11ELi1EEvPKT_PKfPKiS7_S7_Pfiiiiiiiiiiiiii15HIP_vector_typeIjLj3EESA_
		.amdhsa_group_segment_fixed_size 0
		.amdhsa_private_segment_fixed_size 0
		.amdhsa_kernarg_size 128
		.amdhsa_user_sgpr_count 13
		.amdhsa_user_sgpr_dispatch_ptr 0
		.amdhsa_user_sgpr_queue_ptr 0
		.amdhsa_user_sgpr_kernarg_segment_ptr 1
		.amdhsa_user_sgpr_dispatch_id 0
		.amdhsa_user_sgpr_private_segment_size 0
		.amdhsa_wavefront_size32 1
		.amdhsa_uses_dynamic_stack 0
		.amdhsa_enable_private_segment 0
		.amdhsa_system_sgpr_workgroup_id_x 1
		.amdhsa_system_sgpr_workgroup_id_y 1
		.amdhsa_system_sgpr_workgroup_id_z 1
		.amdhsa_system_sgpr_workgroup_info 0
		.amdhsa_system_vgpr_workitem_id 1
		.amdhsa_next_free_vgpr 120
		.amdhsa_next_free_sgpr 76
		.amdhsa_reserve_vcc 1
		.amdhsa_float_round_mode_32 0
		.amdhsa_float_round_mode_16_64 0
		.amdhsa_float_denorm_mode_32 3
		.amdhsa_float_denorm_mode_16_64 3
		.amdhsa_dx10_clamp 1
		.amdhsa_ieee_mode 1
		.amdhsa_fp16_overflow 0
		.amdhsa_workgroup_processor_mode 1
		.amdhsa_memory_ordered 1
		.amdhsa_forward_progress 0
		.amdhsa_shared_vgpr_count 0
		.amdhsa_exception_fp_ieee_invalid_op 0
		.amdhsa_exception_fp_denorm_src 0
		.amdhsa_exception_fp_ieee_div_zero 0
		.amdhsa_exception_fp_ieee_overflow 0
		.amdhsa_exception_fp_ieee_underflow 0
		.amdhsa_exception_fp_ieee_inexact 0
		.amdhsa_exception_int_div_zero 0
	.end_amdhsa_kernel
	.section	.text._ZL13mul_mat_f_idsI15__hip_bfloat162Li32ELi11ELi1EEvPKT_PKfPKiS7_S7_Pfiiiiiiiiiiiiii15HIP_vector_typeIjLj3EESA_,"axG",@progbits,_ZL13mul_mat_f_idsI15__hip_bfloat162Li32ELi11ELi1EEvPKT_PKfPKiS7_S7_Pfiiiiiiiiiiiiii15HIP_vector_typeIjLj3EESA_,comdat
.Lfunc_end51:
	.size	_ZL13mul_mat_f_idsI15__hip_bfloat162Li32ELi11ELi1EEvPKT_PKfPKiS7_S7_Pfiiiiiiiiiiiiii15HIP_vector_typeIjLj3EESA_, .Lfunc_end51-_ZL13mul_mat_f_idsI15__hip_bfloat162Li32ELi11ELi1EEvPKT_PKfPKiS7_S7_Pfiiiiiiiiiiiiii15HIP_vector_typeIjLj3EESA_
                                        ; -- End function
	.section	.AMDGPU.csdata,"",@progbits
; Kernel info:
; codeLenInByte = 9172
; NumSgprs: 78
; NumVgprs: 120
; ScratchSize: 0
; MemoryBound: 0
; FloatMode: 240
; IeeeMode: 1
; LDSByteSize: 0 bytes/workgroup (compile time only)
; SGPRBlocks: 9
; VGPRBlocks: 14
; NumSGPRsForWavesPerEU: 78
; NumVGPRsForWavesPerEU: 120
; Occupancy: 12
; WaveLimiterHint : 1
; COMPUTE_PGM_RSRC2:SCRATCH_EN: 0
; COMPUTE_PGM_RSRC2:USER_SGPR: 13
; COMPUTE_PGM_RSRC2:TRAP_HANDLER: 0
; COMPUTE_PGM_RSRC2:TGID_X_EN: 1
; COMPUTE_PGM_RSRC2:TGID_Y_EN: 1
; COMPUTE_PGM_RSRC2:TGID_Z_EN: 1
; COMPUTE_PGM_RSRC2:TIDIG_COMP_CNT: 1
	.section	.text._ZL9mul_mat_fI15__hip_bfloat162Li32ELi11ELi1ELb1EEvPKT_PKfPKiPfiiiiiiiiiiiiiiii,"axG",@progbits,_ZL9mul_mat_fI15__hip_bfloat162Li32ELi11ELi1ELb1EEvPKT_PKfPKiPfiiiiiiiiiiiiiiii,comdat
	.globl	_ZL9mul_mat_fI15__hip_bfloat162Li32ELi11ELi1ELb1EEvPKT_PKfPKiPfiiiiiiiiiiiiiiii ; -- Begin function _ZL9mul_mat_fI15__hip_bfloat162Li32ELi11ELi1ELb1EEvPKT_PKfPKiPfiiiiiiiiiiiiiiii
	.p2align	8
	.type	_ZL9mul_mat_fI15__hip_bfloat162Li32ELi11ELi1ELb1EEvPKT_PKfPKiPfiiiiiiiiiiiiiiii,@function
_ZL9mul_mat_fI15__hip_bfloat162Li32ELi11ELi1ELb1EEvPKT_PKfPKiPfiiiiiiiiiiiiiiii: ; @_ZL9mul_mat_fI15__hip_bfloat162Li32ELi11ELi1ELb1EEvPKT_PKfPKiPfiiiiiiiiiiiiiiii
; %bb.0:
	s_clause 0x1
	s_load_b256 s[20:27], s[0:1], 0x20
	s_load_b128 s[28:31], s[0:1], 0x44
	v_and_b32_e32 v80, 0x3ff, v0
	v_bfe_u32 v86, v0, 10, 10
	s_delay_alu instid0(VALU_DEP_2) | instskip(NEXT) | instid1(VALU_DEP_2)
	v_cmp_eq_u32_e32 vcc_lo, 0, v80
	v_lshl_add_u32 v87, v86, 2, 0x100
	s_waitcnt lgkmcnt(0)
	s_add_i32 s2, s21, 10
	s_delay_alu instid0(SALU_CYCLE_1) | instskip(NEXT) | instid1(SALU_CYCLE_1)
	s_mul_hi_i32 s2, s2, 0x2e8ba2e9
	s_lshr_b32 s3, s2, 31
	s_ashr_i32 s2, s2, 1
	s_delay_alu instid0(SALU_CYCLE_1)
	s_add_i32 s2, s2, s3
	s_load_b32 s3, s[0:1], 0x64
	v_cvt_f32_u32_e32 v1, s2
	s_add_u32 s18, s0, 0x60
	s_addc_u32 s19, s1, 0
	s_sub_i32 s5, 0, s2
	s_delay_alu instid0(VALU_DEP_1) | instskip(SKIP_2) | instid1(VALU_DEP_1)
	v_rcp_iflag_f32_e32 v1, v1
	s_waitcnt_depctr 0xfff
	v_mul_f32_e32 v1, 0x4f7ffffe, v1
	v_cvt_u32_f32_e32 v1, v1
	s_delay_alu instid0(VALU_DEP_1) | instskip(NEXT) | instid1(VALU_DEP_1)
	v_readfirstlane_b32 s4, v1
	s_mul_i32 s5, s5, s4
	s_delay_alu instid0(SALU_CYCLE_1) | instskip(NEXT) | instid1(SALU_CYCLE_1)
	s_mul_hi_u32 s5, s4, s5
	s_add_i32 s4, s4, s5
	s_waitcnt lgkmcnt(0)
	s_mul_hi_u32 s4, s3, s4
	s_delay_alu instid0(SALU_CYCLE_1) | instskip(NEXT) | instid1(SALU_CYCLE_1)
	s_mul_i32 s5, s4, s2
	s_sub_i32 s3, s3, s5
	s_add_i32 s5, s4, 1
	s_sub_i32 s6, s3, s2
	s_cmp_ge_u32 s3, s2
	s_cselect_b32 s4, s5, s4
	s_cselect_b32 s3, s6, s3
	s_add_i32 s5, s4, 1
	s_cmp_ge_u32 s3, s2
	s_cselect_b32 s2, s5, s4
	s_load_b64 s[4:5], s[0:1], 0x10
	v_cvt_f32_u32_e32 v1, s2
	s_abs_i32 s34, s31
	s_sub_i32 s6, 0, s2
	v_cvt_f32_u32_e32 v2, s34
	s_delay_alu instid0(VALU_DEP_2) | instskip(NEXT) | instid1(VALU_DEP_1)
	v_rcp_iflag_f32_e32 v1, v1
	v_rcp_iflag_f32_e32 v2, v2
	s_waitcnt_depctr 0xfff
	v_dual_mul_f32 v1, 0x4f7ffffe, v1 :: v_dual_mul_f32 v2, 0x4f7ffffe, v2
	s_delay_alu instid0(VALU_DEP_1) | instskip(NEXT) | instid1(VALU_DEP_1)
	v_cvt_u32_f32_e32 v1, v1
	v_readfirstlane_b32 s3, v1
	s_delay_alu instid0(VALU_DEP_3) | instskip(NEXT) | instid1(VALU_DEP_2)
	v_cvt_u32_f32_e32 v1, v2
	s_mul_i32 s6, s6, s3
	s_delay_alu instid0(VALU_DEP_1) | instskip(SKIP_1) | instid1(SALU_CYCLE_1)
	v_readfirstlane_b32 s17, v1
	s_mul_hi_u32 s6, s3, s6
	s_add_i32 s3, s3, s6
	s_delay_alu instid0(SALU_CYCLE_1)
	s_mul_hi_u32 s3, s14, s3
	s_and_saveexec_b32 s6, vcc_lo
	s_cbranch_execz .LBB52_2
; %bb.1:
	v_mov_b32_e32 v1, -1
	ds_store_b32 v87, v1
.LBB52_2:
	s_or_b32 exec_lo, exec_lo, s6
	s_mul_i32 s6, s3, s2
	s_add_i32 s7, s3, 1
	s_sub_i32 s6, s14, s6
	v_cmp_gt_i32_e64 s16, s22, v80
	s_sub_i32 s8, s6, s2
	s_cmp_ge_u32 s6, s2
	v_mov_b32_e32 v3, 0
	s_cselect_b32 s3, s7, s3
	s_cselect_b32 s6, s8, s6
	s_add_i32 s7, s3, 1
	s_cmp_ge_u32 s6, s2
	s_cselect_b32 s3, s7, s3
	s_delay_alu instid0(SALU_CYCLE_1)
	s_mul_i32 s33, s3, 11
	s_mul_i32 s3, s3, s2
	v_add_nc_u32_e32 v1, s33, v86
	s_mul_hi_i32 s7, s33, s27
	s_mul_i32 s6, s33, s27
	s_sub_i32 s35, s14, s3
	s_lshl_b64 s[6:7], s[6:7], 2
	v_cmp_gt_i32_e64 s2, s21, v1
	s_waitcnt lgkmcnt(0)
	s_add_u32 s40, s4, s6
	s_addc_u32 s41, s5, s7
	s_delay_alu instid0(VALU_DEP_1)
	s_and_saveexec_b32 s5, s2
	s_cbranch_execz .LBB52_10
; %bb.3:
	v_mov_b32_e32 v3, 0
	s_and_saveexec_b32 s6, s16
	s_cbranch_execz .LBB52_9
; %bb.4:
	v_mul_lo_u32 v1, v86, s27
	v_dual_mov_b32 v3, 0 :: v_dual_mov_b32 v6, v80
	s_lshl_b32 s8, s26, 5
	s_mov_b32 s7, 0
	s_delay_alu instid0(VALU_DEP_2) | instskip(NEXT) | instid1(VALU_DEP_1)
	v_ashrrev_i32_e32 v2, 31, v1
	v_lshlrev_b64 v[4:5], 2, v[1:2]
	v_mul_lo_u32 v1, v80, s26
	s_delay_alu instid0(VALU_DEP_2) | instskip(NEXT) | instid1(VALU_DEP_1)
	v_add_co_u32 v4, s3, s40, v4
	v_add_co_ci_u32_e64 v5, s3, s41, v5, s3
	s_set_inst_prefetch_distance 0x1
	s_branch .LBB52_6
	.p2align	6
.LBB52_5:                               ;   in Loop: Header=BB52_6 Depth=1
	s_or_b32 exec_lo, exec_lo, s9
	v_add_nc_u32_e32 v6, 32, v6
	s_xor_b32 s3, s3, -1
	v_add_nc_u32_e32 v1, s8, v1
	s_delay_alu instid0(VALU_DEP_2) | instskip(NEXT) | instid1(VALU_DEP_1)
	v_cmp_le_i32_e64 s4, s22, v6
	s_or_b32 s3, s3, s4
	s_delay_alu instid0(SALU_CYCLE_1) | instskip(NEXT) | instid1(SALU_CYCLE_1)
	s_and_b32 s3, exec_lo, s3
	s_or_b32 s7, s3, s7
	s_delay_alu instid0(SALU_CYCLE_1)
	s_and_not1_b32 exec_lo, exec_lo, s7
	s_cbranch_execz .LBB52_8
.LBB52_6:                               ; =>This Inner Loop Header: Depth=1
	s_delay_alu instid0(VALU_DEP_3) | instskip(SKIP_1) | instid1(VALU_DEP_1)
	v_ashrrev_i32_e32 v2, 31, v1
	s_mov_b32 s9, exec_lo
	v_lshlrev_b64 v[7:8], 2, v[1:2]
	s_delay_alu instid0(VALU_DEP_1) | instskip(NEXT) | instid1(VALU_DEP_1)
	v_add_co_u32 v7, s3, v4, v7
	v_add_co_ci_u32_e64 v8, s3, v5, v8, s3
	global_load_b32 v2, v[7:8], off
	s_waitcnt vmcnt(0)
	v_cmp_ne_u32_e64 s3, s35, v2
	v_cmpx_eq_u32_e64 s35, v2
	s_cbranch_execz .LBB52_5
; %bb.7:                                ;   in Loop: Header=BB52_6 Depth=1
	v_mov_b32_e32 v3, 1
	ds_store_b32 v87, v6
	s_branch .LBB52_5
.LBB52_8:
	s_set_inst_prefetch_distance 0x2
	s_or_b32 exec_lo, exec_lo, s7
.LBB52_9:
	s_delay_alu instid0(SALU_CYCLE_1)
	s_or_b32 exec_lo, exec_lo, s6
.LBB52_10:
	s_delay_alu instid0(SALU_CYCLE_1)
	s_or_b32 exec_lo, exec_lo, s5
	s_and_saveexec_b32 s3, vcc_lo
	s_cbranch_execz .LBB52_12
; %bb.11:
	v_mov_b32_e32 v1, -1
	ds_store_b32 v87, v1 offset:4
.LBB52_12:
	s_or_b32 exec_lo, exec_lo, s3
	v_add_nc_u32_e32 v88, 1, v86
	s_delay_alu instid0(VALU_DEP_1) | instskip(NEXT) | instid1(VALU_DEP_1)
	v_add_nc_u32_e32 v1, s33, v88
	v_cmp_gt_i32_e64 s3, s21, v1
	s_delay_alu instid0(VALU_DEP_1)
	s_and_saveexec_b32 s6, s3
	s_cbranch_execz .LBB52_20
; %bb.13:
	s_and_saveexec_b32 s7, s16
	s_cbranch_execz .LBB52_19
; %bb.14:
	v_mul_lo_u32 v1, v88, s27
	v_mov_b32_e32 v6, v80
	s_lshl_b32 s9, s26, 5
	s_mov_b32 s8, 0
	s_delay_alu instid0(VALU_DEP_2) | instskip(NEXT) | instid1(VALU_DEP_1)
	v_ashrrev_i32_e32 v2, 31, v1
	v_lshlrev_b64 v[4:5], 2, v[1:2]
	v_mul_lo_u32 v1, v80, s26
	s_delay_alu instid0(VALU_DEP_2) | instskip(NEXT) | instid1(VALU_DEP_1)
	v_add_co_u32 v4, s4, s40, v4
	v_add_co_ci_u32_e64 v5, s4, s41, v5, s4
	s_set_inst_prefetch_distance 0x1
	s_branch .LBB52_16
	.p2align	6
.LBB52_15:                              ;   in Loop: Header=BB52_16 Depth=1
	s_or_b32 exec_lo, exec_lo, s10
	v_add_nc_u32_e32 v6, 32, v6
	s_xor_b32 s4, s4, -1
	v_add_nc_u32_e32 v1, s9, v1
	s_delay_alu instid0(VALU_DEP_2) | instskip(NEXT) | instid1(VALU_DEP_1)
	v_cmp_le_i32_e64 s5, s22, v6
	s_or_b32 s4, s4, s5
	s_delay_alu instid0(SALU_CYCLE_1) | instskip(NEXT) | instid1(SALU_CYCLE_1)
	s_and_b32 s4, exec_lo, s4
	s_or_b32 s8, s4, s8
	s_delay_alu instid0(SALU_CYCLE_1)
	s_and_not1_b32 exec_lo, exec_lo, s8
	s_cbranch_execz .LBB52_18
.LBB52_16:                              ; =>This Inner Loop Header: Depth=1
	s_delay_alu instid0(VALU_DEP_3) | instskip(SKIP_1) | instid1(VALU_DEP_1)
	v_ashrrev_i32_e32 v2, 31, v1
	s_mov_b32 s10, exec_lo
	v_lshlrev_b64 v[7:8], 2, v[1:2]
	s_delay_alu instid0(VALU_DEP_1) | instskip(NEXT) | instid1(VALU_DEP_1)
	v_add_co_u32 v7, s4, v4, v7
	v_add_co_ci_u32_e64 v8, s4, v5, v8, s4
	global_load_b32 v2, v[7:8], off
	s_waitcnt vmcnt(0)
	v_cmp_ne_u32_e64 s4, s35, v2
	v_cmpx_eq_u32_e64 s35, v2
	s_cbranch_execz .LBB52_15
; %bb.17:                               ;   in Loop: Header=BB52_16 Depth=1
	v_mov_b32_e32 v3, 1
	ds_store_b32 v87, v6 offset:4
	s_branch .LBB52_15
.LBB52_18:
	s_set_inst_prefetch_distance 0x2
	s_or_b32 exec_lo, exec_lo, s8
.LBB52_19:
	s_delay_alu instid0(SALU_CYCLE_1)
	s_or_b32 exec_lo, exec_lo, s7
.LBB52_20:
	s_delay_alu instid0(SALU_CYCLE_1)
	s_or_b32 exec_lo, exec_lo, s6
	s_and_saveexec_b32 s4, vcc_lo
	s_cbranch_execz .LBB52_22
; %bb.21:
	v_mov_b32_e32 v1, -1
	ds_store_b32 v87, v1 offset:8
.LBB52_22:
	s_or_b32 exec_lo, exec_lo, s4
	v_add_nc_u32_e32 v89, 2, v86
	s_delay_alu instid0(VALU_DEP_1) | instskip(NEXT) | instid1(VALU_DEP_1)
	v_add_nc_u32_e32 v1, s33, v89
	v_cmp_gt_i32_e64 s4, s21, v1
	s_delay_alu instid0(VALU_DEP_1)
	s_and_saveexec_b32 s7, s4
	s_cbranch_execz .LBB52_30
; %bb.23:
	s_and_saveexec_b32 s8, s16
	s_cbranch_execz .LBB52_29
; %bb.24:
	v_mul_lo_u32 v1, v89, s27
	v_mov_b32_e32 v6, v80
	s_lshl_b32 s10, s26, 5
	s_mov_b32 s9, 0
	s_delay_alu instid0(VALU_DEP_2) | instskip(NEXT) | instid1(VALU_DEP_1)
	v_ashrrev_i32_e32 v2, 31, v1
	v_lshlrev_b64 v[4:5], 2, v[1:2]
	v_mul_lo_u32 v1, v80, s26
	s_delay_alu instid0(VALU_DEP_2) | instskip(NEXT) | instid1(VALU_DEP_1)
	v_add_co_u32 v4, s5, s40, v4
	v_add_co_ci_u32_e64 v5, s5, s41, v5, s5
	s_set_inst_prefetch_distance 0x1
	s_branch .LBB52_26
	.p2align	6
.LBB52_25:                              ;   in Loop: Header=BB52_26 Depth=1
	s_or_b32 exec_lo, exec_lo, s11
	v_add_nc_u32_e32 v6, 32, v6
	s_xor_b32 s5, s5, -1
	v_add_nc_u32_e32 v1, s10, v1
	s_delay_alu instid0(VALU_DEP_2) | instskip(NEXT) | instid1(VALU_DEP_1)
	v_cmp_le_i32_e64 s6, s22, v6
	s_or_b32 s5, s5, s6
	s_delay_alu instid0(SALU_CYCLE_1) | instskip(NEXT) | instid1(SALU_CYCLE_1)
	s_and_b32 s5, exec_lo, s5
	s_or_b32 s9, s5, s9
	s_delay_alu instid0(SALU_CYCLE_1)
	s_and_not1_b32 exec_lo, exec_lo, s9
	s_cbranch_execz .LBB52_28
.LBB52_26:                              ; =>This Inner Loop Header: Depth=1
	s_delay_alu instid0(VALU_DEP_3) | instskip(SKIP_1) | instid1(VALU_DEP_1)
	v_ashrrev_i32_e32 v2, 31, v1
	s_mov_b32 s11, exec_lo
	v_lshlrev_b64 v[7:8], 2, v[1:2]
	s_delay_alu instid0(VALU_DEP_1) | instskip(NEXT) | instid1(VALU_DEP_1)
	v_add_co_u32 v7, s5, v4, v7
	v_add_co_ci_u32_e64 v8, s5, v5, v8, s5
	global_load_b32 v2, v[7:8], off
	s_waitcnt vmcnt(0)
	v_cmp_ne_u32_e64 s5, s35, v2
	v_cmpx_eq_u32_e64 s35, v2
	s_cbranch_execz .LBB52_25
; %bb.27:                               ;   in Loop: Header=BB52_26 Depth=1
	v_mov_b32_e32 v3, 1
	ds_store_b32 v87, v6 offset:8
	s_branch .LBB52_25
.LBB52_28:
	s_set_inst_prefetch_distance 0x2
	s_or_b32 exec_lo, exec_lo, s9
.LBB52_29:
	s_delay_alu instid0(SALU_CYCLE_1)
	s_or_b32 exec_lo, exec_lo, s8
.LBB52_30:
	s_delay_alu instid0(SALU_CYCLE_1)
	s_or_b32 exec_lo, exec_lo, s7
	s_and_saveexec_b32 s5, vcc_lo
	s_cbranch_execz .LBB52_32
; %bb.31:
	v_mov_b32_e32 v1, -1
	ds_store_b32 v87, v1 offset:12
.LBB52_32:
	s_or_b32 exec_lo, exec_lo, s5
	v_add_nc_u32_e32 v90, 3, v86
	s_delay_alu instid0(VALU_DEP_1) | instskip(NEXT) | instid1(VALU_DEP_1)
	v_add_nc_u32_e32 v1, s33, v90
	v_cmp_gt_i32_e64 s5, s21, v1
	s_delay_alu instid0(VALU_DEP_1)
	s_and_saveexec_b32 s8, s5
	s_cbranch_execz .LBB52_40
; %bb.33:
	s_and_saveexec_b32 s9, s16
	s_cbranch_execz .LBB52_39
; %bb.34:
	v_mul_lo_u32 v1, v90, s27
	v_mov_b32_e32 v6, v80
	s_lshl_b32 s11, s26, 5
	s_mov_b32 s10, 0
	s_delay_alu instid0(VALU_DEP_2) | instskip(NEXT) | instid1(VALU_DEP_1)
	v_ashrrev_i32_e32 v2, 31, v1
	v_lshlrev_b64 v[4:5], 2, v[1:2]
	v_mul_lo_u32 v1, v80, s26
	s_delay_alu instid0(VALU_DEP_2) | instskip(NEXT) | instid1(VALU_DEP_1)
	v_add_co_u32 v4, s6, s40, v4
	v_add_co_ci_u32_e64 v5, s6, s41, v5, s6
	s_set_inst_prefetch_distance 0x1
	s_branch .LBB52_36
	.p2align	6
.LBB52_35:                              ;   in Loop: Header=BB52_36 Depth=1
	s_or_b32 exec_lo, exec_lo, s12
	v_add_nc_u32_e32 v6, 32, v6
	s_xor_b32 s6, s6, -1
	v_add_nc_u32_e32 v1, s11, v1
	s_delay_alu instid0(VALU_DEP_2) | instskip(NEXT) | instid1(VALU_DEP_1)
	v_cmp_le_i32_e64 s7, s22, v6
	s_or_b32 s6, s6, s7
	s_delay_alu instid0(SALU_CYCLE_1) | instskip(NEXT) | instid1(SALU_CYCLE_1)
	s_and_b32 s6, exec_lo, s6
	s_or_b32 s10, s6, s10
	s_delay_alu instid0(SALU_CYCLE_1)
	s_and_not1_b32 exec_lo, exec_lo, s10
	s_cbranch_execz .LBB52_38
.LBB52_36:                              ; =>This Inner Loop Header: Depth=1
	s_delay_alu instid0(VALU_DEP_3) | instskip(SKIP_1) | instid1(VALU_DEP_1)
	v_ashrrev_i32_e32 v2, 31, v1
	s_mov_b32 s12, exec_lo
	v_lshlrev_b64 v[7:8], 2, v[1:2]
	s_delay_alu instid0(VALU_DEP_1) | instskip(NEXT) | instid1(VALU_DEP_1)
	v_add_co_u32 v7, s6, v4, v7
	v_add_co_ci_u32_e64 v8, s6, v5, v8, s6
	global_load_b32 v2, v[7:8], off
	s_waitcnt vmcnt(0)
	v_cmp_ne_u32_e64 s6, s35, v2
	v_cmpx_eq_u32_e64 s35, v2
	s_cbranch_execz .LBB52_35
; %bb.37:                               ;   in Loop: Header=BB52_36 Depth=1
	v_mov_b32_e32 v3, 1
	ds_store_b32 v87, v6 offset:12
	s_branch .LBB52_35
.LBB52_38:
	s_set_inst_prefetch_distance 0x2
	s_or_b32 exec_lo, exec_lo, s10
.LBB52_39:
	s_delay_alu instid0(SALU_CYCLE_1)
	s_or_b32 exec_lo, exec_lo, s9
.LBB52_40:
	s_delay_alu instid0(SALU_CYCLE_1)
	s_or_b32 exec_lo, exec_lo, s8
	s_and_saveexec_b32 s6, vcc_lo
	s_cbranch_execz .LBB52_42
; %bb.41:
	v_mov_b32_e32 v1, -1
	ds_store_b32 v87, v1 offset:16
.LBB52_42:
	s_or_b32 exec_lo, exec_lo, s6
	v_add_nc_u32_e32 v91, 4, v86
	s_delay_alu instid0(VALU_DEP_1) | instskip(NEXT) | instid1(VALU_DEP_1)
	v_add_nc_u32_e32 v1, s33, v91
	v_cmp_gt_i32_e64 s6, s21, v1
	s_delay_alu instid0(VALU_DEP_1)
	s_and_saveexec_b32 s9, s6
	s_cbranch_execz .LBB52_50
; %bb.43:
	s_and_saveexec_b32 s10, s16
	s_cbranch_execz .LBB52_49
; %bb.44:
	v_mul_lo_u32 v1, v91, s27
	v_mov_b32_e32 v6, v80
	s_lshl_b32 s12, s26, 5
	s_mov_b32 s11, 0
	s_delay_alu instid0(VALU_DEP_2) | instskip(NEXT) | instid1(VALU_DEP_1)
	v_ashrrev_i32_e32 v2, 31, v1
	v_lshlrev_b64 v[4:5], 2, v[1:2]
	v_mul_lo_u32 v1, v80, s26
	s_delay_alu instid0(VALU_DEP_2) | instskip(NEXT) | instid1(VALU_DEP_1)
	v_add_co_u32 v4, s7, s40, v4
	v_add_co_ci_u32_e64 v5, s7, s41, v5, s7
	s_set_inst_prefetch_distance 0x1
	s_branch .LBB52_46
	.p2align	6
.LBB52_45:                              ;   in Loop: Header=BB52_46 Depth=1
	s_or_b32 exec_lo, exec_lo, s14
	v_add_nc_u32_e32 v6, 32, v6
	s_xor_b32 s7, s7, -1
	v_add_nc_u32_e32 v1, s12, v1
	s_delay_alu instid0(VALU_DEP_2) | instskip(NEXT) | instid1(VALU_DEP_1)
	v_cmp_le_i32_e64 s8, s22, v6
	s_or_b32 s7, s7, s8
	s_delay_alu instid0(SALU_CYCLE_1) | instskip(NEXT) | instid1(SALU_CYCLE_1)
	s_and_b32 s7, exec_lo, s7
	s_or_b32 s11, s7, s11
	s_delay_alu instid0(SALU_CYCLE_1)
	s_and_not1_b32 exec_lo, exec_lo, s11
	s_cbranch_execz .LBB52_48
.LBB52_46:                              ; =>This Inner Loop Header: Depth=1
	s_delay_alu instid0(VALU_DEP_3) | instskip(SKIP_1) | instid1(VALU_DEP_1)
	v_ashrrev_i32_e32 v2, 31, v1
	s_mov_b32 s14, exec_lo
	v_lshlrev_b64 v[7:8], 2, v[1:2]
	s_delay_alu instid0(VALU_DEP_1) | instskip(NEXT) | instid1(VALU_DEP_1)
	v_add_co_u32 v7, s7, v4, v7
	v_add_co_ci_u32_e64 v8, s7, v5, v8, s7
	global_load_b32 v2, v[7:8], off
	s_waitcnt vmcnt(0)
	v_cmp_ne_u32_e64 s7, s35, v2
	v_cmpx_eq_u32_e64 s35, v2
	s_cbranch_execz .LBB52_45
; %bb.47:                               ;   in Loop: Header=BB52_46 Depth=1
	v_mov_b32_e32 v3, 1
	ds_store_b32 v87, v6 offset:16
	s_branch .LBB52_45
.LBB52_48:
	s_set_inst_prefetch_distance 0x2
	s_or_b32 exec_lo, exec_lo, s11
.LBB52_49:
	s_delay_alu instid0(SALU_CYCLE_1)
	s_or_b32 exec_lo, exec_lo, s10
.LBB52_50:
	s_delay_alu instid0(SALU_CYCLE_1)
	s_or_b32 exec_lo, exec_lo, s9
	s_and_saveexec_b32 s7, vcc_lo
	s_cbranch_execz .LBB52_52
; %bb.51:
	v_mov_b32_e32 v1, -1
	ds_store_b32 v87, v1 offset:20
.LBB52_52:
	s_or_b32 exec_lo, exec_lo, s7
	v_add_nc_u32_e32 v92, 5, v86
	s_delay_alu instid0(VALU_DEP_1) | instskip(NEXT) | instid1(VALU_DEP_1)
	v_add_nc_u32_e32 v1, s33, v92
	v_cmp_gt_i32_e64 s7, s21, v1
	s_delay_alu instid0(VALU_DEP_1)
	s_and_saveexec_b32 s10, s7
	s_cbranch_execz .LBB52_60
; %bb.53:
	s_and_saveexec_b32 s11, s16
	s_cbranch_execz .LBB52_59
; %bb.54:
	v_mul_lo_u32 v1, v92, s27
	v_mov_b32_e32 v6, v80
	s_lshl_b32 s14, s26, 5
	s_mov_b32 s12, 0
	s_delay_alu instid0(VALU_DEP_2) | instskip(NEXT) | instid1(VALU_DEP_1)
	v_ashrrev_i32_e32 v2, 31, v1
	v_lshlrev_b64 v[4:5], 2, v[1:2]
	v_mul_lo_u32 v1, v80, s26
	s_delay_alu instid0(VALU_DEP_2) | instskip(NEXT) | instid1(VALU_DEP_1)
	v_add_co_u32 v4, s8, s40, v4
	v_add_co_ci_u32_e64 v5, s8, s41, v5, s8
	s_set_inst_prefetch_distance 0x1
	s_branch .LBB52_56
	.p2align	6
.LBB52_55:                              ;   in Loop: Header=BB52_56 Depth=1
	s_or_b32 exec_lo, exec_lo, s36
	v_add_nc_u32_e32 v6, 32, v6
	s_xor_b32 s8, s8, -1
	v_add_nc_u32_e32 v1, s14, v1
	s_delay_alu instid0(VALU_DEP_2) | instskip(NEXT) | instid1(VALU_DEP_1)
	v_cmp_le_i32_e64 s9, s22, v6
	s_or_b32 s8, s8, s9
	s_delay_alu instid0(SALU_CYCLE_1) | instskip(NEXT) | instid1(SALU_CYCLE_1)
	s_and_b32 s8, exec_lo, s8
	s_or_b32 s12, s8, s12
	s_delay_alu instid0(SALU_CYCLE_1)
	s_and_not1_b32 exec_lo, exec_lo, s12
	s_cbranch_execz .LBB52_58
.LBB52_56:                              ; =>This Inner Loop Header: Depth=1
	s_delay_alu instid0(VALU_DEP_3) | instskip(SKIP_1) | instid1(VALU_DEP_1)
	v_ashrrev_i32_e32 v2, 31, v1
	s_mov_b32 s36, exec_lo
	v_lshlrev_b64 v[7:8], 2, v[1:2]
	s_delay_alu instid0(VALU_DEP_1) | instskip(NEXT) | instid1(VALU_DEP_1)
	v_add_co_u32 v7, s8, v4, v7
	v_add_co_ci_u32_e64 v8, s8, v5, v8, s8
	global_load_b32 v2, v[7:8], off
	s_waitcnt vmcnt(0)
	v_cmp_ne_u32_e64 s8, s35, v2
	v_cmpx_eq_u32_e64 s35, v2
	s_cbranch_execz .LBB52_55
; %bb.57:                               ;   in Loop: Header=BB52_56 Depth=1
	v_mov_b32_e32 v3, 1
	ds_store_b32 v87, v6 offset:20
	s_branch .LBB52_55
.LBB52_58:
	s_set_inst_prefetch_distance 0x2
	s_or_b32 exec_lo, exec_lo, s12
.LBB52_59:
	s_delay_alu instid0(SALU_CYCLE_1)
	s_or_b32 exec_lo, exec_lo, s11
.LBB52_60:
	s_delay_alu instid0(SALU_CYCLE_1)
	s_or_b32 exec_lo, exec_lo, s10
	s_and_saveexec_b32 s8, vcc_lo
	s_cbranch_execz .LBB52_62
; %bb.61:
	v_mov_b32_e32 v1, -1
	ds_store_b32 v87, v1 offset:24
.LBB52_62:
	s_or_b32 exec_lo, exec_lo, s8
	v_add_nc_u32_e32 v93, 6, v86
	s_delay_alu instid0(VALU_DEP_1) | instskip(NEXT) | instid1(VALU_DEP_1)
	v_add_nc_u32_e32 v1, s33, v93
	v_cmp_gt_i32_e64 s8, s21, v1
	s_delay_alu instid0(VALU_DEP_1)
	s_and_saveexec_b32 s11, s8
	s_cbranch_execz .LBB52_70
; %bb.63:
	s_and_saveexec_b32 s12, s16
	s_cbranch_execz .LBB52_69
; %bb.64:
	v_mul_lo_u32 v1, v93, s27
	v_mov_b32_e32 v6, v80
	s_lshl_b32 s36, s26, 5
	s_mov_b32 s14, 0
	s_delay_alu instid0(VALU_DEP_2) | instskip(NEXT) | instid1(VALU_DEP_1)
	v_ashrrev_i32_e32 v2, 31, v1
	v_lshlrev_b64 v[4:5], 2, v[1:2]
	v_mul_lo_u32 v1, v80, s26
	s_delay_alu instid0(VALU_DEP_2) | instskip(NEXT) | instid1(VALU_DEP_1)
	v_add_co_u32 v4, s9, s40, v4
	v_add_co_ci_u32_e64 v5, s9, s41, v5, s9
	s_set_inst_prefetch_distance 0x1
	s_branch .LBB52_66
	.p2align	6
.LBB52_65:                              ;   in Loop: Header=BB52_66 Depth=1
	s_or_b32 exec_lo, exec_lo, s37
	v_add_nc_u32_e32 v6, 32, v6
	s_xor_b32 s9, s9, -1
	v_add_nc_u32_e32 v1, s36, v1
	s_delay_alu instid0(VALU_DEP_2) | instskip(NEXT) | instid1(VALU_DEP_1)
	v_cmp_le_i32_e64 s10, s22, v6
	s_or_b32 s9, s9, s10
	s_delay_alu instid0(SALU_CYCLE_1) | instskip(NEXT) | instid1(SALU_CYCLE_1)
	s_and_b32 s9, exec_lo, s9
	s_or_b32 s14, s9, s14
	s_delay_alu instid0(SALU_CYCLE_1)
	s_and_not1_b32 exec_lo, exec_lo, s14
	s_cbranch_execz .LBB52_68
.LBB52_66:                              ; =>This Inner Loop Header: Depth=1
	s_delay_alu instid0(VALU_DEP_3) | instskip(SKIP_1) | instid1(VALU_DEP_1)
	v_ashrrev_i32_e32 v2, 31, v1
	s_mov_b32 s37, exec_lo
	v_lshlrev_b64 v[7:8], 2, v[1:2]
	s_delay_alu instid0(VALU_DEP_1) | instskip(NEXT) | instid1(VALU_DEP_1)
	v_add_co_u32 v7, s9, v4, v7
	v_add_co_ci_u32_e64 v8, s9, v5, v8, s9
	global_load_b32 v2, v[7:8], off
	s_waitcnt vmcnt(0)
	v_cmp_ne_u32_e64 s9, s35, v2
	v_cmpx_eq_u32_e64 s35, v2
	s_cbranch_execz .LBB52_65
; %bb.67:                               ;   in Loop: Header=BB52_66 Depth=1
	v_mov_b32_e32 v3, 1
	ds_store_b32 v87, v6 offset:24
	s_branch .LBB52_65
.LBB52_68:
	s_set_inst_prefetch_distance 0x2
	s_or_b32 exec_lo, exec_lo, s14
.LBB52_69:
	s_delay_alu instid0(SALU_CYCLE_1)
	s_or_b32 exec_lo, exec_lo, s12
.LBB52_70:
	s_delay_alu instid0(SALU_CYCLE_1)
	s_or_b32 exec_lo, exec_lo, s11
	s_and_saveexec_b32 s9, vcc_lo
	s_cbranch_execz .LBB52_72
; %bb.71:
	v_mov_b32_e32 v1, -1
	ds_store_b32 v87, v1 offset:28
.LBB52_72:
	s_or_b32 exec_lo, exec_lo, s9
	v_add_nc_u32_e32 v94, 7, v86
	s_delay_alu instid0(VALU_DEP_1) | instskip(NEXT) | instid1(VALU_DEP_1)
	v_add_nc_u32_e32 v1, s33, v94
	v_cmp_gt_i32_e64 s9, s21, v1
	s_delay_alu instid0(VALU_DEP_1)
	s_and_saveexec_b32 s12, s9
	s_cbranch_execz .LBB52_80
; %bb.73:
	s_and_saveexec_b32 s14, s16
	s_cbranch_execz .LBB52_79
; %bb.74:
	v_mul_lo_u32 v1, v94, s27
	v_mov_b32_e32 v6, v80
	s_lshl_b32 s37, s26, 5
	s_mov_b32 s36, 0
	s_delay_alu instid0(VALU_DEP_2) | instskip(NEXT) | instid1(VALU_DEP_1)
	v_ashrrev_i32_e32 v2, 31, v1
	v_lshlrev_b64 v[4:5], 2, v[1:2]
	v_mul_lo_u32 v1, v80, s26
	s_delay_alu instid0(VALU_DEP_2) | instskip(NEXT) | instid1(VALU_DEP_1)
	v_add_co_u32 v4, s10, s40, v4
	v_add_co_ci_u32_e64 v5, s10, s41, v5, s10
	s_set_inst_prefetch_distance 0x1
	s_branch .LBB52_76
	.p2align	6
.LBB52_75:                              ;   in Loop: Header=BB52_76 Depth=1
	s_or_b32 exec_lo, exec_lo, s38
	v_add_nc_u32_e32 v6, 32, v6
	s_xor_b32 s10, s10, -1
	v_add_nc_u32_e32 v1, s37, v1
	s_delay_alu instid0(VALU_DEP_2) | instskip(NEXT) | instid1(VALU_DEP_1)
	v_cmp_le_i32_e64 s11, s22, v6
	s_or_b32 s10, s10, s11
	s_delay_alu instid0(SALU_CYCLE_1) | instskip(NEXT) | instid1(SALU_CYCLE_1)
	s_and_b32 s10, exec_lo, s10
	s_or_b32 s36, s10, s36
	s_delay_alu instid0(SALU_CYCLE_1)
	s_and_not1_b32 exec_lo, exec_lo, s36
	s_cbranch_execz .LBB52_78
.LBB52_76:                              ; =>This Inner Loop Header: Depth=1
	s_delay_alu instid0(VALU_DEP_3) | instskip(SKIP_1) | instid1(VALU_DEP_1)
	v_ashrrev_i32_e32 v2, 31, v1
	s_mov_b32 s38, exec_lo
	v_lshlrev_b64 v[7:8], 2, v[1:2]
	s_delay_alu instid0(VALU_DEP_1) | instskip(NEXT) | instid1(VALU_DEP_1)
	v_add_co_u32 v7, s10, v4, v7
	v_add_co_ci_u32_e64 v8, s10, v5, v8, s10
	global_load_b32 v2, v[7:8], off
	s_waitcnt vmcnt(0)
	v_cmp_ne_u32_e64 s10, s35, v2
	v_cmpx_eq_u32_e64 s35, v2
	s_cbranch_execz .LBB52_75
; %bb.77:                               ;   in Loop: Header=BB52_76 Depth=1
	v_mov_b32_e32 v3, 1
	ds_store_b32 v87, v6 offset:28
	s_branch .LBB52_75
.LBB52_78:
	s_set_inst_prefetch_distance 0x2
	s_or_b32 exec_lo, exec_lo, s36
.LBB52_79:
	s_delay_alu instid0(SALU_CYCLE_1)
	s_or_b32 exec_lo, exec_lo, s14
.LBB52_80:
	s_delay_alu instid0(SALU_CYCLE_1)
	s_or_b32 exec_lo, exec_lo, s12
	s_and_saveexec_b32 s10, vcc_lo
	s_cbranch_execz .LBB52_82
; %bb.81:
	v_mov_b32_e32 v1, -1
	ds_store_b32 v87, v1 offset:32
.LBB52_82:
	s_or_b32 exec_lo, exec_lo, s10
	v_add_nc_u32_e32 v95, 8, v86
	s_delay_alu instid0(VALU_DEP_1) | instskip(NEXT) | instid1(VALU_DEP_1)
	v_add_nc_u32_e32 v1, s33, v95
	v_cmp_gt_i32_e64 s10, s21, v1
	s_delay_alu instid0(VALU_DEP_1)
	s_and_saveexec_b32 s14, s10
	s_cbranch_execz .LBB52_90
; %bb.83:
	s_and_saveexec_b32 s36, s16
	s_cbranch_execz .LBB52_89
; %bb.84:
	v_mul_lo_u32 v1, v95, s27
	v_mov_b32_e32 v6, v80
	s_lshl_b32 s38, s26, 5
	s_mov_b32 s37, 0
	s_delay_alu instid0(VALU_DEP_2) | instskip(NEXT) | instid1(VALU_DEP_1)
	v_ashrrev_i32_e32 v2, 31, v1
	v_lshlrev_b64 v[4:5], 2, v[1:2]
	v_mul_lo_u32 v1, v80, s26
	s_delay_alu instid0(VALU_DEP_2) | instskip(NEXT) | instid1(VALU_DEP_1)
	v_add_co_u32 v4, s11, s40, v4
	v_add_co_ci_u32_e64 v5, s11, s41, v5, s11
	s_set_inst_prefetch_distance 0x1
	s_branch .LBB52_86
	.p2align	6
.LBB52_85:                              ;   in Loop: Header=BB52_86 Depth=1
	s_or_b32 exec_lo, exec_lo, s39
	v_add_nc_u32_e32 v6, 32, v6
	s_xor_b32 s11, s11, -1
	v_add_nc_u32_e32 v1, s38, v1
	s_delay_alu instid0(VALU_DEP_2) | instskip(NEXT) | instid1(VALU_DEP_1)
	v_cmp_le_i32_e64 s12, s22, v6
	s_or_b32 s11, s11, s12
	s_delay_alu instid0(SALU_CYCLE_1) | instskip(NEXT) | instid1(SALU_CYCLE_1)
	s_and_b32 s11, exec_lo, s11
	s_or_b32 s37, s11, s37
	s_delay_alu instid0(SALU_CYCLE_1)
	s_and_not1_b32 exec_lo, exec_lo, s37
	s_cbranch_execz .LBB52_88
.LBB52_86:                              ; =>This Inner Loop Header: Depth=1
	s_delay_alu instid0(VALU_DEP_3) | instskip(SKIP_1) | instid1(VALU_DEP_1)
	v_ashrrev_i32_e32 v2, 31, v1
	s_mov_b32 s39, exec_lo
	v_lshlrev_b64 v[7:8], 2, v[1:2]
	s_delay_alu instid0(VALU_DEP_1) | instskip(NEXT) | instid1(VALU_DEP_1)
	v_add_co_u32 v7, s11, v4, v7
	v_add_co_ci_u32_e64 v8, s11, v5, v8, s11
	global_load_b32 v2, v[7:8], off
	s_waitcnt vmcnt(0)
	v_cmp_ne_u32_e64 s11, s35, v2
	v_cmpx_eq_u32_e64 s35, v2
	s_cbranch_execz .LBB52_85
; %bb.87:                               ;   in Loop: Header=BB52_86 Depth=1
	v_mov_b32_e32 v3, 1
	ds_store_b32 v87, v6 offset:32
	s_branch .LBB52_85
.LBB52_88:
	s_set_inst_prefetch_distance 0x2
	s_or_b32 exec_lo, exec_lo, s37
.LBB52_89:
	s_delay_alu instid0(SALU_CYCLE_1)
	s_or_b32 exec_lo, exec_lo, s36
.LBB52_90:
	s_delay_alu instid0(SALU_CYCLE_1)
	s_or_b32 exec_lo, exec_lo, s14
	s_sub_i32 s36, 0, s34
	s_and_saveexec_b32 s11, vcc_lo
	s_cbranch_execz .LBB52_92
; %bb.91:
	v_mov_b32_e32 v1, -1
	ds_store_b32 v87, v1 offset:36
.LBB52_92:
	s_or_b32 exec_lo, exec_lo, s11
	v_add_nc_u32_e32 v96, 9, v86
	s_mul_i32 s36, s36, s17
	s_delay_alu instid0(VALU_DEP_1) | instskip(NEXT) | instid1(VALU_DEP_1)
	v_add_nc_u32_e32 v1, s33, v96
	v_cmp_gt_i32_e64 s11, s21, v1
	s_delay_alu instid0(VALU_DEP_1)
	s_and_saveexec_b32 s37, s11
	s_cbranch_execz .LBB52_100
; %bb.93:
	s_and_saveexec_b32 s38, s16
	s_cbranch_execz .LBB52_99
; %bb.94:
	v_mul_lo_u32 v1, v96, s27
	v_mov_b32_e32 v6, v80
	s_lshl_b32 s42, s26, 5
	s_mov_b32 s39, 0
	s_delay_alu instid0(VALU_DEP_2) | instskip(NEXT) | instid1(VALU_DEP_1)
	v_ashrrev_i32_e32 v2, 31, v1
	v_lshlrev_b64 v[4:5], 2, v[1:2]
	v_mul_lo_u32 v1, v80, s26
	s_delay_alu instid0(VALU_DEP_2) | instskip(NEXT) | instid1(VALU_DEP_1)
	v_add_co_u32 v4, s12, s40, v4
	v_add_co_ci_u32_e64 v5, s12, s41, v5, s12
	s_set_inst_prefetch_distance 0x1
	s_branch .LBB52_96
	.p2align	6
.LBB52_95:                              ;   in Loop: Header=BB52_96 Depth=1
	s_or_b32 exec_lo, exec_lo, s43
	v_add_nc_u32_e32 v6, 32, v6
	s_xor_b32 s12, s12, -1
	v_add_nc_u32_e32 v1, s42, v1
	s_delay_alu instid0(VALU_DEP_2) | instskip(NEXT) | instid1(VALU_DEP_1)
	v_cmp_le_i32_e64 s14, s22, v6
	s_or_b32 s12, s12, s14
	s_delay_alu instid0(SALU_CYCLE_1) | instskip(NEXT) | instid1(SALU_CYCLE_1)
	s_and_b32 s12, exec_lo, s12
	s_or_b32 s39, s12, s39
	s_delay_alu instid0(SALU_CYCLE_1)
	s_and_not1_b32 exec_lo, exec_lo, s39
	s_cbranch_execz .LBB52_98
.LBB52_96:                              ; =>This Inner Loop Header: Depth=1
	s_delay_alu instid0(VALU_DEP_3) | instskip(SKIP_1) | instid1(VALU_DEP_1)
	v_ashrrev_i32_e32 v2, 31, v1
	s_mov_b32 s43, exec_lo
	v_lshlrev_b64 v[7:8], 2, v[1:2]
	s_delay_alu instid0(VALU_DEP_1) | instskip(NEXT) | instid1(VALU_DEP_1)
	v_add_co_u32 v7, s12, v4, v7
	v_add_co_ci_u32_e64 v8, s12, v5, v8, s12
	global_load_b32 v2, v[7:8], off
	s_waitcnt vmcnt(0)
	v_cmp_ne_u32_e64 s12, s35, v2
	v_cmpx_eq_u32_e64 s35, v2
	s_cbranch_execz .LBB52_95
; %bb.97:                               ;   in Loop: Header=BB52_96 Depth=1
	v_mov_b32_e32 v3, 1
	ds_store_b32 v87, v6 offset:36
	s_branch .LBB52_95
.LBB52_98:
	s_set_inst_prefetch_distance 0x2
	s_or_b32 exec_lo, exec_lo, s39
.LBB52_99:
	s_delay_alu instid0(SALU_CYCLE_1)
	s_or_b32 exec_lo, exec_lo, s38
.LBB52_100:
	s_delay_alu instid0(SALU_CYCLE_1)
	s_or_b32 exec_lo, exec_lo, s37
	s_mul_hi_u32 s14, s17, s36
	s_and_saveexec_b32 s12, vcc_lo
	s_cbranch_execz .LBB52_102
; %bb.101:
	v_mov_b32_e32 v1, -1
	ds_store_b32 v87, v1 offset:40
.LBB52_102:
	s_or_b32 exec_lo, exec_lo, s12
	s_load_b128 s[36:39], s[0:1], 0x54
	v_add_nc_u32_e32 v97, 10, v86
	s_waitcnt lgkmcnt(0)
	s_abs_i32 s39, s15
	s_add_i32 s42, s17, s14
	s_delay_alu instid0(VALU_DEP_1) | instskip(NEXT) | instid1(VALU_DEP_1)
	v_add_nc_u32_e32 v1, s33, v97
	v_cmp_gt_i32_e64 s12, s21, v1
	s_delay_alu instid0(VALU_DEP_1)
	s_and_saveexec_b32 s17, s12
	s_cbranch_execz .LBB52_110
; %bb.103:
	s_and_saveexec_b32 s43, s16
	s_cbranch_execz .LBB52_109
; %bb.104:
	v_mul_lo_u32 v1, v97, s27
	v_mov_b32_e32 v6, v80
	s_mov_b32 s16, 0
	s_delay_alu instid0(VALU_DEP_2) | instskip(NEXT) | instid1(VALU_DEP_1)
	v_ashrrev_i32_e32 v2, 31, v1
	v_lshlrev_b64 v[4:5], 2, v[1:2]
	v_mul_lo_u32 v1, v80, s26
	s_lshl_b32 s26, s26, 5
	s_delay_alu instid0(VALU_DEP_2) | instskip(NEXT) | instid1(VALU_DEP_3)
	v_add_co_u32 v4, vcc_lo, s40, v4
	v_add_co_ci_u32_e32 v5, vcc_lo, s41, v5, vcc_lo
	s_set_inst_prefetch_distance 0x1
	s_branch .LBB52_106
	.p2align	6
.LBB52_105:                             ;   in Loop: Header=BB52_106 Depth=1
	s_or_b32 exec_lo, exec_lo, s27
	v_add_nc_u32_e32 v6, 32, v6
	s_xor_b32 s27, vcc_lo, -1
	v_add_nc_u32_e32 v1, s26, v1
	s_delay_alu instid0(VALU_DEP_2) | instskip(NEXT) | instid1(VALU_DEP_1)
	v_cmp_le_i32_e64 s14, s22, v6
	s_or_b32 s14, s27, s14
	s_delay_alu instid0(SALU_CYCLE_1) | instskip(NEXT) | instid1(SALU_CYCLE_1)
	s_and_b32 s14, exec_lo, s14
	s_or_b32 s16, s14, s16
	s_delay_alu instid0(SALU_CYCLE_1)
	s_and_not1_b32 exec_lo, exec_lo, s16
	s_cbranch_execz .LBB52_108
.LBB52_106:                             ; =>This Inner Loop Header: Depth=1
	s_delay_alu instid0(VALU_DEP_3) | instskip(SKIP_1) | instid1(VALU_DEP_1)
	v_ashrrev_i32_e32 v2, 31, v1
	s_mov_b32 s27, exec_lo
	v_lshlrev_b64 v[7:8], 2, v[1:2]
	s_delay_alu instid0(VALU_DEP_1) | instskip(NEXT) | instid1(VALU_DEP_2)
	v_add_co_u32 v7, vcc_lo, v4, v7
	v_add_co_ci_u32_e32 v8, vcc_lo, v5, v8, vcc_lo
	global_load_b32 v2, v[7:8], off
	s_waitcnt vmcnt(0)
	v_cmp_ne_u32_e32 vcc_lo, s35, v2
	v_cmpx_eq_u32_e64 s35, v2
	s_cbranch_execz .LBB52_105
; %bb.107:                              ;   in Loop: Header=BB52_106 Depth=1
	v_mov_b32_e32 v3, 1
	ds_store_b32 v87, v6 offset:40
	s_branch .LBB52_105
.LBB52_108:
	s_set_inst_prefetch_distance 0x2
	s_or_b32 exec_lo, exec_lo, s16
.LBB52_109:
	s_delay_alu instid0(SALU_CYCLE_1)
	s_or_b32 exec_lo, exec_lo, s43
.LBB52_110:
	s_delay_alu instid0(SALU_CYCLE_1)
	s_or_b32 exec_lo, exec_lo, s17
	v_cmp_ne_u32_e32 vcc_lo, 0, v3
	s_load_b64 s[40:41], s[18:19], 0xc
	s_clause 0x1
	s_load_b128 s[16:19], s[0:1], 0x0
	s_load_b64 s[26:27], s[0:1], 0x18
	v_cndmask_b32_e64 v1, 0, 1, vcc_lo
	s_delay_alu instid0(VALU_DEP_1) | instskip(NEXT) | instid1(VALU_DEP_1)
	v_or_b32_dpp v1, v1, v1 row_shl:1 row_mask:0xf bank_mask:0xf bound_ctrl:1
	v_or_b32_dpp v1, v1, v1 row_shl:2 row_mask:0xf bank_mask:0xf bound_ctrl:1
	s_delay_alu instid0(VALU_DEP_1)
	v_or_b32_dpp v1, v1, v1 row_shl:4 row_mask:0xf bank_mask:0xf bound_ctrl:1
	s_waitcnt lgkmcnt(0)
	s_lshr_b32 s14, s40, 16
	s_and_b32 s0, s40, 0xffff
	s_and_b32 s22, s41, 0xffff
	s_mul_i32 s1, s14, s0
	v_or_b32_dpp v1, v1, v1 row_shl:8 row_mask:0xf bank_mask:0xf bound_ctrl:1
	s_bfe_i32 s1, s1, 0x180000
	s_delay_alu instid0(SALU_CYCLE_1) | instskip(NEXT) | instid1(SALU_CYCLE_1)
	s_mul_i32 s1, s1, s22
	s_add_i32 s1, s1, 31
	s_delay_alu instid0(VALU_DEP_1) | instskip(SKIP_1) | instid1(SALU_CYCLE_1)
	v_mov_b32_dpp v1, v1 row_share:0 row_mask:0xf bank_mask:0xf bound_ctrl:1
	s_and_not1_b32 s1, s1, 31
	s_cmp_lg_u32 s1, 32
	s_mul_hi_u32 s1, s39, s42
	s_delay_alu instid0(VALU_DEP_1) | instskip(NEXT) | instid1(VALU_DEP_1)
	v_permlanex16_b32 v2, v1, 0, 0 op_sel:[0,1]
	v_or_b32_e32 v2, v2, v1
	s_cbranch_scc0 .LBB52_119
; %bb.111:
	v_bfe_u32 v0, v0, 20, 10
	s_delay_alu instid0(VALU_DEP_1) | instskip(NEXT) | instid1(VALU_DEP_1)
	v_mad_u32_u24 v3, v0, s14, v86
	v_mad_u64_u32 v[0:1], null, v3, s0, v[80:81]
	v_mbcnt_lo_u32_b32 v1, -1, 0
	s_mov_b32 s0, exec_lo
	s_delay_alu instid0(VALU_DEP_2) | instskip(NEXT) | instid1(VALU_DEP_1)
	v_lshrrev_b32_e32 v3, 5, v0
	v_or_b32_e32 v3, v1, v3
	s_delay_alu instid0(VALU_DEP_1)
	v_cmpx_eq_u32_e32 0, v3
	s_cbranch_execz .LBB52_113
; %bb.112:
	v_mov_b32_e32 v3, 0
	ds_store_b32 v3, v2
.LBB52_113:
	s_or_b32 exec_lo, exec_lo, s0
	v_cmp_eq_u32_e32 vcc_lo, 0, v1
	v_cmp_lt_u32_e64 s0, 31, v0
	s_mov_b32 s14, 0
	s_waitcnt vmcnt(0) lgkmcnt(0)
	s_waitcnt_vscnt null, 0x0
	; wave barrier
	s_waitcnt lgkmcnt(0)
	buffer_gl0_inv
	s_and_b32 s22, s0, vcc_lo
	s_delay_alu instid0(SALU_CYCLE_1)
	s_and_saveexec_b32 s0, s22
	s_cbranch_execz .LBB52_118
; %bb.114:
	s_mov_b32 s22, exec_lo
.LBB52_115:                             ; =>This Inner Loop Header: Depth=1
	s_delay_alu instid0(SALU_CYCLE_1) | instskip(NEXT) | instid1(SALU_CYCLE_1)
	s_ctz_i32_b32 s40, s22
	v_readlane_b32 s41, v2, s40
	s_lshl_b32 s40, 1, s40
	s_delay_alu instid0(SALU_CYCLE_1) | instskip(NEXT) | instid1(VALU_DEP_1)
	s_and_not1_b32 s22, s22, s40
	s_or_b32 s14, s14, s41
	s_cmp_lg_u32 s22, 0
	s_cbranch_scc1 .LBB52_115
; %bb.116:
	v_mbcnt_lo_u32_b32 v0, exec_lo, 0
	s_mov_b32 s22, exec_lo
	s_delay_alu instid0(VALU_DEP_1)
	v_cmpx_eq_u32_e32 0, v0
	s_xor_b32 s22, exec_lo, s22
	s_cbranch_execz .LBB52_118
; %bb.117:
	v_dual_mov_b32 v0, 0 :: v_dual_mov_b32 v1, s14
	ds_or_b32 v0, v1
.LBB52_118:
	s_or_b32 exec_lo, exec_lo, s0
	v_mov_b32_e32 v0, 0
	s_waitcnt vmcnt(0) lgkmcnt(0)
	s_waitcnt_vscnt null, 0x0
	; wave barrier
	s_waitcnt lgkmcnt(0)
	buffer_gl0_inv
	ds_load_b32 v2, v0
	s_waitcnt vmcnt(0) lgkmcnt(0)
	s_waitcnt_vscnt null, 0x0
	; wave barrier
	s_waitcnt lgkmcnt(0)
	buffer_gl0_inv
.LBB52_119:
	s_ashr_i32 s0, s15, 31
	s_ashr_i32 s22, s31, 31
	s_mov_b32 s14, exec_lo
	v_cmpx_ne_u32_e32 0, v2
	s_cbranch_execz .LBB52_291
; %bb.120:
	v_lshlrev_b32_e32 v98, 5, v86
	v_and_b32_e32 v16, 15, v80
	s_mov_b32 s14, exec_lo
                                        ; implicit-def: $sgpr31
                                        ; implicit-def: $vgpr100
	s_delay_alu instid0(VALU_DEP_2) | instskip(NEXT) | instid1(VALU_DEP_1)
	v_add_nc_u32_e32 v99, v98, v80
	v_cmpx_le_i32_e64 s20, v99
	s_xor_b32 s14, exec_lo, s14
; %bb.121:
	v_mul_u32_u24_e32 v100, 0x90, v16
	s_mov_b32 s31, 0
                                        ; implicit-def: $vgpr99
                                        ; implicit-def: $vgpr16
; %bb.122:
	s_or_saveexec_b32 s14, s14
	v_dual_mov_b32 v15, s31 :: v_dual_mov_b32 v14, s31
	v_dual_mov_b32 v13, s31 :: v_dual_mov_b32 v12, s31
	;; [unrolled: 1-line block ×8, first 2 shown]
	s_lshl_b32 s13, s13, 5
	s_xor_b32 exec_lo, exec_lo, s14
	s_cbranch_execz .LBB52_247
; %bb.123:
	s_mul_i32 s31, s1, s34
	s_xor_b32 s22, s0, s22
	s_sub_i32 s0, s39, s31
	s_add_i32 s31, s1, 1
	s_sub_i32 s39, s0, s34
	s_cmp_ge_u32 s0, s34
	s_mul_hi_i32 s43, s37, s15
	s_cselect_b32 s1, s31, s1
	s_cselect_b32 s0, s39, s0
	s_add_i32 s31, s1, 1
	s_cmp_ge_u32 s0, s34
	s_mul_i32 s34, s13, s23
	s_cselect_b32 s0, s31, s1
	s_mul_i32 s42, s37, s15
	s_xor_b32 s1, s0, s22
	s_mul_i32 s0, s35, s28
	s_sub_i32 s1, s1, s22
	v_dual_mov_b32 v102, 0 :: v_dual_lshlrev_b32 v1, 1, v80
	s_mul_hi_i32 s41, s1, s36
	s_mul_i32 s40, s1, s36
	s_ashr_i32 s1, s0, 31
	s_lshl_b64 s[50:51], s[40:41], 2
	v_lshl_add_u32 v81, v86, 6, v1
	s_add_u32 s22, s16, s50
	s_addc_u32 s28, s17, s51
	s_lshl_b64 s[52:53], s[0:1], 2
	s_mul_hi_i32 s1, s24, s33
	s_add_u32 s22, s22, s52
	s_addc_u32 s28, s28, s53
	s_ashr_i32 s35, s34, 31
	s_mul_i32 s0, s24, s33
	s_lshl_b64 s[54:55], s[34:35], 2
	v_dual_mov_b32 v104, 0x100 :: v_dual_lshlrev_b32 v1, 2, v99
	s_add_u32 s22, s22, s54
	s_addc_u32 s28, s28, s55
	s_lshl_b64 s[34:35], s[42:43], 2
	s_lshl_b64 s[0:1], s[0:1], 3
	s_add_u32 s18, s18, s34
	s_addc_u32 s19, s19, s35
	s_add_u32 s18, s18, s0
	s_addc_u32 s19, s19, s1
	s_cmp_lt_i32 s33, s21
	s_movk_i32 s1, 0x900
	s_cselect_b32 s31, -1, 0
	s_add_i32 s0, s33, 1
	v_mad_u32_u24 v0, v86, s1, 0x100
	s_cmp_lt_i32 s0, s21
	v_mul_u32_u24_e32 v100, 0x90, v16
	s_cselect_b32 s34, -1, 0
	s_add_i32 s0, s33, 2
	v_lshl_add_u32 v101, v80, 2, v0
	s_cmp_lt_i32 s0, s21
	v_dual_mov_b32 v0, 0 :: v_dual_add_nc_u32 v103, v0, v100
	s_cselect_b32 s35, -1, 0
	s_add_i32 s0, s33, 3
	s_lshl_b32 s36, s24, 2
	s_cmp_lt_i32 s0, s21
	v_mov_b32_e32 v2, v102
	s_cselect_b32 s37, -1, 0
	s_add_i32 s0, s33, 4
	v_mov_b32_e32 v3, v102
	s_cmp_lt_i32 s0, s21
	v_mov_b32_e32 v4, v102
	s_cselect_b32 s39, -1, 0
	s_add_i32 s0, s33, 5
	s_lshl_b32 s40, s24, 3
	s_cmp_lt_i32 s0, s21
	v_mov_b32_e32 v5, v102
	s_cselect_b32 s41, -1, 0
	s_add_i32 s0, s33, 6
	v_mov_b32_e32 v6, v102
	s_cmp_lt_i32 s0, s21
	v_mov_b32_e32 v7, v102
	s_cselect_b32 s42, -1, 0
	s_add_i32 s0, s33, 7
	v_mov_b32_e32 v9, v102
	;; [unrolled: 5-line block ×3, first 2 shown]
	s_cmp_lt_i32 s0, s21
	v_mov_b32_e32 v12, v102
	s_cselect_b32 s46, -1, 0
	s_add_i32 s0, s33, 9
	s_lshl_b32 s47, s24, 4
	s_cmp_lt_i32 s0, s21
	v_mov_b32_e32 v8, 0
	s_cselect_b32 s48, -1, 0
	s_add_i32 s0, s33, 10
	v_mov_b32_e32 v13, v102
	s_cmp_lt_i32 s0, s21
	s_mov_b32 s0, s23
	s_cselect_b32 s21, -1, 0
	s_ashr_i32 s1, s23, 31
	v_mov_b32_e32 v14, v102
	s_lshl_b64 s[0:1], s[0:1], 2
	s_add_u32 s49, s50, s54
	s_addc_u32 s50, s51, s55
	s_add_u32 s49, s49, s52
	s_addc_u32 s50, s50, s53
	;; [unrolled: 2-line block ×3, first 2 shown]
	v_add_co_u32 v82, s16, s16, v1
	s_delay_alu instid0(VALU_DEP_1)
	v_add_co_ci_u32_e64 v83, null, s17, 0, s16
	v_mov_b32_e32 v1, v102
	v_mov_b32_e32 v15, v102
	s_mul_i32 s44, s24, 6
	s_mul_i32 s45, s24, 10
	;; [unrolled: 1-line block ×6, first 2 shown]
	s_lshl_b32 s24, s24, 1
	s_lshl_b32 s51, s23, 1
	s_mul_i32 s52, s23, 3
	s_lshl_b32 s53, s23, 2
	s_mul_i32 s54, s23, 5
	s_mul_i32 s55, s23, 6
	;; [unrolled: 1-line block ×3, first 2 shown]
	s_lshl_b32 s57, s23, 3
	s_mul_i32 s58, s23, 9
	s_mul_i32 s59, s23, 10
	;; [unrolled: 1-line block ×7, first 2 shown]
	s_lshl_b32 s65, s23, 4
	s_mul_i32 s66, s23, 17
	s_mul_i32 s67, s23, 18
	;; [unrolled: 1-line block ×15, first 2 shown]
	s_mov_b32 s23, 0
	s_branch .LBB52_125
.LBB52_124:                             ;   in Loop: Header=BB52_125 Depth=1
	s_or_b32 exec_lo, exec_lo, s81
	s_delay_alu instid0(VALU_DEP_1)
	v_perm_b32 v84, v84, v105, 0x7060302
	v_add_nc_u32_e32 v85, 0x400, v101
	v_add_nc_u32_e32 v99, 32, v99
	v_add_co_u32 v82, vcc_lo, 0x80, v82
	ds_store_2addr_b32 v85, v84, v102 offset0:120 offset1:156
	ds_store_2addr_b32 v85, v102, v102 offset0:192 offset1:228
	v_add_nc_u32_e32 v84, 0x800, v101
	v_add_co_ci_u32_e32 v83, vcc_lo, 0, v83, vcc_lo
	v_cmp_le_i32_e32 vcc_lo, s20, v99
	v_add_nc_u32_e32 v81, 64, v81
	ds_store_2addr_b32 v84, v102, v102 offset0:8 offset1:44
	ds_load_b128 v[105:108], v103 offset:64
	ds_load_b128 v[109:112], v103 offset:80
	;; [unrolled: 1-line block ×4, first 2 shown]
	s_or_b32 s23, vcc_lo, s23
	s_waitcnt lgkmcnt(2)
	v_wmma_f32_16x16x16_bf16 v[8:15], v[56:63], v[105:112], v[8:15]
	v_wmma_f32_16x16x16_bf16 v[0:7], v[72:79], v[105:112], v[0:7]
	s_waitcnt lgkmcnt(0)
	s_delay_alu instid0(VALU_DEP_2)
	v_wmma_f32_16x16x16_bf16 v[8:15], v[48:55], v[113:120], v[8:15]
	ds_load_b128 v[48:51], v103 offset:128
	ds_load_b128 v[52:55], v103 offset:144
	v_wmma_f32_16x16x16_bf16 v[0:7], v[64:71], v[113:120], v[0:7]
	s_waitcnt lgkmcnt(0)
	v_wmma_f32_16x16x16_bf16 v[8:15], v[32:39], v[48:55], v[8:15]
	ds_load_b128 v[32:35], v103 offset:160
	ds_load_b128 v[36:39], v103 offset:176
	v_wmma_f32_16x16x16_bf16 v[0:7], v[40:47], v[48:55], v[0:7]
	s_waitcnt lgkmcnt(0)
	v_wmma_f32_16x16x16_bf16 v[8:15], v[16:23], v[32:39], v[8:15]
	s_delay_alu instid0(VALU_DEP_2)
	v_wmma_f32_16x16x16_bf16 v[0:7], v[24:31], v[32:39], v[0:7]
	s_and_not1_b32 exec_lo, exec_lo, s23
	s_cbranch_execz .LBB52_246
.LBB52_125:                             ; =>This Inner Loop Header: Depth=1
	v_dual_mov_b32 v85, 0 :: v_dual_add_nc_u32 v16, s51, v99
	v_add_nc_u32_e32 v22, s53, v99
	v_add_nc_u32_e32 v18, s52, v99
	v_add_co_u32 v20, vcc_lo, v82, s0
	s_delay_alu instid0(VALU_DEP_4)
	v_ashrrev_i32_e32 v17, 31, v16
	v_add_co_ci_u32_e32 v21, vcc_lo, s1, v83, vcc_lo
	v_ashrrev_i32_e32 v23, 31, v22
	v_ashrrev_i32_e32 v19, 31, v18
	v_add_nc_u32_e32 v24, s54, v99
	v_lshlrev_b64 v[16:17], 2, v[16:17]
	s_clause 0x1
	global_load_b32 v38, v[82:83], off
	global_load_b32 v39, v[20:21], off
	v_lshlrev_b64 v[20:21], 2, v[22:23]
	v_add_nc_u32_e32 v22, s55, v99
	v_lshlrev_b64 v[18:19], 2, v[18:19]
	v_ashrrev_i32_e32 v25, 31, v24
	v_add_nc_u32_e32 v26, s56, v99
	v_add_co_u32 v16, vcc_lo, s22, v16
	v_ashrrev_i32_e32 v23, 31, v22
	v_add_co_ci_u32_e32 v17, vcc_lo, s28, v17, vcc_lo
	v_add_nc_u32_e32 v28, s57, v99
	v_add_co_u32 v18, vcc_lo, s22, v18
	v_lshlrev_b64 v[24:25], 2, v[24:25]
	v_ashrrev_i32_e32 v27, 31, v26
	v_add_co_ci_u32_e32 v19, vcc_lo, s28, v19, vcc_lo
	v_add_nc_u32_e32 v30, s58, v99
	v_add_co_u32 v20, vcc_lo, s22, v20
	v_lshlrev_b64 v[22:23], 2, v[22:23]
	v_ashrrev_i32_e32 v29, 31, v28
	v_add_co_ci_u32_e32 v21, vcc_lo, s28, v21, vcc_lo
	v_add_co_u32 v24, vcc_lo, s22, v24
	v_lshlrev_b64 v[26:27], 2, v[26:27]
	v_ashrrev_i32_e32 v31, 31, v30
	v_add_co_ci_u32_e32 v25, vcc_lo, s28, v25, vcc_lo
	v_add_co_u32 v22, vcc_lo, s22, v22
	v_lshlrev_b64 v[28:29], 2, v[28:29]
	v_add_co_ci_u32_e32 v23, vcc_lo, s28, v23, vcc_lo
	v_add_nc_u32_e32 v32, s59, v99
	v_add_co_u32 v26, vcc_lo, s22, v26
	v_lshlrev_b64 v[30:31], 2, v[30:31]
	v_add_co_ci_u32_e32 v27, vcc_lo, s28, v27, vcc_lo
	v_add_nc_u32_e32 v34, s60, v99
	v_add_co_u32 v28, vcc_lo, s22, v28
	v_ashrrev_i32_e32 v33, 31, v32
	v_add_co_ci_u32_e32 v29, vcc_lo, s28, v29, vcc_lo
	v_add_nc_u32_e32 v36, s61, v99
	v_add_co_u32 v30, vcc_lo, s22, v30
	v_ashrrev_i32_e32 v35, 31, v34
	v_add_co_ci_u32_e32 v31, vcc_lo, s28, v31, vcc_lo
	s_clause 0x7
	global_load_b32 v40, v[16:17], off
	global_load_b32 v41, v[18:19], off
	global_load_b32 v42, v[20:21], off
	global_load_b32 v43, v[24:25], off
	global_load_b32 v44, v[22:23], off
	global_load_b32 v45, v[26:27], off
	global_load_b32 v46, v[28:29], off
	global_load_b32 v47, v[30:31], off
	v_add_nc_u32_e32 v18, s62, v99
	v_lshlrev_b64 v[32:33], 2, v[32:33]
	v_ashrrev_i32_e32 v37, 31, v36
	v_add_nc_u32_e32 v24, s63, v99
	v_lshlrev_b64 v[16:17], 2, v[34:35]
	v_ashrrev_i32_e32 v19, 31, v18
	v_add_nc_u32_e32 v26, s64, v99
	v_add_co_u32 v20, vcc_lo, s22, v32
	v_lshlrev_b64 v[22:23], 2, v[36:37]
	v_ashrrev_i32_e32 v25, 31, v24
	v_add_co_ci_u32_e32 v21, vcc_lo, s28, v33, vcc_lo
	v_add_nc_u32_e32 v28, s65, v99
	v_add_co_u32 v16, vcc_lo, s22, v16
	v_lshlrev_b64 v[18:19], 2, v[18:19]
	v_ashrrev_i32_e32 v27, 31, v26
	v_add_co_ci_u32_e32 v17, vcc_lo, s28, v17, vcc_lo
	v_add_nc_u32_e32 v30, s66, v99
	v_add_co_u32 v22, vcc_lo, s22, v22
	v_lshlrev_b64 v[24:25], 2, v[24:25]
	v_ashrrev_i32_e32 v29, 31, v28
	v_add_co_ci_u32_e32 v23, vcc_lo, s28, v23, vcc_lo
	v_add_co_u32 v18, vcc_lo, s22, v18
	v_lshlrev_b64 v[26:27], 2, v[26:27]
	v_ashrrev_i32_e32 v31, 31, v30
	v_add_co_ci_u32_e32 v19, vcc_lo, s28, v19, vcc_lo
	v_add_co_u32 v24, vcc_lo, s22, v24
	v_lshlrev_b64 v[28:29], 2, v[28:29]
	v_add_co_ci_u32_e32 v25, vcc_lo, s28, v25, vcc_lo
	v_add_nc_u32_e32 v32, s67, v99
	v_add_co_u32 v26, vcc_lo, s22, v26
	v_lshlrev_b64 v[30:31], 2, v[30:31]
	v_add_co_ci_u32_e32 v27, vcc_lo, s28, v27, vcc_lo
	v_add_nc_u32_e32 v34, s68, v99
	v_add_co_u32 v28, vcc_lo, s22, v28
	v_ashrrev_i32_e32 v33, 31, v32
	v_add_co_ci_u32_e32 v29, vcc_lo, s28, v29, vcc_lo
	v_add_nc_u32_e32 v36, s69, v99
	v_add_co_u32 v30, vcc_lo, s22, v30
	v_ashrrev_i32_e32 v35, 31, v34
	v_add_co_ci_u32_e32 v31, vcc_lo, s28, v31, vcc_lo
	s_clause 0x7
	global_load_b32 v48, v[20:21], off
	global_load_b32 v49, v[16:17], off
	global_load_b32 v50, v[22:23], off
	global_load_b32 v51, v[18:19], off
	global_load_b32 v52, v[24:25], off
	global_load_b32 v53, v[26:27], off
	global_load_b32 v64, v[28:29], off
	global_load_b32 v65, v[30:31], off
	v_add_nc_u32_e32 v18, s70, v99
	v_lshlrev_b64 v[32:33], 2, v[32:33]
	v_ashrrev_i32_e32 v37, 31, v36
	v_add_nc_u32_e32 v24, s71, v99
	v_lshlrev_b64 v[16:17], 2, v[34:35]
	v_ashrrev_i32_e32 v19, 31, v18
	v_add_nc_u32_e32 v26, s72, v99
	v_add_co_u32 v20, vcc_lo, s22, v32
	v_lshlrev_b64 v[22:23], 2, v[36:37]
	;; [unrolled: 49-line block ×3, first 2 shown]
	v_ashrrev_i32_e32 v25, 31, v24
	v_add_co_ci_u32_e32 v21, vcc_lo, s28, v33, vcc_lo
	v_add_co_u32 v16, vcc_lo, s22, v16
	v_lshlrev_b64 v[18:19], 2, v[18:19]
	v_ashrrev_i32_e32 v27, 31, v26
	v_add_co_ci_u32_e32 v17, vcc_lo, s28, v17, vcc_lo
	v_add_co_u32 v22, vcc_lo, s22, v22
	v_lshlrev_b64 v[24:25], 2, v[24:25]
	v_add_co_ci_u32_e32 v23, vcc_lo, s28, v23, vcc_lo
	v_add_co_u32 v18, vcc_lo, s22, v18
	v_lshlrev_b64 v[26:27], 2, v[26:27]
	v_add_co_ci_u32_e32 v19, vcc_lo, s28, v19, vcc_lo
	v_add_co_u32 v24, vcc_lo, s22, v24
	v_add_co_ci_u32_e32 v25, vcc_lo, s28, v25, vcc_lo
	s_delay_alu instid0(VALU_DEP_4)
	v_add_co_u32 v26, vcc_lo, s22, v26
	v_add_co_ci_u32_e32 v27, vcc_lo, s28, v27, vcc_lo
	s_clause 0x5
	global_load_b32 v30, v[20:21], off
	global_load_b32 v31, v[16:17], off
	;; [unrolled: 1-line block ×6, first 2 shown]
	v_mov_b32_e32 v84, 0
	s_and_not1_b32 vcc_lo, exec_lo, s31
	s_waitcnt vmcnt(31)
	ds_store_b32 v101, v38 offset:64
	s_waitcnt vmcnt(30)
	ds_store_b32 v101, v39 offset:208
	;; [unrolled: 2-line block ×16, first 2 shown]
	ds_load_b128 v[56:59], v103 offset:64
	ds_load_b128 v[60:63], v103 offset:80
	;; [unrolled: 1-line block ×8, first 2 shown]
	s_waitcnt vmcnt(15)
	ds_store_b32 v101, v64 offset:64
	s_waitcnt vmcnt(14)
	ds_store_b32 v101, v65 offset:208
	;; [unrolled: 2-line block ×16, first 2 shown]
	ds_load_b128 v[72:75], v103 offset:64
	ds_load_b128 v[76:79], v103 offset:80
	;; [unrolled: 1-line block ×8, first 2 shown]
	s_cbranch_vccnz .LBB52_128
; %bb.126:                              ;   in Loop: Header=BB52_125 Depth=1
	ds_load_b32 v105, v104
	v_dual_mov_b32 v84, 0 :: v_dual_mov_b32 v85, 0
	s_waitcnt lgkmcnt(0)
	v_cmp_gt_i32_e32 vcc_lo, 0, v105
	s_cbranch_vccnz .LBB52_128
; %bb.127:                              ;   in Loop: Header=BB52_125 Depth=1
	v_mad_u64_u32 v[84:85], null, v105, s29, v[81:82]
	s_delay_alu instid0(VALU_DEP_1) | instskip(NEXT) | instid1(VALU_DEP_1)
	v_ashrrev_i32_e32 v85, 31, v84
	v_lshlrev_b64 v[84:85], 2, v[84:85]
	s_delay_alu instid0(VALU_DEP_1) | instskip(NEXT) | instid1(VALU_DEP_2)
	v_add_co_u32 v84, vcc_lo, s18, v84
	v_add_co_ci_u32_e32 v85, vcc_lo, s19, v85, vcc_lo
	global_load_b64 v[84:85], v[84:85], off
.LBB52_128:                             ;   in Loop: Header=BB52_125 Depth=1
	s_waitcnt vmcnt(0)
	v_and_b32_e32 v105, 0x7f800000, v84
	s_delay_alu instid0(VALU_DEP_1) | instskip(SKIP_1) | instid1(SALU_CYCLE_1)
	v_cmp_ne_u32_e32 vcc_lo, 0x7f800000, v105
                                        ; implicit-def: $vgpr105
	s_and_saveexec_b32 s81, vcc_lo
	s_xor_b32 s81, exec_lo, s81
; %bb.129:                              ;   in Loop: Header=BB52_125 Depth=1
	v_bfe_u32 v105, v84, 16, 1
	s_delay_alu instid0(VALU_DEP_1)
	v_add3_u32 v105, v84, v105, 0x7fff
; %bb.130:                              ;   in Loop: Header=BB52_125 Depth=1
	s_and_not1_saveexec_b32 s81, s81
; %bb.131:                              ;   in Loop: Header=BB52_125 Depth=1
	v_and_b32_e32 v105, 0xffff, v84
	v_or_b32_e32 v106, 0x10000, v84
	s_delay_alu instid0(VALU_DEP_2) | instskip(NEXT) | instid1(VALU_DEP_2)
	v_cmp_eq_u32_e32 vcc_lo, 0, v105
	v_cndmask_b32_e32 v105, v106, v84, vcc_lo
; %bb.132:                              ;   in Loop: Header=BB52_125 Depth=1
	s_or_b32 exec_lo, exec_lo, s81
	v_and_b32_e32 v84, 0x7f800000, v85
	s_delay_alu instid0(VALU_DEP_1) | instskip(SKIP_1) | instid1(SALU_CYCLE_1)
	v_cmp_ne_u32_e32 vcc_lo, 0x7f800000, v84
                                        ; implicit-def: $vgpr84
	s_and_saveexec_b32 s81, vcc_lo
	s_xor_b32 s81, exec_lo, s81
; %bb.133:                              ;   in Loop: Header=BB52_125 Depth=1
	v_bfe_u32 v84, v85, 16, 1
	s_delay_alu instid0(VALU_DEP_1)
	v_add3_u32 v84, v85, v84, 0x7fff
                                        ; implicit-def: $vgpr85
; %bb.134:                              ;   in Loop: Header=BB52_125 Depth=1
	s_and_not1_saveexec_b32 s81, s81
; %bb.135:                              ;   in Loop: Header=BB52_125 Depth=1
	v_and_b32_e32 v84, 0xffff, v85
	v_or_b32_e32 v106, 0x10000, v85
	s_delay_alu instid0(VALU_DEP_2) | instskip(NEXT) | instid1(VALU_DEP_2)
	v_cmp_eq_u32_e32 vcc_lo, 0, v84
	v_cndmask_b32_e32 v84, v106, v85, vcc_lo
; %bb.136:                              ;   in Loop: Header=BB52_125 Depth=1
	s_or_b32 exec_lo, exec_lo, s81
	s_delay_alu instid0(VALU_DEP_1)
	v_perm_b32 v105, v84, v105, 0x7060302
	v_dual_mov_b32 v85, 0 :: v_dual_mov_b32 v84, 0
	s_and_not1_b32 vcc_lo, exec_lo, s34
	ds_store_b32 v101, v105 offset:64
	s_cbranch_vccnz .LBB52_139
; %bb.137:                              ;   in Loop: Header=BB52_125 Depth=1
	ds_load_b32 v105, v104 offset:4
	v_dual_mov_b32 v84, 0 :: v_dual_mov_b32 v85, 0
	s_waitcnt lgkmcnt(0)
	v_cmp_gt_i32_e32 vcc_lo, 0, v105
	s_cbranch_vccnz .LBB52_139
; %bb.138:                              ;   in Loop: Header=BB52_125 Depth=1
	v_mul_lo_u32 v84, v105, s29
	s_delay_alu instid0(VALU_DEP_1) | instskip(NEXT) | instid1(VALU_DEP_1)
	v_add3_u32 v84, v84, s24, v81
	v_ashrrev_i32_e32 v85, 31, v84
	s_delay_alu instid0(VALU_DEP_1) | instskip(NEXT) | instid1(VALU_DEP_1)
	v_lshlrev_b64 v[84:85], 2, v[84:85]
	v_add_co_u32 v84, vcc_lo, s18, v84
	s_delay_alu instid0(VALU_DEP_2)
	v_add_co_ci_u32_e32 v85, vcc_lo, s19, v85, vcc_lo
	global_load_b64 v[84:85], v[84:85], off
.LBB52_139:                             ;   in Loop: Header=BB52_125 Depth=1
	s_waitcnt vmcnt(0)
	v_and_b32_e32 v105, 0x7f800000, v84
	s_delay_alu instid0(VALU_DEP_1) | instskip(SKIP_1) | instid1(SALU_CYCLE_1)
	v_cmp_ne_u32_e32 vcc_lo, 0x7f800000, v105
                                        ; implicit-def: $vgpr105
	s_and_saveexec_b32 s81, vcc_lo
	s_xor_b32 s81, exec_lo, s81
; %bb.140:                              ;   in Loop: Header=BB52_125 Depth=1
	v_bfe_u32 v105, v84, 16, 1
	s_delay_alu instid0(VALU_DEP_1)
	v_add3_u32 v105, v84, v105, 0x7fff
; %bb.141:                              ;   in Loop: Header=BB52_125 Depth=1
	s_and_not1_saveexec_b32 s81, s81
; %bb.142:                              ;   in Loop: Header=BB52_125 Depth=1
	v_and_b32_e32 v105, 0xffff, v84
	v_or_b32_e32 v106, 0x10000, v84
	s_delay_alu instid0(VALU_DEP_2) | instskip(NEXT) | instid1(VALU_DEP_2)
	v_cmp_eq_u32_e32 vcc_lo, 0, v105
	v_cndmask_b32_e32 v105, v106, v84, vcc_lo
; %bb.143:                              ;   in Loop: Header=BB52_125 Depth=1
	s_or_b32 exec_lo, exec_lo, s81
	v_and_b32_e32 v84, 0x7f800000, v85
	s_delay_alu instid0(VALU_DEP_1) | instskip(SKIP_1) | instid1(SALU_CYCLE_1)
	v_cmp_ne_u32_e32 vcc_lo, 0x7f800000, v84
                                        ; implicit-def: $vgpr84
	s_and_saveexec_b32 s81, vcc_lo
	s_xor_b32 s81, exec_lo, s81
; %bb.144:                              ;   in Loop: Header=BB52_125 Depth=1
	v_bfe_u32 v84, v85, 16, 1
	s_delay_alu instid0(VALU_DEP_1)
	v_add3_u32 v84, v85, v84, 0x7fff
                                        ; implicit-def: $vgpr85
; %bb.145:                              ;   in Loop: Header=BB52_125 Depth=1
	s_and_not1_saveexec_b32 s81, s81
; %bb.146:                              ;   in Loop: Header=BB52_125 Depth=1
	v_and_b32_e32 v84, 0xffff, v85
	v_or_b32_e32 v106, 0x10000, v85
	s_delay_alu instid0(VALU_DEP_2) | instskip(NEXT) | instid1(VALU_DEP_2)
	v_cmp_eq_u32_e32 vcc_lo, 0, v84
	v_cndmask_b32_e32 v84, v106, v85, vcc_lo
; %bb.147:                              ;   in Loop: Header=BB52_125 Depth=1
	s_or_b32 exec_lo, exec_lo, s81
	s_delay_alu instid0(VALU_DEP_1)
	v_perm_b32 v105, v84, v105, 0x7060302
	v_dual_mov_b32 v85, 0 :: v_dual_mov_b32 v84, 0
	s_and_not1_b32 vcc_lo, exec_lo, s35
	ds_store_b32 v101, v105 offset:208
	s_cbranch_vccnz .LBB52_150
; %bb.148:                              ;   in Loop: Header=BB52_125 Depth=1
	ds_load_b32 v105, v104 offset:8
	v_dual_mov_b32 v84, 0 :: v_dual_mov_b32 v85, 0
	s_waitcnt lgkmcnt(0)
	v_cmp_gt_i32_e32 vcc_lo, 0, v105
	s_cbranch_vccnz .LBB52_150
; %bb.149:                              ;   in Loop: Header=BB52_125 Depth=1
	v_mul_lo_u32 v84, v105, s29
	s_delay_alu instid0(VALU_DEP_1) | instskip(NEXT) | instid1(VALU_DEP_1)
	v_add3_u32 v84, v84, s36, v81
	v_ashrrev_i32_e32 v85, 31, v84
	s_delay_alu instid0(VALU_DEP_1) | instskip(NEXT) | instid1(VALU_DEP_1)
	v_lshlrev_b64 v[84:85], 2, v[84:85]
	v_add_co_u32 v84, vcc_lo, s18, v84
	s_delay_alu instid0(VALU_DEP_2)
	v_add_co_ci_u32_e32 v85, vcc_lo, s19, v85, vcc_lo
	global_load_b64 v[84:85], v[84:85], off
.LBB52_150:                             ;   in Loop: Header=BB52_125 Depth=1
	s_waitcnt vmcnt(0)
	v_and_b32_e32 v105, 0x7f800000, v84
	s_delay_alu instid0(VALU_DEP_1) | instskip(SKIP_1) | instid1(SALU_CYCLE_1)
	v_cmp_ne_u32_e32 vcc_lo, 0x7f800000, v105
                                        ; implicit-def: $vgpr105
	s_and_saveexec_b32 s81, vcc_lo
	s_xor_b32 s81, exec_lo, s81
; %bb.151:                              ;   in Loop: Header=BB52_125 Depth=1
	v_bfe_u32 v105, v84, 16, 1
	s_delay_alu instid0(VALU_DEP_1)
	v_add3_u32 v105, v84, v105, 0x7fff
; %bb.152:                              ;   in Loop: Header=BB52_125 Depth=1
	s_and_not1_saveexec_b32 s81, s81
; %bb.153:                              ;   in Loop: Header=BB52_125 Depth=1
	v_and_b32_e32 v105, 0xffff, v84
	v_or_b32_e32 v106, 0x10000, v84
	s_delay_alu instid0(VALU_DEP_2) | instskip(NEXT) | instid1(VALU_DEP_2)
	v_cmp_eq_u32_e32 vcc_lo, 0, v105
	v_cndmask_b32_e32 v105, v106, v84, vcc_lo
; %bb.154:                              ;   in Loop: Header=BB52_125 Depth=1
	s_or_b32 exec_lo, exec_lo, s81
	v_and_b32_e32 v84, 0x7f800000, v85
	s_delay_alu instid0(VALU_DEP_1) | instskip(SKIP_1) | instid1(SALU_CYCLE_1)
	v_cmp_ne_u32_e32 vcc_lo, 0x7f800000, v84
                                        ; implicit-def: $vgpr84
	s_and_saveexec_b32 s81, vcc_lo
	s_xor_b32 s81, exec_lo, s81
; %bb.155:                              ;   in Loop: Header=BB52_125 Depth=1
	v_bfe_u32 v84, v85, 16, 1
	s_delay_alu instid0(VALU_DEP_1)
	v_add3_u32 v84, v85, v84, 0x7fff
                                        ; implicit-def: $vgpr85
; %bb.156:                              ;   in Loop: Header=BB52_125 Depth=1
	s_and_not1_saveexec_b32 s81, s81
; %bb.157:                              ;   in Loop: Header=BB52_125 Depth=1
	v_and_b32_e32 v84, 0xffff, v85
	v_or_b32_e32 v106, 0x10000, v85
	s_delay_alu instid0(VALU_DEP_2) | instskip(NEXT) | instid1(VALU_DEP_2)
	v_cmp_eq_u32_e32 vcc_lo, 0, v84
	v_cndmask_b32_e32 v84, v106, v85, vcc_lo
; %bb.158:                              ;   in Loop: Header=BB52_125 Depth=1
	s_or_b32 exec_lo, exec_lo, s81
	s_delay_alu instid0(VALU_DEP_1)
	v_perm_b32 v105, v84, v105, 0x7060302
	v_dual_mov_b32 v85, 0 :: v_dual_mov_b32 v84, 0
	s_and_not1_b32 vcc_lo, exec_lo, s37
	ds_store_b32 v101, v105 offset:352
	s_cbranch_vccnz .LBB52_161
; %bb.159:                              ;   in Loop: Header=BB52_125 Depth=1
	ds_load_b32 v105, v104 offset:12
	v_dual_mov_b32 v84, 0 :: v_dual_mov_b32 v85, 0
	s_waitcnt lgkmcnt(0)
	v_cmp_gt_i32_e32 vcc_lo, 0, v105
	s_cbranch_vccnz .LBB52_161
; %bb.160:                              ;   in Loop: Header=BB52_125 Depth=1
	v_mul_lo_u32 v84, v105, s29
	s_delay_alu instid0(VALU_DEP_1) | instskip(NEXT) | instid1(VALU_DEP_1)
	v_add3_u32 v84, v84, s44, v81
	v_ashrrev_i32_e32 v85, 31, v84
	s_delay_alu instid0(VALU_DEP_1) | instskip(NEXT) | instid1(VALU_DEP_1)
	v_lshlrev_b64 v[84:85], 2, v[84:85]
	v_add_co_u32 v84, vcc_lo, s18, v84
	s_delay_alu instid0(VALU_DEP_2)
	v_add_co_ci_u32_e32 v85, vcc_lo, s19, v85, vcc_lo
	global_load_b64 v[84:85], v[84:85], off
.LBB52_161:                             ;   in Loop: Header=BB52_125 Depth=1
	s_waitcnt vmcnt(0)
	v_and_b32_e32 v105, 0x7f800000, v84
	s_delay_alu instid0(VALU_DEP_1) | instskip(SKIP_1) | instid1(SALU_CYCLE_1)
	v_cmp_ne_u32_e32 vcc_lo, 0x7f800000, v105
                                        ; implicit-def: $vgpr105
	s_and_saveexec_b32 s81, vcc_lo
	s_xor_b32 s81, exec_lo, s81
; %bb.162:                              ;   in Loop: Header=BB52_125 Depth=1
	v_bfe_u32 v105, v84, 16, 1
	s_delay_alu instid0(VALU_DEP_1)
	v_add3_u32 v105, v84, v105, 0x7fff
; %bb.163:                              ;   in Loop: Header=BB52_125 Depth=1
	s_and_not1_saveexec_b32 s81, s81
; %bb.164:                              ;   in Loop: Header=BB52_125 Depth=1
	v_and_b32_e32 v105, 0xffff, v84
	v_or_b32_e32 v106, 0x10000, v84
	s_delay_alu instid0(VALU_DEP_2) | instskip(NEXT) | instid1(VALU_DEP_2)
	v_cmp_eq_u32_e32 vcc_lo, 0, v105
	v_cndmask_b32_e32 v105, v106, v84, vcc_lo
; %bb.165:                              ;   in Loop: Header=BB52_125 Depth=1
	s_or_b32 exec_lo, exec_lo, s81
	v_and_b32_e32 v84, 0x7f800000, v85
	s_delay_alu instid0(VALU_DEP_1) | instskip(SKIP_1) | instid1(SALU_CYCLE_1)
	v_cmp_ne_u32_e32 vcc_lo, 0x7f800000, v84
                                        ; implicit-def: $vgpr84
	s_and_saveexec_b32 s81, vcc_lo
	s_xor_b32 s81, exec_lo, s81
; %bb.166:                              ;   in Loop: Header=BB52_125 Depth=1
	v_bfe_u32 v84, v85, 16, 1
	s_delay_alu instid0(VALU_DEP_1)
	v_add3_u32 v84, v85, v84, 0x7fff
                                        ; implicit-def: $vgpr85
; %bb.167:                              ;   in Loop: Header=BB52_125 Depth=1
	s_and_not1_saveexec_b32 s81, s81
; %bb.168:                              ;   in Loop: Header=BB52_125 Depth=1
	v_and_b32_e32 v84, 0xffff, v85
	v_or_b32_e32 v106, 0x10000, v85
	s_delay_alu instid0(VALU_DEP_2) | instskip(NEXT) | instid1(VALU_DEP_2)
	v_cmp_eq_u32_e32 vcc_lo, 0, v84
	v_cndmask_b32_e32 v84, v106, v85, vcc_lo
; %bb.169:                              ;   in Loop: Header=BB52_125 Depth=1
	s_or_b32 exec_lo, exec_lo, s81
	s_delay_alu instid0(VALU_DEP_1)
	v_perm_b32 v105, v84, v105, 0x7060302
	v_dual_mov_b32 v85, 0 :: v_dual_mov_b32 v84, 0
	s_and_not1_b32 vcc_lo, exec_lo, s39
	ds_store_b32 v101, v105 offset:496
	s_cbranch_vccnz .LBB52_172
; %bb.170:                              ;   in Loop: Header=BB52_125 Depth=1
	ds_load_b32 v105, v104 offset:16
	v_dual_mov_b32 v84, 0 :: v_dual_mov_b32 v85, 0
	s_waitcnt lgkmcnt(0)
	v_cmp_gt_i32_e32 vcc_lo, 0, v105
	s_cbranch_vccnz .LBB52_172
; %bb.171:                              ;   in Loop: Header=BB52_125 Depth=1
	v_mul_lo_u32 v84, v105, s29
	s_delay_alu instid0(VALU_DEP_1) | instskip(NEXT) | instid1(VALU_DEP_1)
	v_add3_u32 v84, v84, s40, v81
	v_ashrrev_i32_e32 v85, 31, v84
	s_delay_alu instid0(VALU_DEP_1) | instskip(NEXT) | instid1(VALU_DEP_1)
	v_lshlrev_b64 v[84:85], 2, v[84:85]
	v_add_co_u32 v84, vcc_lo, s18, v84
	s_delay_alu instid0(VALU_DEP_2)
	v_add_co_ci_u32_e32 v85, vcc_lo, s19, v85, vcc_lo
	global_load_b64 v[84:85], v[84:85], off
.LBB52_172:                             ;   in Loop: Header=BB52_125 Depth=1
	s_waitcnt vmcnt(0)
	v_and_b32_e32 v105, 0x7f800000, v84
	s_delay_alu instid0(VALU_DEP_1) | instskip(SKIP_1) | instid1(SALU_CYCLE_1)
	v_cmp_ne_u32_e32 vcc_lo, 0x7f800000, v105
                                        ; implicit-def: $vgpr105
	s_and_saveexec_b32 s81, vcc_lo
	s_xor_b32 s81, exec_lo, s81
; %bb.173:                              ;   in Loop: Header=BB52_125 Depth=1
	v_bfe_u32 v105, v84, 16, 1
	s_delay_alu instid0(VALU_DEP_1)
	v_add3_u32 v105, v84, v105, 0x7fff
; %bb.174:                              ;   in Loop: Header=BB52_125 Depth=1
	s_and_not1_saveexec_b32 s81, s81
; %bb.175:                              ;   in Loop: Header=BB52_125 Depth=1
	v_and_b32_e32 v105, 0xffff, v84
	v_or_b32_e32 v106, 0x10000, v84
	s_delay_alu instid0(VALU_DEP_2) | instskip(NEXT) | instid1(VALU_DEP_2)
	v_cmp_eq_u32_e32 vcc_lo, 0, v105
	v_cndmask_b32_e32 v105, v106, v84, vcc_lo
; %bb.176:                              ;   in Loop: Header=BB52_125 Depth=1
	s_or_b32 exec_lo, exec_lo, s81
	v_and_b32_e32 v84, 0x7f800000, v85
	s_delay_alu instid0(VALU_DEP_1) | instskip(SKIP_1) | instid1(SALU_CYCLE_1)
	v_cmp_ne_u32_e32 vcc_lo, 0x7f800000, v84
                                        ; implicit-def: $vgpr84
	s_and_saveexec_b32 s81, vcc_lo
	s_xor_b32 s81, exec_lo, s81
; %bb.177:                              ;   in Loop: Header=BB52_125 Depth=1
	v_bfe_u32 v84, v85, 16, 1
	s_delay_alu instid0(VALU_DEP_1)
	v_add3_u32 v84, v85, v84, 0x7fff
                                        ; implicit-def: $vgpr85
; %bb.178:                              ;   in Loop: Header=BB52_125 Depth=1
	s_and_not1_saveexec_b32 s81, s81
; %bb.179:                              ;   in Loop: Header=BB52_125 Depth=1
	v_and_b32_e32 v84, 0xffff, v85
	v_or_b32_e32 v106, 0x10000, v85
	s_delay_alu instid0(VALU_DEP_2) | instskip(NEXT) | instid1(VALU_DEP_2)
	v_cmp_eq_u32_e32 vcc_lo, 0, v84
	v_cndmask_b32_e32 v84, v106, v85, vcc_lo
; %bb.180:                              ;   in Loop: Header=BB52_125 Depth=1
	s_or_b32 exec_lo, exec_lo, s81
	s_delay_alu instid0(VALU_DEP_1)
	v_perm_b32 v105, v84, v105, 0x7060302
	v_dual_mov_b32 v85, 0 :: v_dual_mov_b32 v84, 0
	s_and_not1_b32 vcc_lo, exec_lo, s41
	ds_store_b32 v101, v105 offset:640
	s_cbranch_vccnz .LBB52_183
; %bb.181:                              ;   in Loop: Header=BB52_125 Depth=1
	ds_load_b32 v105, v104 offset:20
	v_dual_mov_b32 v84, 0 :: v_dual_mov_b32 v85, 0
	s_waitcnt lgkmcnt(0)
	v_cmp_gt_i32_e32 vcc_lo, 0, v105
	s_cbranch_vccnz .LBB52_183
; %bb.182:                              ;   in Loop: Header=BB52_125 Depth=1
	v_mul_lo_u32 v84, v105, s29
	s_delay_alu instid0(VALU_DEP_1) | instskip(NEXT) | instid1(VALU_DEP_1)
	v_add3_u32 v84, v84, s45, v81
	v_ashrrev_i32_e32 v85, 31, v84
	s_delay_alu instid0(VALU_DEP_1) | instskip(NEXT) | instid1(VALU_DEP_1)
	v_lshlrev_b64 v[84:85], 2, v[84:85]
	v_add_co_u32 v84, vcc_lo, s18, v84
	s_delay_alu instid0(VALU_DEP_2)
	v_add_co_ci_u32_e32 v85, vcc_lo, s19, v85, vcc_lo
	global_load_b64 v[84:85], v[84:85], off
.LBB52_183:                             ;   in Loop: Header=BB52_125 Depth=1
	s_waitcnt vmcnt(0)
	v_and_b32_e32 v105, 0x7f800000, v84
	s_delay_alu instid0(VALU_DEP_1) | instskip(SKIP_1) | instid1(SALU_CYCLE_1)
	v_cmp_ne_u32_e32 vcc_lo, 0x7f800000, v105
                                        ; implicit-def: $vgpr105
	s_and_saveexec_b32 s81, vcc_lo
	s_xor_b32 s81, exec_lo, s81
; %bb.184:                              ;   in Loop: Header=BB52_125 Depth=1
	v_bfe_u32 v105, v84, 16, 1
	s_delay_alu instid0(VALU_DEP_1)
	v_add3_u32 v105, v84, v105, 0x7fff
; %bb.185:                              ;   in Loop: Header=BB52_125 Depth=1
	s_and_not1_saveexec_b32 s81, s81
; %bb.186:                              ;   in Loop: Header=BB52_125 Depth=1
	v_and_b32_e32 v105, 0xffff, v84
	v_or_b32_e32 v106, 0x10000, v84
	s_delay_alu instid0(VALU_DEP_2) | instskip(NEXT) | instid1(VALU_DEP_2)
	v_cmp_eq_u32_e32 vcc_lo, 0, v105
	v_cndmask_b32_e32 v105, v106, v84, vcc_lo
; %bb.187:                              ;   in Loop: Header=BB52_125 Depth=1
	s_or_b32 exec_lo, exec_lo, s81
	v_and_b32_e32 v84, 0x7f800000, v85
	s_delay_alu instid0(VALU_DEP_1) | instskip(SKIP_1) | instid1(SALU_CYCLE_1)
	v_cmp_ne_u32_e32 vcc_lo, 0x7f800000, v84
                                        ; implicit-def: $vgpr84
	s_and_saveexec_b32 s81, vcc_lo
	s_xor_b32 s81, exec_lo, s81
; %bb.188:                              ;   in Loop: Header=BB52_125 Depth=1
	v_bfe_u32 v84, v85, 16, 1
	s_delay_alu instid0(VALU_DEP_1)
	v_add3_u32 v84, v85, v84, 0x7fff
                                        ; implicit-def: $vgpr85
; %bb.189:                              ;   in Loop: Header=BB52_125 Depth=1
	s_and_not1_saveexec_b32 s81, s81
; %bb.190:                              ;   in Loop: Header=BB52_125 Depth=1
	v_and_b32_e32 v84, 0xffff, v85
	v_or_b32_e32 v106, 0x10000, v85
	s_delay_alu instid0(VALU_DEP_2) | instskip(NEXT) | instid1(VALU_DEP_2)
	v_cmp_eq_u32_e32 vcc_lo, 0, v84
	v_cndmask_b32_e32 v84, v106, v85, vcc_lo
; %bb.191:                              ;   in Loop: Header=BB52_125 Depth=1
	s_or_b32 exec_lo, exec_lo, s81
	s_delay_alu instid0(VALU_DEP_1)
	v_perm_b32 v105, v84, v105, 0x7060302
	v_dual_mov_b32 v85, 0 :: v_dual_mov_b32 v84, 0
	s_and_not1_b32 vcc_lo, exec_lo, s42
	ds_store_b32 v101, v105 offset:784
	s_cbranch_vccnz .LBB52_194
; %bb.192:                              ;   in Loop: Header=BB52_125 Depth=1
	ds_load_b32 v105, v104 offset:24
	v_dual_mov_b32 v84, 0 :: v_dual_mov_b32 v85, 0
	s_waitcnt lgkmcnt(0)
	v_cmp_gt_i32_e32 vcc_lo, 0, v105
	s_cbranch_vccnz .LBB52_194
; %bb.193:                              ;   in Loop: Header=BB52_125 Depth=1
	v_mul_lo_u32 v84, v105, s29
	s_delay_alu instid0(VALU_DEP_1) | instskip(NEXT) | instid1(VALU_DEP_1)
	v_add3_u32 v84, v84, s50, v81
	v_ashrrev_i32_e32 v85, 31, v84
	s_delay_alu instid0(VALU_DEP_1) | instskip(NEXT) | instid1(VALU_DEP_1)
	v_lshlrev_b64 v[84:85], 2, v[84:85]
	v_add_co_u32 v84, vcc_lo, s18, v84
	s_delay_alu instid0(VALU_DEP_2)
	v_add_co_ci_u32_e32 v85, vcc_lo, s19, v85, vcc_lo
	global_load_b64 v[84:85], v[84:85], off
.LBB52_194:                             ;   in Loop: Header=BB52_125 Depth=1
	s_waitcnt vmcnt(0)
	v_and_b32_e32 v105, 0x7f800000, v84
	s_delay_alu instid0(VALU_DEP_1) | instskip(SKIP_1) | instid1(SALU_CYCLE_1)
	v_cmp_ne_u32_e32 vcc_lo, 0x7f800000, v105
                                        ; implicit-def: $vgpr105
	s_and_saveexec_b32 s81, vcc_lo
	s_xor_b32 s81, exec_lo, s81
; %bb.195:                              ;   in Loop: Header=BB52_125 Depth=1
	v_bfe_u32 v105, v84, 16, 1
	s_delay_alu instid0(VALU_DEP_1)
	v_add3_u32 v105, v84, v105, 0x7fff
; %bb.196:                              ;   in Loop: Header=BB52_125 Depth=1
	s_and_not1_saveexec_b32 s81, s81
; %bb.197:                              ;   in Loop: Header=BB52_125 Depth=1
	v_and_b32_e32 v105, 0xffff, v84
	v_or_b32_e32 v106, 0x10000, v84
	s_delay_alu instid0(VALU_DEP_2) | instskip(NEXT) | instid1(VALU_DEP_2)
	v_cmp_eq_u32_e32 vcc_lo, 0, v105
	v_cndmask_b32_e32 v105, v106, v84, vcc_lo
; %bb.198:                              ;   in Loop: Header=BB52_125 Depth=1
	s_or_b32 exec_lo, exec_lo, s81
	v_and_b32_e32 v84, 0x7f800000, v85
	s_delay_alu instid0(VALU_DEP_1) | instskip(SKIP_1) | instid1(SALU_CYCLE_1)
	v_cmp_ne_u32_e32 vcc_lo, 0x7f800000, v84
                                        ; implicit-def: $vgpr84
	s_and_saveexec_b32 s81, vcc_lo
	s_xor_b32 s81, exec_lo, s81
; %bb.199:                              ;   in Loop: Header=BB52_125 Depth=1
	v_bfe_u32 v84, v85, 16, 1
	s_delay_alu instid0(VALU_DEP_1)
	v_add3_u32 v84, v85, v84, 0x7fff
                                        ; implicit-def: $vgpr85
; %bb.200:                              ;   in Loop: Header=BB52_125 Depth=1
	s_and_not1_saveexec_b32 s81, s81
; %bb.201:                              ;   in Loop: Header=BB52_125 Depth=1
	v_and_b32_e32 v84, 0xffff, v85
	v_or_b32_e32 v106, 0x10000, v85
	s_delay_alu instid0(VALU_DEP_2) | instskip(NEXT) | instid1(VALU_DEP_2)
	v_cmp_eq_u32_e32 vcc_lo, 0, v84
	v_cndmask_b32_e32 v84, v106, v85, vcc_lo
; %bb.202:                              ;   in Loop: Header=BB52_125 Depth=1
	s_or_b32 exec_lo, exec_lo, s81
	s_delay_alu instid0(VALU_DEP_1)
	v_perm_b32 v105, v84, v105, 0x7060302
	v_dual_mov_b32 v85, 0 :: v_dual_mov_b32 v84, 0
	s_and_not1_b32 vcc_lo, exec_lo, s43
	ds_store_b32 v101, v105 offset:928
	s_cbranch_vccnz .LBB52_205
; %bb.203:                              ;   in Loop: Header=BB52_125 Depth=1
	ds_load_b32 v105, v104 offset:28
	v_dual_mov_b32 v84, 0 :: v_dual_mov_b32 v85, 0
	s_waitcnt lgkmcnt(0)
	v_cmp_gt_i32_e32 vcc_lo, 0, v105
	s_cbranch_vccnz .LBB52_205
; %bb.204:                              ;   in Loop: Header=BB52_125 Depth=1
	v_mul_lo_u32 v84, v105, s29
	s_delay_alu instid0(VALU_DEP_1) | instskip(NEXT) | instid1(VALU_DEP_1)
	v_add3_u32 v84, v84, s49, v81
	v_ashrrev_i32_e32 v85, 31, v84
	s_delay_alu instid0(VALU_DEP_1) | instskip(NEXT) | instid1(VALU_DEP_1)
	v_lshlrev_b64 v[84:85], 2, v[84:85]
	v_add_co_u32 v84, vcc_lo, s18, v84
	s_delay_alu instid0(VALU_DEP_2)
	v_add_co_ci_u32_e32 v85, vcc_lo, s19, v85, vcc_lo
	global_load_b64 v[84:85], v[84:85], off
.LBB52_205:                             ;   in Loop: Header=BB52_125 Depth=1
	s_waitcnt vmcnt(0)
	v_and_b32_e32 v105, 0x7f800000, v84
	s_delay_alu instid0(VALU_DEP_1) | instskip(SKIP_1) | instid1(SALU_CYCLE_1)
	v_cmp_ne_u32_e32 vcc_lo, 0x7f800000, v105
                                        ; implicit-def: $vgpr105
	s_and_saveexec_b32 s81, vcc_lo
	s_xor_b32 s81, exec_lo, s81
; %bb.206:                              ;   in Loop: Header=BB52_125 Depth=1
	v_bfe_u32 v105, v84, 16, 1
	s_delay_alu instid0(VALU_DEP_1)
	v_add3_u32 v105, v84, v105, 0x7fff
; %bb.207:                              ;   in Loop: Header=BB52_125 Depth=1
	s_and_not1_saveexec_b32 s81, s81
; %bb.208:                              ;   in Loop: Header=BB52_125 Depth=1
	v_and_b32_e32 v105, 0xffff, v84
	v_or_b32_e32 v106, 0x10000, v84
	s_delay_alu instid0(VALU_DEP_2) | instskip(NEXT) | instid1(VALU_DEP_2)
	v_cmp_eq_u32_e32 vcc_lo, 0, v105
	v_cndmask_b32_e32 v105, v106, v84, vcc_lo
; %bb.209:                              ;   in Loop: Header=BB52_125 Depth=1
	s_or_b32 exec_lo, exec_lo, s81
	v_and_b32_e32 v84, 0x7f800000, v85
	s_delay_alu instid0(VALU_DEP_1) | instskip(SKIP_1) | instid1(SALU_CYCLE_1)
	v_cmp_ne_u32_e32 vcc_lo, 0x7f800000, v84
                                        ; implicit-def: $vgpr84
	s_and_saveexec_b32 s81, vcc_lo
	s_xor_b32 s81, exec_lo, s81
; %bb.210:                              ;   in Loop: Header=BB52_125 Depth=1
	v_bfe_u32 v84, v85, 16, 1
	s_delay_alu instid0(VALU_DEP_1)
	v_add3_u32 v84, v85, v84, 0x7fff
                                        ; implicit-def: $vgpr85
; %bb.211:                              ;   in Loop: Header=BB52_125 Depth=1
	s_and_not1_saveexec_b32 s81, s81
; %bb.212:                              ;   in Loop: Header=BB52_125 Depth=1
	v_and_b32_e32 v84, 0xffff, v85
	v_or_b32_e32 v106, 0x10000, v85
	s_delay_alu instid0(VALU_DEP_2) | instskip(NEXT) | instid1(VALU_DEP_2)
	v_cmp_eq_u32_e32 vcc_lo, 0, v84
	v_cndmask_b32_e32 v84, v106, v85, vcc_lo
; %bb.213:                              ;   in Loop: Header=BB52_125 Depth=1
	s_or_b32 exec_lo, exec_lo, s81
	s_delay_alu instid0(VALU_DEP_1)
	v_perm_b32 v105, v84, v105, 0x7060302
	v_dual_mov_b32 v85, 0 :: v_dual_mov_b32 v84, 0
	s_and_not1_b32 vcc_lo, exec_lo, s46
	ds_store_b32 v101, v105 offset:1072
	s_cbranch_vccnz .LBB52_216
; %bb.214:                              ;   in Loop: Header=BB52_125 Depth=1
	ds_load_b32 v105, v104 offset:32
	v_dual_mov_b32 v84, 0 :: v_dual_mov_b32 v85, 0
	s_waitcnt lgkmcnt(0)
	v_cmp_gt_i32_e32 vcc_lo, 0, v105
	s_cbranch_vccnz .LBB52_216
; %bb.215:                              ;   in Loop: Header=BB52_125 Depth=1
	v_mul_lo_u32 v84, v105, s29
	s_delay_alu instid0(VALU_DEP_1) | instskip(NEXT) | instid1(VALU_DEP_1)
	v_add3_u32 v84, v84, s47, v81
	v_ashrrev_i32_e32 v85, 31, v84
	s_delay_alu instid0(VALU_DEP_1) | instskip(NEXT) | instid1(VALU_DEP_1)
	v_lshlrev_b64 v[84:85], 2, v[84:85]
	v_add_co_u32 v84, vcc_lo, s18, v84
	s_delay_alu instid0(VALU_DEP_2)
	v_add_co_ci_u32_e32 v85, vcc_lo, s19, v85, vcc_lo
	global_load_b64 v[84:85], v[84:85], off
.LBB52_216:                             ;   in Loop: Header=BB52_125 Depth=1
	s_waitcnt vmcnt(0)
	v_and_b32_e32 v105, 0x7f800000, v84
	s_delay_alu instid0(VALU_DEP_1) | instskip(SKIP_1) | instid1(SALU_CYCLE_1)
	v_cmp_ne_u32_e32 vcc_lo, 0x7f800000, v105
                                        ; implicit-def: $vgpr105
	s_and_saveexec_b32 s81, vcc_lo
	s_xor_b32 s81, exec_lo, s81
; %bb.217:                              ;   in Loop: Header=BB52_125 Depth=1
	v_bfe_u32 v105, v84, 16, 1
	s_delay_alu instid0(VALU_DEP_1)
	v_add3_u32 v105, v84, v105, 0x7fff
; %bb.218:                              ;   in Loop: Header=BB52_125 Depth=1
	s_and_not1_saveexec_b32 s81, s81
; %bb.219:                              ;   in Loop: Header=BB52_125 Depth=1
	v_and_b32_e32 v105, 0xffff, v84
	v_or_b32_e32 v106, 0x10000, v84
	s_delay_alu instid0(VALU_DEP_2) | instskip(NEXT) | instid1(VALU_DEP_2)
	v_cmp_eq_u32_e32 vcc_lo, 0, v105
	v_cndmask_b32_e32 v105, v106, v84, vcc_lo
; %bb.220:                              ;   in Loop: Header=BB52_125 Depth=1
	s_or_b32 exec_lo, exec_lo, s81
	v_and_b32_e32 v84, 0x7f800000, v85
	s_delay_alu instid0(VALU_DEP_1) | instskip(SKIP_1) | instid1(SALU_CYCLE_1)
	v_cmp_ne_u32_e32 vcc_lo, 0x7f800000, v84
                                        ; implicit-def: $vgpr84
	s_and_saveexec_b32 s81, vcc_lo
	s_xor_b32 s81, exec_lo, s81
; %bb.221:                              ;   in Loop: Header=BB52_125 Depth=1
	v_bfe_u32 v84, v85, 16, 1
	s_delay_alu instid0(VALU_DEP_1)
	v_add3_u32 v84, v85, v84, 0x7fff
                                        ; implicit-def: $vgpr85
; %bb.222:                              ;   in Loop: Header=BB52_125 Depth=1
	s_and_not1_saveexec_b32 s81, s81
; %bb.223:                              ;   in Loop: Header=BB52_125 Depth=1
	v_and_b32_e32 v84, 0xffff, v85
	v_or_b32_e32 v106, 0x10000, v85
	s_delay_alu instid0(VALU_DEP_2) | instskip(NEXT) | instid1(VALU_DEP_2)
	v_cmp_eq_u32_e32 vcc_lo, 0, v84
	v_cndmask_b32_e32 v84, v106, v85, vcc_lo
; %bb.224:                              ;   in Loop: Header=BB52_125 Depth=1
	s_or_b32 exec_lo, exec_lo, s81
	s_delay_alu instid0(VALU_DEP_1)
	v_perm_b32 v105, v84, v105, 0x7060302
	v_dual_mov_b32 v85, 0 :: v_dual_mov_b32 v84, 0
	s_and_not1_b32 vcc_lo, exec_lo, s48
	ds_store_b32 v101, v105 offset:1216
	s_cbranch_vccnz .LBB52_227
; %bb.225:                              ;   in Loop: Header=BB52_125 Depth=1
	ds_load_b32 v105, v104 offset:36
	v_dual_mov_b32 v84, 0 :: v_dual_mov_b32 v85, 0
	s_waitcnt lgkmcnt(0)
	v_cmp_gt_i32_e32 vcc_lo, 0, v105
	s_cbranch_vccnz .LBB52_227
; %bb.226:                              ;   in Loop: Header=BB52_125 Depth=1
	v_mul_lo_u32 v84, v105, s29
	s_delay_alu instid0(VALU_DEP_1) | instskip(NEXT) | instid1(VALU_DEP_1)
	v_add3_u32 v84, v84, s17, v81
	v_ashrrev_i32_e32 v85, 31, v84
	s_delay_alu instid0(VALU_DEP_1) | instskip(NEXT) | instid1(VALU_DEP_1)
	v_lshlrev_b64 v[84:85], 2, v[84:85]
	v_add_co_u32 v84, vcc_lo, s18, v84
	s_delay_alu instid0(VALU_DEP_2)
	v_add_co_ci_u32_e32 v85, vcc_lo, s19, v85, vcc_lo
	global_load_b64 v[84:85], v[84:85], off
.LBB52_227:                             ;   in Loop: Header=BB52_125 Depth=1
	s_waitcnt vmcnt(0)
	v_and_b32_e32 v105, 0x7f800000, v84
	s_delay_alu instid0(VALU_DEP_1) | instskip(SKIP_1) | instid1(SALU_CYCLE_1)
	v_cmp_ne_u32_e32 vcc_lo, 0x7f800000, v105
                                        ; implicit-def: $vgpr105
	s_and_saveexec_b32 s81, vcc_lo
	s_xor_b32 s81, exec_lo, s81
; %bb.228:                              ;   in Loop: Header=BB52_125 Depth=1
	v_bfe_u32 v105, v84, 16, 1
	s_delay_alu instid0(VALU_DEP_1)
	v_add3_u32 v105, v84, v105, 0x7fff
; %bb.229:                              ;   in Loop: Header=BB52_125 Depth=1
	s_and_not1_saveexec_b32 s81, s81
; %bb.230:                              ;   in Loop: Header=BB52_125 Depth=1
	v_and_b32_e32 v105, 0xffff, v84
	v_or_b32_e32 v106, 0x10000, v84
	s_delay_alu instid0(VALU_DEP_2) | instskip(NEXT) | instid1(VALU_DEP_2)
	v_cmp_eq_u32_e32 vcc_lo, 0, v105
	v_cndmask_b32_e32 v105, v106, v84, vcc_lo
; %bb.231:                              ;   in Loop: Header=BB52_125 Depth=1
	s_or_b32 exec_lo, exec_lo, s81
	v_and_b32_e32 v84, 0x7f800000, v85
	s_delay_alu instid0(VALU_DEP_1) | instskip(SKIP_1) | instid1(SALU_CYCLE_1)
	v_cmp_ne_u32_e32 vcc_lo, 0x7f800000, v84
                                        ; implicit-def: $vgpr84
	s_and_saveexec_b32 s81, vcc_lo
	s_xor_b32 s81, exec_lo, s81
; %bb.232:                              ;   in Loop: Header=BB52_125 Depth=1
	v_bfe_u32 v84, v85, 16, 1
	s_delay_alu instid0(VALU_DEP_1)
	v_add3_u32 v84, v85, v84, 0x7fff
                                        ; implicit-def: $vgpr85
; %bb.233:                              ;   in Loop: Header=BB52_125 Depth=1
	s_and_not1_saveexec_b32 s81, s81
; %bb.234:                              ;   in Loop: Header=BB52_125 Depth=1
	v_and_b32_e32 v84, 0xffff, v85
	v_or_b32_e32 v106, 0x10000, v85
	s_delay_alu instid0(VALU_DEP_2) | instskip(NEXT) | instid1(VALU_DEP_2)
	v_cmp_eq_u32_e32 vcc_lo, 0, v84
	v_cndmask_b32_e32 v84, v106, v85, vcc_lo
; %bb.235:                              ;   in Loop: Header=BB52_125 Depth=1
	s_or_b32 exec_lo, exec_lo, s81
	s_delay_alu instid0(VALU_DEP_1)
	v_perm_b32 v105, v84, v105, 0x7060302
	v_dual_mov_b32 v85, 0 :: v_dual_mov_b32 v84, 0
	s_and_not1_b32 vcc_lo, exec_lo, s21
	ds_store_b32 v101, v105 offset:1360
	s_cbranch_vccnz .LBB52_238
; %bb.236:                              ;   in Loop: Header=BB52_125 Depth=1
	ds_load_b32 v105, v104 offset:40
	v_dual_mov_b32 v84, 0 :: v_dual_mov_b32 v85, 0
	s_waitcnt lgkmcnt(0)
	v_cmp_gt_i32_e32 vcc_lo, 0, v105
	s_cbranch_vccnz .LBB52_238
; %bb.237:                              ;   in Loop: Header=BB52_125 Depth=1
	v_mul_lo_u32 v84, v105, s29
	s_delay_alu instid0(VALU_DEP_1) | instskip(NEXT) | instid1(VALU_DEP_1)
	v_add3_u32 v84, v84, s16, v81
	v_ashrrev_i32_e32 v85, 31, v84
	s_delay_alu instid0(VALU_DEP_1) | instskip(NEXT) | instid1(VALU_DEP_1)
	v_lshlrev_b64 v[84:85], 2, v[84:85]
	v_add_co_u32 v84, vcc_lo, s18, v84
	s_delay_alu instid0(VALU_DEP_2)
	v_add_co_ci_u32_e32 v85, vcc_lo, s19, v85, vcc_lo
	global_load_b64 v[84:85], v[84:85], off
.LBB52_238:                             ;   in Loop: Header=BB52_125 Depth=1
	s_waitcnt vmcnt(0)
	v_and_b32_e32 v105, 0x7f800000, v84
	s_delay_alu instid0(VALU_DEP_1) | instskip(SKIP_1) | instid1(SALU_CYCLE_1)
	v_cmp_ne_u32_e32 vcc_lo, 0x7f800000, v105
                                        ; implicit-def: $vgpr105
	s_and_saveexec_b32 s81, vcc_lo
	s_xor_b32 s81, exec_lo, s81
; %bb.239:                              ;   in Loop: Header=BB52_125 Depth=1
	v_bfe_u32 v105, v84, 16, 1
	s_delay_alu instid0(VALU_DEP_1)
	v_add3_u32 v105, v84, v105, 0x7fff
; %bb.240:                              ;   in Loop: Header=BB52_125 Depth=1
	s_and_not1_saveexec_b32 s81, s81
; %bb.241:                              ;   in Loop: Header=BB52_125 Depth=1
	v_and_b32_e32 v105, 0xffff, v84
	v_or_b32_e32 v106, 0x10000, v84
	s_delay_alu instid0(VALU_DEP_2) | instskip(NEXT) | instid1(VALU_DEP_2)
	v_cmp_eq_u32_e32 vcc_lo, 0, v105
	v_cndmask_b32_e32 v105, v106, v84, vcc_lo
; %bb.242:                              ;   in Loop: Header=BB52_125 Depth=1
	s_or_b32 exec_lo, exec_lo, s81
	v_and_b32_e32 v84, 0x7f800000, v85
	s_delay_alu instid0(VALU_DEP_1) | instskip(SKIP_1) | instid1(SALU_CYCLE_1)
	v_cmp_ne_u32_e32 vcc_lo, 0x7f800000, v84
                                        ; implicit-def: $vgpr84
	s_and_saveexec_b32 s81, vcc_lo
	s_xor_b32 s81, exec_lo, s81
; %bb.243:                              ;   in Loop: Header=BB52_125 Depth=1
	v_bfe_u32 v84, v85, 16, 1
	s_delay_alu instid0(VALU_DEP_1)
	v_add3_u32 v84, v85, v84, 0x7fff
                                        ; implicit-def: $vgpr85
; %bb.244:                              ;   in Loop: Header=BB52_125 Depth=1
	s_and_not1_saveexec_b32 s81, s81
	s_cbranch_execz .LBB52_124
; %bb.245:                              ;   in Loop: Header=BB52_125 Depth=1
	v_and_b32_e32 v84, 0xffff, v85
	v_or_b32_e32 v106, 0x10000, v85
	s_delay_alu instid0(VALU_DEP_2) | instskip(NEXT) | instid1(VALU_DEP_2)
	v_cmp_eq_u32_e32 vcc_lo, 0, v84
	v_cndmask_b32_e32 v84, v106, v85, vcc_lo
	s_branch .LBB52_124
.LBB52_246:
	s_or_b32 exec_lo, exec_lo, s23
.LBB52_247:
	s_delay_alu instid0(SALU_CYCLE_1) | instskip(SKIP_4) | instid1(VALU_DEP_3)
	s_or_b32 exec_lo, exec_lo, s14
	v_lshrrev_b32_e32 v16, 2, v80
	v_add_nc_u32_e32 v17, 0x100, v100
	v_lshlrev_b32_e32 v18, 2, v98
	s_mov_b32 s0, exec_lo
	v_and_b32_e32 v19, 0xfc, v16
	v_lshl_add_u32 v16, v80, 2, 0x100
	s_delay_alu instid0(VALU_DEP_2) | instskip(NEXT) | instid1(VALU_DEP_2)
	v_add3_u32 v17, v17, v19, v18
	v_mad_u32_u24 v18, 0x90, v86, v16
	ds_store_2addr_b32 v17, v8, v9 offset0:16 offset1:18
	ds_store_2addr_b32 v17, v10, v11 offset0:20 offset1:22
	;; [unrolled: 1-line block ×8, first 2 shown]
	v_mov_b32_e32 v3, -1
	ds_load_b32 v1, v18 offset:64
	v_cmpx_gt_u32_e32 11, v86
	s_cbranch_execz .LBB52_249
; %bb.248:
	ds_load_b32 v3, v87
.LBB52_249:
	s_or_b32 exec_lo, exec_lo, s0
	s_mul_hi_i32 s1, s38, s15
	s_mul_i32 s0, s38, s15
	s_mul_hi_i32 s15, s33, s25
	s_lshl_b64 s[0:1], s[0:1], 2
	s_mul_i32 s14, s33, s25
	s_waitcnt lgkmcnt(0)
	v_cmp_lt_i32_e32 vcc_lo, -1, v3
	s_add_u32 s16, s26, s0
	v_mul_u32_u24_e32 v2, 0x90, v86
	s_addc_u32 s17, s27, s1
	s_lshl_b64 s[0:1], s[14:15], 2
	v_add_nc_u32_e32 v0, s13, v80
	s_add_u32 s0, s16, s0
	s_addc_u32 s1, s17, s1
	s_and_b32 s13, vcc_lo, s2
	s_delay_alu instid0(SALU_CYCLE_1)
	s_and_saveexec_b32 s2, s13
	s_cbranch_execz .LBB52_251
; %bb.250:
	v_mul_lo_u32 v3, v3, s30
	v_mul_lo_u32 v5, v86, s25
	v_dual_mov_b32 v4, 0 :: v_dual_add_f32 v1, 0, v1
	s_delay_alu instid0(VALU_DEP_2) | instskip(NEXT) | instid1(VALU_DEP_1)
	v_add3_u32 v3, v0, v5, v3
	v_lshlrev_b64 v[3:4], 2, v[3:4]
	s_delay_alu instid0(VALU_DEP_1) | instskip(NEXT) | instid1(VALU_DEP_2)
	v_add_co_u32 v3, vcc_lo, s0, v3
	v_add_co_ci_u32_e32 v4, vcc_lo, s1, v4, vcc_lo
	global_store_b32 v[3:4], v1, off
.LBB52_251:
	s_or_b32 exec_lo, exec_lo, s2
	v_add_nc_u32_e32 v1, v2, v16
	v_mov_b32_e32 v3, -1
	s_mov_b32 s2, exec_lo
	ds_load_b32 v2, v1 offset:208
	v_cmpx_gt_u32_e32 10, v86
	s_cbranch_execz .LBB52_253
; %bb.252:
	ds_load_b32 v3, v87 offset:4
.LBB52_253:
	s_or_b32 exec_lo, exec_lo, s2
	s_waitcnt lgkmcnt(0)
	v_cmp_lt_i32_e32 vcc_lo, -1, v3
	s_and_b32 s3, vcc_lo, s3
	s_delay_alu instid0(SALU_CYCLE_1)
	s_and_saveexec_b32 s2, s3
	s_cbranch_execz .LBB52_255
; %bb.254:
	v_mul_lo_u32 v3, v3, s30
	v_mul_lo_u32 v5, v88, s25
	v_mov_b32_e32 v4, 0
	s_delay_alu instid0(VALU_DEP_2) | instskip(SKIP_1) | instid1(VALU_DEP_2)
	v_add3_u32 v3, v0, v5, v3
	v_add_f32_e32 v5, 0, v2
	v_lshlrev_b64 v[3:4], 2, v[3:4]
	s_delay_alu instid0(VALU_DEP_1) | instskip(NEXT) | instid1(VALU_DEP_2)
	v_add_co_u32 v2, vcc_lo, s0, v3
	v_add_co_ci_u32_e32 v3, vcc_lo, s1, v4, vcc_lo
	global_store_b32 v[2:3], v5, off
.LBB52_255:
	s_or_b32 exec_lo, exec_lo, s2
	ds_load_b32 v2, v1 offset:352
	v_mov_b32_e32 v3, -1
	s_mov_b32 s2, exec_lo
	v_cmpx_gt_u32_e32 9, v86
	s_cbranch_execz .LBB52_257
; %bb.256:
	ds_load_b32 v3, v87 offset:8
.LBB52_257:
	s_or_b32 exec_lo, exec_lo, s2
	s_waitcnt lgkmcnt(0)
	v_cmp_lt_i32_e32 vcc_lo, -1, v3
	s_and_b32 s3, vcc_lo, s4
	s_delay_alu instid0(SALU_CYCLE_1)
	s_and_saveexec_b32 s2, s3
	s_cbranch_execz .LBB52_259
; %bb.258:
	v_mul_lo_u32 v3, v3, s30
	v_mul_lo_u32 v5, v89, s25
	v_mov_b32_e32 v4, 0
	s_delay_alu instid0(VALU_DEP_2) | instskip(SKIP_1) | instid1(VALU_DEP_2)
	v_add3_u32 v3, v0, v5, v3
	v_add_f32_e32 v5, 0, v2
	v_lshlrev_b64 v[3:4], 2, v[3:4]
	s_delay_alu instid0(VALU_DEP_1) | instskip(NEXT) | instid1(VALU_DEP_2)
	v_add_co_u32 v2, vcc_lo, s0, v3
	v_add_co_ci_u32_e32 v3, vcc_lo, s1, v4, vcc_lo
	global_store_b32 v[2:3], v5, off
.LBB52_259:
	s_or_b32 exec_lo, exec_lo, s2
	ds_load_b32 v2, v1 offset:496
	v_mov_b32_e32 v3, -1
	s_mov_b32 s2, exec_lo
	;; [unrolled: 29-line block ×9, first 2 shown]
	v_cmpx_eq_u32_e32 0, v86
	s_cbranch_execz .LBB52_289
; %bb.288:
	v_mov_b32_e32 v2, 0x100
	ds_load_b32 v2, v2 offset:40
.LBB52_289:
	s_or_b32 exec_lo, exec_lo, s2
	s_waitcnt lgkmcnt(0)
	v_cmp_lt_i32_e32 vcc_lo, -1, v2
	s_and_b32 s2, vcc_lo, s12
	s_delay_alu instid0(SALU_CYCLE_1)
	s_and_b32 exec_lo, exec_lo, s2
	s_cbranch_execz .LBB52_291
; %bb.290:
	v_mul_lo_u32 v2, v2, s30
	v_mul_lo_u32 v4, v97, s25
	v_mov_b32_e32 v3, 0
	s_delay_alu instid0(VALU_DEP_2) | instskip(SKIP_1) | instid1(VALU_DEP_2)
	v_add3_u32 v2, v0, v4, v2
	v_add_f32_e32 v4, 0, v1
	v_lshlrev_b64 v[2:3], 2, v[2:3]
	s_delay_alu instid0(VALU_DEP_1) | instskip(NEXT) | instid1(VALU_DEP_2)
	v_add_co_u32 v0, vcc_lo, s0, v2
	v_add_co_ci_u32_e32 v1, vcc_lo, s1, v3, vcc_lo
	global_store_b32 v[0:1], v4, off
.LBB52_291:
	s_nop 0
	s_sendmsg sendmsg(MSG_DEALLOC_VGPRS)
	s_endpgm
	.section	.rodata,"a",@progbits
	.p2align	6, 0x0
	.amdhsa_kernel _ZL9mul_mat_fI15__hip_bfloat162Li32ELi11ELi1ELb1EEvPKT_PKfPKiPfiiiiiiiiiiiiiiii
		.amdhsa_group_segment_fixed_size 256
		.amdhsa_private_segment_fixed_size 0
		.amdhsa_kernarg_size 352
		.amdhsa_user_sgpr_count 13
		.amdhsa_user_sgpr_dispatch_ptr 0
		.amdhsa_user_sgpr_queue_ptr 0
		.amdhsa_user_sgpr_kernarg_segment_ptr 1
		.amdhsa_user_sgpr_dispatch_id 0
		.amdhsa_user_sgpr_private_segment_size 0
		.amdhsa_wavefront_size32 1
		.amdhsa_uses_dynamic_stack 0
		.amdhsa_enable_private_segment 0
		.amdhsa_system_sgpr_workgroup_id_x 1
		.amdhsa_system_sgpr_workgroup_id_y 1
		.amdhsa_system_sgpr_workgroup_id_z 1
		.amdhsa_system_sgpr_workgroup_info 0
		.amdhsa_system_vgpr_workitem_id 2
		.amdhsa_next_free_vgpr 121
		.amdhsa_next_free_sgpr 82
		.amdhsa_reserve_vcc 1
		.amdhsa_float_round_mode_32 0
		.amdhsa_float_round_mode_16_64 0
		.amdhsa_float_denorm_mode_32 3
		.amdhsa_float_denorm_mode_16_64 3
		.amdhsa_dx10_clamp 1
		.amdhsa_ieee_mode 1
		.amdhsa_fp16_overflow 0
		.amdhsa_workgroup_processor_mode 1
		.amdhsa_memory_ordered 1
		.amdhsa_forward_progress 0
		.amdhsa_shared_vgpr_count 0
		.amdhsa_exception_fp_ieee_invalid_op 0
		.amdhsa_exception_fp_denorm_src 0
		.amdhsa_exception_fp_ieee_div_zero 0
		.amdhsa_exception_fp_ieee_overflow 0
		.amdhsa_exception_fp_ieee_underflow 0
		.amdhsa_exception_fp_ieee_inexact 0
		.amdhsa_exception_int_div_zero 0
	.end_amdhsa_kernel
	.section	.text._ZL9mul_mat_fI15__hip_bfloat162Li32ELi11ELi1ELb1EEvPKT_PKfPKiPfiiiiiiiiiiiiiiii,"axG",@progbits,_ZL9mul_mat_fI15__hip_bfloat162Li32ELi11ELi1ELb1EEvPKT_PKfPKiPfiiiiiiiiiiiiiiii,comdat
.Lfunc_end52:
	.size	_ZL9mul_mat_fI15__hip_bfloat162Li32ELi11ELi1ELb1EEvPKT_PKfPKiPfiiiiiiiiiiiiiiii, .Lfunc_end52-_ZL9mul_mat_fI15__hip_bfloat162Li32ELi11ELi1ELb1EEvPKT_PKfPKiPfiiiiiiiiiiiiiiii
                                        ; -- End function
	.section	.AMDGPU.csdata,"",@progbits
; Kernel info:
; codeLenInByte = 11916
; NumSgprs: 84
; NumVgprs: 121
; ScratchSize: 0
; MemoryBound: 0
; FloatMode: 240
; IeeeMode: 1
; LDSByteSize: 256 bytes/workgroup (compile time only)
; SGPRBlocks: 10
; VGPRBlocks: 15
; NumSGPRsForWavesPerEU: 84
; NumVGPRsForWavesPerEU: 121
; Occupancy: 10
; WaveLimiterHint : 0
; COMPUTE_PGM_RSRC2:SCRATCH_EN: 0
; COMPUTE_PGM_RSRC2:USER_SGPR: 13
; COMPUTE_PGM_RSRC2:TRAP_HANDLER: 0
; COMPUTE_PGM_RSRC2:TGID_X_EN: 1
; COMPUTE_PGM_RSRC2:TGID_Y_EN: 1
; COMPUTE_PGM_RSRC2:TGID_Z_EN: 1
; COMPUTE_PGM_RSRC2:TIDIG_COMP_CNT: 2
	.section	.text._ZL9mul_mat_fI15__hip_bfloat162Li32ELi11ELi1ELb0EEvPKT_PKfPKiPfiiiiiiiiiiiiiiii,"axG",@progbits,_ZL9mul_mat_fI15__hip_bfloat162Li32ELi11ELi1ELb0EEvPKT_PKfPKiPfiiiiiiiiiiiiiiii,comdat
	.globl	_ZL9mul_mat_fI15__hip_bfloat162Li32ELi11ELi1ELb0EEvPKT_PKfPKiPfiiiiiiiiiiiiiiii ; -- Begin function _ZL9mul_mat_fI15__hip_bfloat162Li32ELi11ELi1ELb0EEvPKT_PKfPKiPfiiiiiiiiiiiiiiii
	.p2align	8
	.type	_ZL9mul_mat_fI15__hip_bfloat162Li32ELi11ELi1ELb0EEvPKT_PKfPKiPfiiiiiiiiiiiiiiii,@function
_ZL9mul_mat_fI15__hip_bfloat162Li32ELi11ELi1ELb0EEvPKT_PKfPKiPfiiiiiiiiiiiiiiii: ; @_ZL9mul_mat_fI15__hip_bfloat162Li32ELi11ELi1ELb0EEvPKT_PKfPKiPfiiiiiiiiiiiiiiii
; %bb.0:
	s_clause 0x2
	s_load_b256 s[4:11], s[0:1], 0x40
	s_load_b32 s22, s[0:1], 0x20
	s_load_b128 s[16:19], s[0:1], 0x2c
	v_bfe_u32 v87, v0, 10, 10
	v_and_b32_e32 v86, 0x3ff, v0
	s_mov_b32 s12, 0
	s_ashr_i32 s24, s15, 31
	s_waitcnt lgkmcnt(0)
	s_mov_b32 s19, exec_lo
                                        ; implicit-def: $vgpr91
	v_and_b32_e32 v16, 15, v86
	s_abs_i32 s2, s4
	s_abs_i32 s23, s8
	v_cvt_f32_u32_e32 v1, s2
	v_cvt_f32_u32_e32 v2, s23
	s_delay_alu instid0(VALU_DEP_2) | instskip(NEXT) | instid1(VALU_DEP_1)
	v_rcp_iflag_f32_e32 v1, v1
	v_rcp_iflag_f32_e32 v2, v2
	v_lshlrev_b32_e32 v88, 5, v87
	s_waitcnt_depctr 0xfff
	v_dual_mul_f32 v0, 0x4f7ffffe, v1 :: v_dual_mul_f32 v1, 0x4f7ffffe, v2
	v_or_b32_e32 v90, v88, v86
	s_delay_alu instid0(VALU_DEP_2) | instskip(NEXT) | instid1(VALU_DEP_3)
	v_cvt_u32_f32_e32 v0, v0
	v_cvt_u32_f32_e32 v1, v1
	s_delay_alu instid0(VALU_DEP_2) | instskip(NEXT) | instid1(VALU_DEP_2)
	v_readfirstlane_b32 s25, v0
	v_readfirstlane_b32 s3, v1
	v_cmpx_le_i32_e64 s22, v90
	s_xor_b32 s19, exec_lo, s19
; %bb.1:
	v_mul_u32_u24_e32 v91, 0x90, v16
                                        ; implicit-def: $vgpr90
                                        ; implicit-def: $vgpr16
; %bb.2:
	s_or_saveexec_b32 s19, s19
	s_load_b64 s[20:21], s[0:1], 0x18
	v_dual_mov_b32 v15, s12 :: v_dual_mov_b32 v14, s12
	v_dual_mov_b32 v12, s12 :: v_dual_lshlrev_b32 v89, 2, v86
	v_dual_mov_b32 v13, s12 :: v_dual_mov_b32 v10, s12
	v_dual_mov_b32 v11, s12 :: v_dual_mov_b32 v8, s12
	v_dual_mov_b32 v9, s12 :: v_dual_mov_b32 v6, s12
	v_dual_mov_b32 v7, s12 :: v_dual_mov_b32 v4, s12
	v_dual_mov_b32 v5, s12 :: v_dual_mov_b32 v2, s12
	v_dual_mov_b32 v3, s12 :: v_dual_mov_b32 v0, s12
	v_mov_b32_e32 v1, s12
	s_lshl_b32 s12, s13, 5
	s_xor_b32 exec_lo, exec_lo, s19
	s_cbranch_execz .LBB53_94
; %bb.3:
	s_sub_i32 s13, 0, s2
	s_sub_i32 s26, 0, s23
	s_mul_i32 s13, s13, s25
	s_mul_i32 s26, s26, s3
	s_mul_hi_u32 s13, s25, s13
	s_mul_hi_u32 s26, s3, s26
	s_abs_i32 s27, s14
	s_add_i32 s25, s25, s13
	s_add_i32 s26, s3, s26
	s_mul_hi_u32 s3, s27, s25
	s_ashr_i32 s25, s14, 31
	s_ashr_i32 s4, s4, 31
	s_mul_i32 s28, s3, s2
	s_xor_b32 s4, s25, s4
	s_sub_i32 s25, s27, s28
	s_abs_i32 s13, s15
	s_ashr_i32 s8, s8, 31
	s_add_i32 s27, s3, 1
	s_sub_i32 s28, s25, s2
	s_cmp_ge_u32 s25, s2
	s_mul_hi_u32 s26, s13, s26
	s_cselect_b32 s3, s27, s3
	s_cselect_b32 s25, s28, s25
	s_add_i32 s27, s3, 1
	s_cmp_ge_u32 s25, s2
	s_mul_i32 s28, s14, s6
	s_cselect_b32 s25, s27, s3
	s_load_b128 s[0:3], s[0:1], 0x0
	s_xor_b32 s25, s25, s4
	s_xor_b32 s8, s24, s8
	s_sub_i32 s4, s25, s4
	s_mul_i32 s25, s26, s23
	s_add_i32 s24, s26, 1
	s_sub_i32 s13, s13, s25
	s_mul_i32 s4, s4, s5
	s_sub_i32 s25, s13, s23
	s_cmp_ge_u32 s13, s23
	s_mul_hi_i32 s27, s10, s15
	s_cselect_b32 s24, s24, s26
	s_cselect_b32 s13, s25, s13
	s_add_i32 s25, s24, 1
	s_cmp_ge_u32 s13, s23
	s_mul_i32 s26, s10, s15
	s_cselect_b32 s13, s25, s24
	s_ashr_i32 s5, s4, 31
	s_xor_b32 s13, s13, s8
	v_mad_u32_u24 v0, 0x900, v87, 0
	s_sub_i32 s8, s13, s8
	v_mul_u32_u24_e32 v91, 0x90, v16
	s_mul_hi_i32 s25, s8, s9
	s_mul_i32 s24, s8, s9
	s_mul_i32 s8, s12, s16
	s_lshl_b64 s[24:25], s[24:25], 2
	v_lshlrev_b32_e32 v1, 7, v87
	s_waitcnt lgkmcnt(0)
	s_add_u32 s13, s0, s24
	s_addc_u32 s23, s1, s25
	s_ashr_i32 s9, s8, 31
	s_lshl_b64 s[4:5], s[4:5], 2
	s_lshl_b64 s[8:9], s[8:9], 2
	v_dual_mov_b32 v93, 0 :: v_dual_add_nc_u32 v92, v0, v89
	s_add_u32 s30, s4, s8
	s_addc_u32 s31, s5, s9
	s_add_u32 s6, s30, s13
	s_addc_u32 s8, s31, s23
	s_ashr_i32 s29, s28, 31
	s_lshl_b64 s[4:5], s[26:27], 2
	s_lshl_b64 s[26:27], s[28:29], 2
	v_add_nc_u32_e32 v94, v0, v91
	s_add_u32 s13, s2, s26
	s_addc_u32 s23, s3, s27
	s_add_u32 s9, s13, s4
	s_addc_u32 s10, s23, s5
	s_ashr_i32 s3, s16, 31
	s_mov_b32 s2, s16
	s_ashr_i32 s27, s17, 31
	s_lshl_b64 s[2:3], s[2:3], 2
	s_add_u32 s24, s30, s24
	s_addc_u32 s25, s31, s25
	v_mov_b32_e32 v0, 0
	v_add_co_u32 v1, s24, s24, v1
	s_delay_alu instid0(VALU_DEP_1) | instskip(SKIP_1) | instid1(VALU_DEP_3)
	v_add_co_ci_u32_e64 v2, null, s25, 0, s24
	v_lshlrev_b32_e32 v3, 8, v87
	v_add_co_u32 v1, vcc_lo, v1, v89
	s_delay_alu instid0(VALU_DEP_3) | instskip(NEXT) | instid1(VALU_DEP_3)
	v_add_co_ci_u32_e32 v2, vcc_lo, 0, v2, vcc_lo
	v_add_co_u32 v3, s4, s4, v3
	v_lshlrev_b32_e32 v5, 3, v86
	v_add_co_ci_u32_e64 v4, null, s5, 0, s4
	v_add_co_u32 v80, vcc_lo, s0, v1
	v_add_co_ci_u32_e32 v81, vcc_lo, s1, v2, vcc_lo
	s_delay_alu instid0(VALU_DEP_4) | instskip(NEXT) | instid1(VALU_DEP_4)
	v_add_co_u32 v1, vcc_lo, v3, v5
	v_add_co_ci_u32_e32 v2, vcc_lo, 0, v4, vcc_lo
	v_mov_b32_e32 v4, v93
	s_delay_alu instid0(VALU_DEP_3) | instskip(NEXT) | instid1(VALU_DEP_3)
	v_add_co_u32 v82, vcc_lo, s13, v1
	v_add_co_ci_u32_e32 v83, vcc_lo, s23, v2, vcc_lo
	v_mov_b32_e32 v1, v93
	v_mov_b32_e32 v2, v93
	v_dual_mov_b32 v3, v93 :: v_dual_mov_b32 v8, 0
	v_mov_b32_e32 v5, v93
	v_mov_b32_e32 v6, v93
	;; [unrolled: 1-line block ×10, first 2 shown]
	s_mov_b32 s26, s17
	s_mul_i32 s1, s16, 31
	s_lshl_b64 s[4:5], s[26:27], 3
	s_lshl_b32 s13, s17, 1
	s_mul_i32 s23, s17, 3
	s_lshl_b32 s24, s17, 2
	s_mul_i32 s25, s17, 5
	s_mul_i32 s26, s17, 6
	;; [unrolled: 1-line block ×3, first 2 shown]
	s_lshl_b32 s28, s17, 3
	s_mul_i32 s29, s17, 9
	s_mul_i32 s17, s17, 10
	s_lshl_b32 s30, s16, 1
	s_mul_i32 s31, s16, 3
	s_lshl_b32 s33, s16, 2
	s_mul_i32 s34, s16, 5
	s_mul_i32 s35, s16, 6
	;; [unrolled: 1-line block ×3, first 2 shown]
	s_lshl_b32 s37, s16, 3
	s_mul_i32 s38, s16, 9
	s_mul_i32 s39, s16, 10
	;; [unrolled: 1-line block ×7, first 2 shown]
	s_lshl_b32 s45, s16, 4
	s_mul_i32 s46, s16, 17
	s_mul_i32 s47, s16, 18
	;; [unrolled: 1-line block ×14, first 2 shown]
	s_mov_b32 s16, 0
	s_branch .LBB53_5
.LBB53_4:                               ;   in Loop: Header=BB53_5 Depth=1
	s_or_b32 exec_lo, exec_lo, s0
	s_delay_alu instid0(VALU_DEP_1)
	v_perm_b32 v84, v96, v95, 0x7060302
	v_add_nc_u32_e32 v85, 0x400, v92
	v_add_nc_u32_e32 v95, 0x600, v92
	;; [unrolled: 1-line block ×3, first 2 shown]
	v_add_co_u32 v80, vcc_lo, 0x80, v80
	ds_store_2addr_b32 v85, v84, v93 offset0:104 offset1:140
	ds_store_2addr_b32 v85, v93, v93 offset0:176 offset1:212
	;; [unrolled: 1-line block ×3, first 2 shown]
	ds_load_b128 v[95:98], v94
	ds_load_b128 v[99:102], v94 offset:16
	ds_load_b128 v[103:106], v94 offset:32
	;; [unrolled: 1-line block ×5, first 2 shown]
	v_add_co_ci_u32_e32 v81, vcc_lo, 0, v81, vcc_lo
	v_cmp_le_i32_e32 vcc_lo, s22, v90
	v_add_co_u32 v82, s0, 0x100, v82
	s_delay_alu instid0(VALU_DEP_1)
	v_add_co_ci_u32_e64 v83, s0, 0, v83, s0
	s_or_b32 s16, vcc_lo, s16
	s_waitcnt lgkmcnt(4)
	v_wmma_f32_16x16x16_bf16 v[8:15], v[56:63], v[95:102], v[8:15]
	ds_load_b128 v[56:59], v94 offset:96
	ds_load_b128 v[60:63], v94 offset:112
	v_wmma_f32_16x16x16_bf16 v[0:7], v[72:79], v[95:102], v[0:7]
	s_waitcnt lgkmcnt(4)
	v_wmma_f32_16x16x16_bf16 v[8:15], v[40:47], v[103:110], v[8:15]
	s_delay_alu instid0(VALU_DEP_2) | instskip(SKIP_1) | instid1(VALU_DEP_2)
	v_wmma_f32_16x16x16_bf16 v[0:7], v[64:71], v[103:110], v[0:7]
	s_waitcnt lgkmcnt(2)
	v_wmma_f32_16x16x16_bf16 v[8:15], v[32:39], v[111:118], v[8:15]
	s_delay_alu instid0(VALU_DEP_2) | instskip(SKIP_1) | instid1(VALU_DEP_2)
	v_wmma_f32_16x16x16_bf16 v[0:7], v[48:55], v[111:118], v[0:7]
	s_waitcnt lgkmcnt(0)
	v_wmma_f32_16x16x16_bf16 v[8:15], v[16:23], v[56:63], v[8:15]
	s_delay_alu instid0(VALU_DEP_2)
	v_wmma_f32_16x16x16_bf16 v[0:7], v[24:31], v[56:63], v[0:7]
	s_and_not1_b32 exec_lo, exec_lo, s16
	s_cbranch_execz .LBB53_93
.LBB53_5:                               ; =>This Inner Loop Header: Depth=1
	v_add_nc_u32_e32 v16, s30, v90
	v_add_nc_u32_e32 v22, s33, v90
	v_add_nc_u32_e32 v18, s31, v90
	v_add_co_u32 v20, vcc_lo, v80, s2
	s_delay_alu instid0(VALU_DEP_4)
	v_ashrrev_i32_e32 v17, 31, v16
	v_add_co_ci_u32_e32 v21, vcc_lo, s3, v81, vcc_lo
	v_ashrrev_i32_e32 v23, 31, v22
	v_ashrrev_i32_e32 v19, 31, v18
	v_add_nc_u32_e32 v24, s34, v90
	v_lshlrev_b64 v[16:17], 2, v[16:17]
	s_clause 0x1
	global_load_b32 v38, v[80:81], off
	global_load_b32 v39, v[20:21], off
	v_lshlrev_b64 v[20:21], 2, v[22:23]
	v_add_nc_u32_e32 v22, s35, v90
	v_lshlrev_b64 v[18:19], 2, v[18:19]
	v_ashrrev_i32_e32 v25, 31, v24
	v_add_nc_u32_e32 v26, s36, v90
	v_add_co_u32 v16, vcc_lo, s6, v16
	v_ashrrev_i32_e32 v23, 31, v22
	v_add_co_ci_u32_e32 v17, vcc_lo, s8, v17, vcc_lo
	v_add_nc_u32_e32 v28, s37, v90
	v_add_co_u32 v18, vcc_lo, s6, v18
	v_lshlrev_b64 v[24:25], 2, v[24:25]
	v_ashrrev_i32_e32 v27, 31, v26
	v_add_co_ci_u32_e32 v19, vcc_lo, s8, v19, vcc_lo
	v_add_nc_u32_e32 v30, s38, v90
	v_add_co_u32 v20, vcc_lo, s6, v20
	v_lshlrev_b64 v[22:23], 2, v[22:23]
	v_ashrrev_i32_e32 v29, 31, v28
	v_add_co_ci_u32_e32 v21, vcc_lo, s8, v21, vcc_lo
	v_add_co_u32 v24, vcc_lo, s6, v24
	v_lshlrev_b64 v[26:27], 2, v[26:27]
	v_ashrrev_i32_e32 v31, 31, v30
	v_add_co_ci_u32_e32 v25, vcc_lo, s8, v25, vcc_lo
	v_add_co_u32 v22, vcc_lo, s6, v22
	v_lshlrev_b64 v[28:29], 2, v[28:29]
	v_add_co_ci_u32_e32 v23, vcc_lo, s8, v23, vcc_lo
	v_add_nc_u32_e32 v32, s39, v90
	v_add_co_u32 v26, vcc_lo, s6, v26
	v_lshlrev_b64 v[30:31], 2, v[30:31]
	v_add_co_ci_u32_e32 v27, vcc_lo, s8, v27, vcc_lo
	v_add_nc_u32_e32 v34, s40, v90
	v_add_co_u32 v28, vcc_lo, s6, v28
	v_ashrrev_i32_e32 v33, 31, v32
	v_add_co_ci_u32_e32 v29, vcc_lo, s8, v29, vcc_lo
	v_add_nc_u32_e32 v36, s41, v90
	v_add_co_u32 v30, vcc_lo, s6, v30
	v_ashrrev_i32_e32 v35, 31, v34
	v_add_co_ci_u32_e32 v31, vcc_lo, s8, v31, vcc_lo
	s_clause 0x7
	global_load_b32 v40, v[16:17], off
	global_load_b32 v41, v[18:19], off
	global_load_b32 v42, v[20:21], off
	global_load_b32 v43, v[24:25], off
	global_load_b32 v44, v[22:23], off
	global_load_b32 v45, v[26:27], off
	global_load_b32 v46, v[28:29], off
	global_load_b32 v47, v[30:31], off
	v_add_nc_u32_e32 v18, s42, v90
	v_lshlrev_b64 v[32:33], 2, v[32:33]
	v_ashrrev_i32_e32 v37, 31, v36
	v_add_nc_u32_e32 v24, s43, v90
	v_lshlrev_b64 v[16:17], 2, v[34:35]
	v_ashrrev_i32_e32 v19, 31, v18
	v_add_nc_u32_e32 v26, s44, v90
	v_add_co_u32 v20, vcc_lo, s6, v32
	v_lshlrev_b64 v[22:23], 2, v[36:37]
	v_ashrrev_i32_e32 v25, 31, v24
	v_add_co_ci_u32_e32 v21, vcc_lo, s8, v33, vcc_lo
	v_add_nc_u32_e32 v28, s45, v90
	v_add_co_u32 v16, vcc_lo, s6, v16
	v_lshlrev_b64 v[18:19], 2, v[18:19]
	v_ashrrev_i32_e32 v27, 31, v26
	v_add_co_ci_u32_e32 v17, vcc_lo, s8, v17, vcc_lo
	v_add_nc_u32_e32 v30, s46, v90
	v_add_co_u32 v22, vcc_lo, s6, v22
	v_lshlrev_b64 v[24:25], 2, v[24:25]
	v_ashrrev_i32_e32 v29, 31, v28
	v_add_co_ci_u32_e32 v23, vcc_lo, s8, v23, vcc_lo
	v_add_co_u32 v18, vcc_lo, s6, v18
	v_lshlrev_b64 v[26:27], 2, v[26:27]
	v_ashrrev_i32_e32 v31, 31, v30
	v_add_co_ci_u32_e32 v19, vcc_lo, s8, v19, vcc_lo
	v_add_co_u32 v24, vcc_lo, s6, v24
	v_lshlrev_b64 v[28:29], 2, v[28:29]
	v_add_co_ci_u32_e32 v25, vcc_lo, s8, v25, vcc_lo
	v_add_nc_u32_e32 v32, s47, v90
	v_add_co_u32 v26, vcc_lo, s6, v26
	v_lshlrev_b64 v[30:31], 2, v[30:31]
	v_add_co_ci_u32_e32 v27, vcc_lo, s8, v27, vcc_lo
	v_add_nc_u32_e32 v34, s48, v90
	v_add_co_u32 v28, vcc_lo, s6, v28
	v_ashrrev_i32_e32 v33, 31, v32
	v_add_co_ci_u32_e32 v29, vcc_lo, s8, v29, vcc_lo
	v_add_nc_u32_e32 v36, s49, v90
	v_add_co_u32 v30, vcc_lo, s6, v30
	v_ashrrev_i32_e32 v35, 31, v34
	v_add_co_ci_u32_e32 v31, vcc_lo, s8, v31, vcc_lo
	s_clause 0x7
	global_load_b32 v48, v[20:21], off
	global_load_b32 v49, v[16:17], off
	global_load_b32 v50, v[22:23], off
	global_load_b32 v51, v[18:19], off
	global_load_b32 v52, v[24:25], off
	global_load_b32 v53, v[26:27], off
	global_load_b32 v54, v[28:29], off
	global_load_b32 v55, v[30:31], off
	v_add_nc_u32_e32 v18, s50, v90
	v_lshlrev_b64 v[32:33], 2, v[32:33]
	v_ashrrev_i32_e32 v37, 31, v36
	v_add_nc_u32_e32 v24, s51, v90
	v_lshlrev_b64 v[16:17], 2, v[34:35]
	v_ashrrev_i32_e32 v19, 31, v18
	v_add_nc_u32_e32 v26, s52, v90
	v_add_co_u32 v20, vcc_lo, s6, v32
	v_lshlrev_b64 v[22:23], 2, v[36:37]
	;; [unrolled: 49-line block ×3, first 2 shown]
	v_ashrrev_i32_e32 v25, 31, v24
	v_add_co_ci_u32_e32 v21, vcc_lo, s8, v33, vcc_lo
	v_add_co_u32 v16, vcc_lo, s6, v16
	v_lshlrev_b64 v[18:19], 2, v[18:19]
	v_ashrrev_i32_e32 v27, 31, v26
	v_add_co_ci_u32_e32 v17, vcc_lo, s8, v17, vcc_lo
	v_add_co_u32 v22, vcc_lo, s6, v22
	v_lshlrev_b64 v[24:25], 2, v[24:25]
	v_add_co_ci_u32_e32 v23, vcc_lo, s8, v23, vcc_lo
	v_add_co_u32 v18, vcc_lo, s6, v18
	v_lshlrev_b64 v[26:27], 2, v[26:27]
	v_add_co_ci_u32_e32 v19, vcc_lo, s8, v19, vcc_lo
	v_add_co_u32 v24, vcc_lo, s6, v24
	v_add_co_ci_u32_e32 v25, vcc_lo, s8, v25, vcc_lo
	s_delay_alu instid0(VALU_DEP_4)
	v_add_co_u32 v26, vcc_lo, s6, v26
	v_add_co_ci_u32_e32 v27, vcc_lo, s8, v27, vcc_lo
	s_clause 0x5
	global_load_b32 v30, v[20:21], off
	global_load_b32 v31, v[16:17], off
	;; [unrolled: 1-line block ×6, first 2 shown]
	global_load_b64 v[84:85], v[82:83], off
	s_waitcnt vmcnt(32)
	ds_store_b32 v92, v38
	s_waitcnt vmcnt(31)
	ds_store_b32 v92, v39 offset:144
	s_waitcnt vmcnt(30)
	ds_store_b32 v92, v40 offset:288
	;; [unrolled: 2-line block ×15, first 2 shown]
	ds_load_b128 v[56:59], v94
	ds_load_b128 v[60:63], v94 offset:16
	ds_load_b128 v[40:43], v94 offset:32
	;; [unrolled: 1-line block ×7, first 2 shown]
	s_waitcnt vmcnt(16)
	ds_store_b32 v92, v54
	s_waitcnt vmcnt(15)
	ds_store_b32 v92, v55 offset:144
	s_waitcnt vmcnt(14)
	ds_store_b32 v92, v64 offset:288
	;; [unrolled: 2-line block ×15, first 2 shown]
	ds_load_b128 v[72:75], v94
	ds_load_b128 v[76:79], v94 offset:16
	ds_load_b128 v[64:67], v94 offset:32
	ds_load_b128 v[68:71], v94 offset:48
	ds_load_b128 v[48:51], v94 offset:64
	ds_load_b128 v[52:55], v94 offset:80
	ds_load_b128 v[24:27], v94 offset:96
	ds_load_b128 v[28:31], v94 offset:112
	s_waitcnt vmcnt(0)
	v_and_b32_e32 v95, 0x7f800000, v84
	s_delay_alu instid0(VALU_DEP_1) | instskip(SKIP_1) | instid1(SALU_CYCLE_1)
	v_cmp_ne_u32_e32 vcc_lo, 0x7f800000, v95
                                        ; implicit-def: $vgpr95
	s_and_saveexec_b32 s0, vcc_lo
	s_xor_b32 s0, exec_lo, s0
; %bb.6:                                ;   in Loop: Header=BB53_5 Depth=1
	v_bfe_u32 v95, v84, 16, 1
	s_delay_alu instid0(VALU_DEP_1)
	v_add3_u32 v95, v84, v95, 0x7fff
; %bb.7:                                ;   in Loop: Header=BB53_5 Depth=1
	s_and_not1_saveexec_b32 s0, s0
; %bb.8:                                ;   in Loop: Header=BB53_5 Depth=1
	v_and_b32_e32 v95, 0xffff, v84
	v_or_b32_e32 v96, 0x10000, v84
	s_delay_alu instid0(VALU_DEP_2) | instskip(NEXT) | instid1(VALU_DEP_2)
	v_cmp_eq_u32_e32 vcc_lo, 0, v95
	v_cndmask_b32_e32 v95, v96, v84, vcc_lo
; %bb.9:                                ;   in Loop: Header=BB53_5 Depth=1
	s_or_b32 exec_lo, exec_lo, s0
	v_and_b32_e32 v84, 0x7f800000, v85
	s_mov_b32 s0, exec_lo
                                        ; implicit-def: $vgpr96
	s_delay_alu instid0(VALU_DEP_1)
	v_cmpx_ne_u32_e32 0x7f800000, v84
	s_xor_b32 s0, exec_lo, s0
; %bb.10:                               ;   in Loop: Header=BB53_5 Depth=1
	v_bfe_u32 v84, v85, 16, 1
	s_delay_alu instid0(VALU_DEP_1)
	v_add3_u32 v96, v85, v84, 0x7fff
                                        ; implicit-def: $vgpr84_vgpr85
; %bb.11:                               ;   in Loop: Header=BB53_5 Depth=1
	s_and_not1_saveexec_b32 s0, s0
; %bb.12:                               ;   in Loop: Header=BB53_5 Depth=1
	v_and_b32_e32 v84, 0xffff, v85
	v_or_b32_e32 v96, 0x10000, v85
	s_delay_alu instid0(VALU_DEP_2) | instskip(NEXT) | instid1(VALU_DEP_2)
	v_cmp_eq_u32_e32 vcc_lo, 0, v84
	v_cndmask_b32_e32 v96, v96, v85, vcc_lo
; %bb.13:                               ;   in Loop: Header=BB53_5 Depth=1
	s_or_b32 exec_lo, exec_lo, s0
	v_add_co_u32 v84, vcc_lo, v82, s4
	v_add_co_ci_u32_e32 v85, vcc_lo, s5, v83, vcc_lo
	s_delay_alu instid0(VALU_DEP_3)
	v_perm_b32 v95, v96, v95, 0x7060302
	s_mov_b32 s0, exec_lo
	global_load_b64 v[84:85], v[84:85], off
	ds_store_b32 v92, v95
                                        ; implicit-def: $vgpr95
	s_waitcnt vmcnt(0)
	v_and_b32_e32 v97, 0x7f800000, v84
	s_delay_alu instid0(VALU_DEP_1)
	v_cmpx_ne_u32_e32 0x7f800000, v97
	s_xor_b32 s0, exec_lo, s0
; %bb.14:                               ;   in Loop: Header=BB53_5 Depth=1
	v_bfe_u32 v95, v84, 16, 1
	s_delay_alu instid0(VALU_DEP_1)
	v_add3_u32 v95, v84, v95, 0x7fff
; %bb.15:                               ;   in Loop: Header=BB53_5 Depth=1
	s_and_not1_saveexec_b32 s0, s0
; %bb.16:                               ;   in Loop: Header=BB53_5 Depth=1
	v_and_b32_e32 v95, 0xffff, v84
	v_or_b32_e32 v96, 0x10000, v84
	s_delay_alu instid0(VALU_DEP_2) | instskip(NEXT) | instid1(VALU_DEP_2)
	v_cmp_eq_u32_e32 vcc_lo, 0, v95
	v_cndmask_b32_e32 v95, v96, v84, vcc_lo
; %bb.17:                               ;   in Loop: Header=BB53_5 Depth=1
	s_or_b32 exec_lo, exec_lo, s0
	v_and_b32_e32 v84, 0x7f800000, v85
	s_mov_b32 s0, exec_lo
                                        ; implicit-def: $vgpr96
	s_delay_alu instid0(VALU_DEP_1)
	v_cmpx_ne_u32_e32 0x7f800000, v84
	s_xor_b32 s0, exec_lo, s0
; %bb.18:                               ;   in Loop: Header=BB53_5 Depth=1
	v_bfe_u32 v84, v85, 16, 1
	s_delay_alu instid0(VALU_DEP_1)
	v_add3_u32 v96, v85, v84, 0x7fff
                                        ; implicit-def: $vgpr84_vgpr85
; %bb.19:                               ;   in Loop: Header=BB53_5 Depth=1
	s_and_not1_saveexec_b32 s0, s0
; %bb.20:                               ;   in Loop: Header=BB53_5 Depth=1
	v_and_b32_e32 v84, 0xffff, v85
	v_or_b32_e32 v96, 0x10000, v85
	s_delay_alu instid0(VALU_DEP_2) | instskip(NEXT) | instid1(VALU_DEP_2)
	v_cmp_eq_u32_e32 vcc_lo, 0, v84
	v_cndmask_b32_e32 v96, v96, v85, vcc_lo
; %bb.21:                               ;   in Loop: Header=BB53_5 Depth=1
	s_or_b32 exec_lo, exec_lo, s0
	v_add_nc_u32_e32 v84, s13, v90
	s_delay_alu instid0(VALU_DEP_2) | instskip(SKIP_1) | instid1(VALU_DEP_2)
	v_perm_b32 v95, v96, v95, 0x7060302
	s_mov_b32 s0, exec_lo
	v_ashrrev_i32_e32 v85, 31, v84
	ds_store_b32 v92, v95 offset:144
                                        ; implicit-def: $vgpr95
	v_lshlrev_b64 v[84:85], 3, v[84:85]
	s_delay_alu instid0(VALU_DEP_1) | instskip(NEXT) | instid1(VALU_DEP_2)
	v_add_co_u32 v84, vcc_lo, s9, v84
	v_add_co_ci_u32_e32 v85, vcc_lo, s10, v85, vcc_lo
	global_load_b64 v[84:85], v[84:85], off
	s_waitcnt vmcnt(0)
	v_and_b32_e32 v97, 0x7f800000, v84
	s_delay_alu instid0(VALU_DEP_1)
	v_cmpx_ne_u32_e32 0x7f800000, v97
	s_xor_b32 s0, exec_lo, s0
; %bb.22:                               ;   in Loop: Header=BB53_5 Depth=1
	v_bfe_u32 v95, v84, 16, 1
	s_delay_alu instid0(VALU_DEP_1)
	v_add3_u32 v95, v84, v95, 0x7fff
; %bb.23:                               ;   in Loop: Header=BB53_5 Depth=1
	s_and_not1_saveexec_b32 s0, s0
; %bb.24:                               ;   in Loop: Header=BB53_5 Depth=1
	v_and_b32_e32 v95, 0xffff, v84
	v_or_b32_e32 v96, 0x10000, v84
	s_delay_alu instid0(VALU_DEP_2) | instskip(NEXT) | instid1(VALU_DEP_2)
	v_cmp_eq_u32_e32 vcc_lo, 0, v95
	v_cndmask_b32_e32 v95, v96, v84, vcc_lo
; %bb.25:                               ;   in Loop: Header=BB53_5 Depth=1
	s_or_b32 exec_lo, exec_lo, s0
	v_and_b32_e32 v84, 0x7f800000, v85
	s_mov_b32 s0, exec_lo
                                        ; implicit-def: $vgpr96
	s_delay_alu instid0(VALU_DEP_1)
	v_cmpx_ne_u32_e32 0x7f800000, v84
	s_xor_b32 s0, exec_lo, s0
; %bb.26:                               ;   in Loop: Header=BB53_5 Depth=1
	v_bfe_u32 v84, v85, 16, 1
	s_delay_alu instid0(VALU_DEP_1)
	v_add3_u32 v96, v85, v84, 0x7fff
                                        ; implicit-def: $vgpr84_vgpr85
; %bb.27:                               ;   in Loop: Header=BB53_5 Depth=1
	s_and_not1_saveexec_b32 s0, s0
; %bb.28:                               ;   in Loop: Header=BB53_5 Depth=1
	v_and_b32_e32 v84, 0xffff, v85
	v_or_b32_e32 v96, 0x10000, v85
	s_delay_alu instid0(VALU_DEP_2) | instskip(NEXT) | instid1(VALU_DEP_2)
	v_cmp_eq_u32_e32 vcc_lo, 0, v84
	v_cndmask_b32_e32 v96, v96, v85, vcc_lo
; %bb.29:                               ;   in Loop: Header=BB53_5 Depth=1
	s_or_b32 exec_lo, exec_lo, s0
	v_add_nc_u32_e32 v84, s23, v90
	s_delay_alu instid0(VALU_DEP_2) | instskip(SKIP_1) | instid1(VALU_DEP_2)
	v_perm_b32 v95, v96, v95, 0x7060302
	s_mov_b32 s0, exec_lo
	v_ashrrev_i32_e32 v85, 31, v84
	ds_store_b32 v92, v95 offset:288
                                        ; implicit-def: $vgpr95
	v_lshlrev_b64 v[84:85], 3, v[84:85]
	s_delay_alu instid0(VALU_DEP_1) | instskip(NEXT) | instid1(VALU_DEP_2)
	v_add_co_u32 v84, vcc_lo, s9, v84
	v_add_co_ci_u32_e32 v85, vcc_lo, s10, v85, vcc_lo
	global_load_b64 v[84:85], v[84:85], off
	;; [unrolled: 52-line block ×9, first 2 shown]
	s_waitcnt vmcnt(0)
	v_and_b32_e32 v97, 0x7f800000, v84
	s_delay_alu instid0(VALU_DEP_1)
	v_cmpx_ne_u32_e32 0x7f800000, v97
	s_xor_b32 s0, exec_lo, s0
; %bb.86:                               ;   in Loop: Header=BB53_5 Depth=1
	v_bfe_u32 v95, v84, 16, 1
	s_delay_alu instid0(VALU_DEP_1)
	v_add3_u32 v95, v84, v95, 0x7fff
; %bb.87:                               ;   in Loop: Header=BB53_5 Depth=1
	s_and_not1_saveexec_b32 s0, s0
; %bb.88:                               ;   in Loop: Header=BB53_5 Depth=1
	v_and_b32_e32 v95, 0xffff, v84
	v_or_b32_e32 v96, 0x10000, v84
	s_delay_alu instid0(VALU_DEP_2) | instskip(NEXT) | instid1(VALU_DEP_2)
	v_cmp_eq_u32_e32 vcc_lo, 0, v95
	v_cndmask_b32_e32 v95, v96, v84, vcc_lo
; %bb.89:                               ;   in Loop: Header=BB53_5 Depth=1
	s_or_b32 exec_lo, exec_lo, s0
	v_and_b32_e32 v84, 0x7f800000, v85
	s_mov_b32 s0, exec_lo
                                        ; implicit-def: $vgpr96
	s_delay_alu instid0(VALU_DEP_1)
	v_cmpx_ne_u32_e32 0x7f800000, v84
	s_xor_b32 s0, exec_lo, s0
; %bb.90:                               ;   in Loop: Header=BB53_5 Depth=1
	v_bfe_u32 v84, v85, 16, 1
	s_delay_alu instid0(VALU_DEP_1)
	v_add3_u32 v96, v85, v84, 0x7fff
                                        ; implicit-def: $vgpr84_vgpr85
; %bb.91:                               ;   in Loop: Header=BB53_5 Depth=1
	s_and_not1_saveexec_b32 s0, s0
	s_cbranch_execz .LBB53_4
; %bb.92:                               ;   in Loop: Header=BB53_5 Depth=1
	v_and_b32_e32 v84, 0xffff, v85
	v_or_b32_e32 v96, 0x10000, v85
	s_delay_alu instid0(VALU_DEP_2) | instskip(NEXT) | instid1(VALU_DEP_2)
	v_cmp_eq_u32_e32 vcc_lo, 0, v84
	v_cndmask_b32_e32 v96, v96, v85, vcc_lo
	s_branch .LBB53_4
.LBB53_93:
	s_or_b32 exec_lo, exec_lo, s16
.LBB53_94:
	s_delay_alu instid0(SALU_CYCLE_1)
	s_or_b32 exec_lo, exec_lo, s19
	v_lshrrev_b32_e32 v16, 2, v86
	v_add_nc_u32_e32 v17, 0, v91
	v_lshlrev_b32_e32 v18, 2, v88
	v_mul_u32_u24_e32 v19, 0x90, v87
	s_mul_hi_i32 s1, s11, s15
	v_and_b32_e32 v16, 0xfc, v16
	s_mul_i32 s0, s11, s15
	s_mul_i32 s2, s14, s7
	s_lshl_b64 s[0:1], s[0:1], 2
	s_waitcnt lgkmcnt(0)
	s_add_u32 s4, s20, s0
	v_add3_u32 v16, v17, v16, v18
	v_add3_u32 v18, 0, v89, v19
	v_mul_lo_u32 v17, v87, s18
	s_addc_u32 s5, s21, s1
	ds_store_2addr_b32 v16, v8, v9 offset1:2
	ds_store_2addr_b32 v16, v10, v11 offset0:4 offset1:6
	ds_store_2addr_b32 v16, v12, v13 offset0:8 offset1:10
	;; [unrolled: 1-line block ×7, first 2 shown]
	ds_load_2addr_b32 v[0:1], v18 offset1:36
	v_mov_b32_e32 v3, 0
	ds_load_2addr_b32 v[6:7], v18 offset0:72 offset1:108
	s_ashr_i32 s3, s2, 31
	v_add3_u32 v2, s12, v86, v17
	s_lshl_b64 s[0:1], s[2:3], 2
	ds_load_2addr_b32 v[10:11], v18 offset0:144 offset1:180
	s_add_u32 s0, s4, s0
	s_addc_u32 s1, s5, s1
	v_lshlrev_b64 v[4:5], 2, v[2:3]
	v_add_nc_u32_e32 v2, s18, v2
	s_delay_alu instid0(VALU_DEP_1) | instskip(SKIP_1) | instid1(VALU_DEP_4)
	v_lshlrev_b64 v[8:9], 2, v[2:3]
	v_add_nc_u32_e32 v2, s18, v2
	v_add_co_u32 v4, vcc_lo, s0, v4
	v_add_co_ci_u32_e32 v5, vcc_lo, s1, v5, vcc_lo
	s_waitcnt lgkmcnt(2)
	v_dual_add_f32 v14, 0, v0 :: v_dual_add_f32 v15, 0, v1
	v_lshlrev_b64 v[0:1], 2, v[2:3]
	v_add_nc_u32_e32 v2, s18, v2
	v_add_co_u32 v8, vcc_lo, s0, v8
	v_add_co_ci_u32_e32 v9, vcc_lo, s1, v9, vcc_lo
	s_delay_alu instid0(VALU_DEP_4) | instskip(NEXT) | instid1(VALU_DEP_4)
	v_add_co_u32 v0, vcc_lo, s0, v0
	v_lshlrev_b64 v[12:13], 2, v[2:3]
	v_add_nc_u32_e32 v2, s18, v2
	s_waitcnt lgkmcnt(1)
	v_add_f32_e32 v6, 0, v6
	v_add_co_ci_u32_e32 v1, vcc_lo, s1, v1, vcc_lo
	s_clause 0x2
	global_store_b32 v[4:5], v14, off
	global_store_b32 v[8:9], v15, off
	;; [unrolled: 1-line block ×3, first 2 shown]
	v_lshlrev_b64 v[0:1], 2, v[2:3]
	v_add_nc_u32_e32 v2, s18, v2
	s_waitcnt lgkmcnt(0)
	v_dual_add_f32 v14, 0, v7 :: v_dual_add_f32 v15, 0, v10
	ds_load_2addr_b32 v[6:7], v18 offset0:216 offset1:252
	v_add_co_u32 v4, vcc_lo, s0, v12
	v_lshlrev_b64 v[8:9], 2, v[2:3]
	v_add_nc_u32_e32 v2, s18, v2
	v_add_co_ci_u32_e32 v5, vcc_lo, s1, v13, vcc_lo
	v_add_co_u32 v0, vcc_lo, s0, v0
	v_add_co_ci_u32_e32 v1, vcc_lo, s1, v1, vcc_lo
	v_add_f32_e32 v16, 0, v11
	v_add_nc_u32_e32 v12, 0x400, v18
	v_add_co_u32 v8, vcc_lo, s0, v8
	v_lshlrev_b64 v[10:11], 2, v[2:3]
	v_add_nc_u32_e32 v2, s18, v2
	v_add_co_ci_u32_e32 v9, vcc_lo, s1, v9, vcc_lo
	ds_load_2addr_b32 v[12:13], v12 offset0:32 offset1:68
	s_clause 0x2
	global_store_b32 v[4:5], v14, off
	global_store_b32 v[0:1], v15, off
	;; [unrolled: 1-line block ×3, first 2 shown]
	v_lshlrev_b64 v[0:1], 2, v[2:3]
	v_add_nc_u32_e32 v2, s18, v2
	v_add_co_u32 v4, vcc_lo, s0, v10
	v_add_co_ci_u32_e32 v5, vcc_lo, s1, v11, vcc_lo
	ds_load_b32 v11, v18 offset:1440
	s_waitcnt lgkmcnt(2)
	v_add_f32_e32 v14, 0, v6
	v_add_f32_e32 v10, 0, v7
	v_lshlrev_b64 v[6:7], 2, v[2:3]
	v_add_nc_u32_e32 v2, s18, v2
	v_add_co_u32 v0, vcc_lo, s0, v0
	v_add_co_ci_u32_e32 v1, vcc_lo, s1, v1, vcc_lo
	s_delay_alu instid0(VALU_DEP_3) | instskip(SKIP_3) | instid1(VALU_DEP_3)
	v_lshlrev_b64 v[8:9], 2, v[2:3]
	v_add_nc_u32_e32 v2, s18, v2
	v_add_co_u32 v6, vcc_lo, s0, v6
	v_add_co_ci_u32_e32 v7, vcc_lo, s1, v7, vcc_lo
	v_lshlrev_b64 v[2:3], 2, v[2:3]
	v_add_co_u32 v8, vcc_lo, s0, v8
	v_add_co_ci_u32_e32 v9, vcc_lo, s1, v9, vcc_lo
	s_waitcnt lgkmcnt(1)
	v_add_f32_e32 v12, 0, v12
	s_delay_alu instid0(VALU_DEP_4)
	v_add_co_u32 v2, vcc_lo, s0, v2
	v_add_f32_e32 v13, 0, v13
	s_waitcnt lgkmcnt(0)
	v_add_f32_e32 v11, 0, v11
	v_add_co_ci_u32_e32 v3, vcc_lo, s1, v3, vcc_lo
	s_clause 0x4
	global_store_b32 v[4:5], v14, off
	global_store_b32 v[0:1], v10, off
	;; [unrolled: 1-line block ×5, first 2 shown]
	s_nop 0
	s_sendmsg sendmsg(MSG_DEALLOC_VGPRS)
	s_endpgm
	.section	.rodata,"a",@progbits
	.p2align	6, 0x0
	.amdhsa_kernel _ZL9mul_mat_fI15__hip_bfloat162Li32ELi11ELi1ELb0EEvPKT_PKfPKiPfiiiiiiiiiiiiiiii
		.amdhsa_group_segment_fixed_size 0
		.amdhsa_private_segment_fixed_size 0
		.amdhsa_kernarg_size 96
		.amdhsa_user_sgpr_count 13
		.amdhsa_user_sgpr_dispatch_ptr 0
		.amdhsa_user_sgpr_queue_ptr 0
		.amdhsa_user_sgpr_kernarg_segment_ptr 1
		.amdhsa_user_sgpr_dispatch_id 0
		.amdhsa_user_sgpr_private_segment_size 0
		.amdhsa_wavefront_size32 1
		.amdhsa_uses_dynamic_stack 0
		.amdhsa_enable_private_segment 0
		.amdhsa_system_sgpr_workgroup_id_x 1
		.amdhsa_system_sgpr_workgroup_id_y 1
		.amdhsa_system_sgpr_workgroup_id_z 1
		.amdhsa_system_sgpr_workgroup_info 0
		.amdhsa_system_vgpr_workitem_id 1
		.amdhsa_next_free_vgpr 119
		.amdhsa_next_free_sgpr 60
		.amdhsa_reserve_vcc 1
		.amdhsa_float_round_mode_32 0
		.amdhsa_float_round_mode_16_64 0
		.amdhsa_float_denorm_mode_32 3
		.amdhsa_float_denorm_mode_16_64 3
		.amdhsa_dx10_clamp 1
		.amdhsa_ieee_mode 1
		.amdhsa_fp16_overflow 0
		.amdhsa_workgroup_processor_mode 1
		.amdhsa_memory_ordered 1
		.amdhsa_forward_progress 0
		.amdhsa_shared_vgpr_count 0
		.amdhsa_exception_fp_ieee_invalid_op 0
		.amdhsa_exception_fp_denorm_src 0
		.amdhsa_exception_fp_ieee_div_zero 0
		.amdhsa_exception_fp_ieee_overflow 0
		.amdhsa_exception_fp_ieee_underflow 0
		.amdhsa_exception_fp_ieee_inexact 0
		.amdhsa_exception_int_div_zero 0
	.end_amdhsa_kernel
	.section	.text._ZL9mul_mat_fI15__hip_bfloat162Li32ELi11ELi1ELb0EEvPKT_PKfPKiPfiiiiiiiiiiiiiiii,"axG",@progbits,_ZL9mul_mat_fI15__hip_bfloat162Li32ELi11ELi1ELb0EEvPKT_PKfPKiPfiiiiiiiiiiiiiiii,comdat
.Lfunc_end53:
	.size	_ZL9mul_mat_fI15__hip_bfloat162Li32ELi11ELi1ELb0EEvPKT_PKfPKiPfiiiiiiiiiiiiiiii, .Lfunc_end53-_ZL9mul_mat_fI15__hip_bfloat162Li32ELi11ELi1ELb0EEvPKT_PKfPKiPfiiiiiiiiiiiiiiii
                                        ; -- End function
	.section	.AMDGPU.csdata,"",@progbits
; Kernel info:
; codeLenInByte = 6160
; NumSgprs: 62
; NumVgprs: 119
; ScratchSize: 0
; MemoryBound: 0
; FloatMode: 240
; IeeeMode: 1
; LDSByteSize: 0 bytes/workgroup (compile time only)
; SGPRBlocks: 7
; VGPRBlocks: 14
; NumSGPRsForWavesPerEU: 62
; NumVGPRsForWavesPerEU: 119
; Occupancy: 12
; WaveLimiterHint : 0
; COMPUTE_PGM_RSRC2:SCRATCH_EN: 0
; COMPUTE_PGM_RSRC2:USER_SGPR: 13
; COMPUTE_PGM_RSRC2:TRAP_HANDLER: 0
; COMPUTE_PGM_RSRC2:TGID_X_EN: 1
; COMPUTE_PGM_RSRC2:TGID_Y_EN: 1
; COMPUTE_PGM_RSRC2:TGID_Z_EN: 1
; COMPUTE_PGM_RSRC2:TIDIG_COMP_CNT: 1
	.section	.text._ZL13mul_mat_f_idsI15__hip_bfloat162Li32ELi11ELi2EEvPKT_PKfPKiS7_S7_Pfiiiiiiiiiiiiii15HIP_vector_typeIjLj3EESA_,"axG",@progbits,_ZL13mul_mat_f_idsI15__hip_bfloat162Li32ELi11ELi2EEvPKT_PKfPKiS7_S7_Pfiiiiiiiiiiiiii15HIP_vector_typeIjLj3EESA_,comdat
	.globl	_ZL13mul_mat_f_idsI15__hip_bfloat162Li32ELi11ELi2EEvPKT_PKfPKiS7_S7_Pfiiiiiiiiiiiiii15HIP_vector_typeIjLj3EESA_ ; -- Begin function _ZL13mul_mat_f_idsI15__hip_bfloat162Li32ELi11ELi2EEvPKT_PKfPKiS7_S7_Pfiiiiiiiiiiiiii15HIP_vector_typeIjLj3EESA_
	.p2align	8
	.type	_ZL13mul_mat_f_idsI15__hip_bfloat162Li32ELi11ELi2EEvPKT_PKfPKiS7_S7_Pfiiiiiiiiiiiiii15HIP_vector_typeIjLj3EESA_,@function
_ZL13mul_mat_f_idsI15__hip_bfloat162Li32ELi11ELi2EEvPKT_PKfPKiS7_S7_Pfiiiiiiiiiiiiii15HIP_vector_typeIjLj3EESA_: ; @_ZL13mul_mat_f_idsI15__hip_bfloat162Li32ELi11ELi2EEvPKT_PKfPKiS7_S7_Pfiiiiiiiiiiiiii15HIP_vector_typeIjLj3EESA_
; %bb.0:
	s_load_b64 s[4:5], s[0:1], 0x20
	s_mov_b32 s2, s15
	s_ashr_i32 s15, s14, 31
	s_delay_alu instid0(SALU_CYCLE_1)
	s_lshl_b64 s[6:7], s[14:15], 2
	s_waitcnt lgkmcnt(0)
	s_add_u32 s4, s4, s6
	s_addc_u32 s5, s5, s7
	s_load_b64 s[30:31], s[4:5], 0x0
	s_waitcnt lgkmcnt(0)
	s_sub_i32 s33, s31, s30
	s_delay_alu instid0(SALU_CYCLE_1) | instskip(NEXT) | instid1(SALU_CYCLE_1)
	s_add_i32 s3, s33, 10
	s_mul_hi_i32 s3, s3, 0x2e8ba2e9
	s_delay_alu instid0(SALU_CYCLE_1) | instskip(SKIP_1) | instid1(SALU_CYCLE_1)
	s_lshr_b32 s4, s3, 31
	s_ashr_i32 s3, s3, 1
	s_add_i32 s3, s3, s4
	s_delay_alu instid0(SALU_CYCLE_1)
	s_cmp_ge_i32 s2, s3
	s_cbranch_scc1 .LBB54_147
; %bb.1:
	s_clause 0x4
	s_load_b128 s[8:11], s[0:1], 0x30
	s_load_b64 s[24:25], s[0:1], 0x40
	s_load_b128 s[4:7], s[0:1], 0x4c
	s_load_b128 s[16:19], s[0:1], 0x68
	s_load_b64 s[26:27], s[0:1], 0x78
	v_bfe_u32 v105, v0, 10, 10
	v_and_b32_e32 v106, 0x3ff, v0
	s_ashr_i32 s31, s30, 31
	s_waitcnt lgkmcnt(0)
	s_mov_b32 s7, exec_lo
                                        ; implicit-def: $sgpr3
	v_lshlrev_b32_e32 v107, 5, v105
	v_and_b32_e32 v108, 15, v106
	s_delay_alu instid0(VALU_DEP_2) | instskip(NEXT) | instid1(VALU_DEP_1)
	v_add_nc_u32_e32 v80, v107, v106
	v_cmpx_le_i32_e64 s8, v80
	s_xor_b32 s7, exec_lo, s7
; %bb.2:
	v_and_b32_e32 v108, 15, v106
	s_mov_b32 s3, 0
                                        ; implicit-def: $vgpr80
; %bb.3:
	s_or_saveexec_b32 s36, s7
	s_clause 0x1
	s_load_b64 s[34:35], s[0:1], 0x18
	s_load_b64 s[28:29], s[0:1], 0x28
	v_dual_mov_b32 v7, s3 :: v_dual_mov_b32 v6, s3
	v_dual_mov_b32 v5, s3 :: v_dual_mov_b32 v4, s3
	;; [unrolled: 1-line block ×8, first 2 shown]
	s_lshl_b32 s7, s13, 5
	s_mul_i32 s2, s2, 11
	s_xor_b32 exec_lo, exec_lo, s36
	s_cbranch_execz .LBB54_128
; %bb.4:
	s_clause 0x1
	s_load_b128 s[20:23], s[0:1], 0x0
	s_load_b64 s[12:13], s[0:1], 0x10
	s_mul_i32 s0, s7, s11
	s_mul_i32 s14, s14, s4
	s_ashr_i32 s1, s0, 31
	s_ashr_i32 s15, s14, 31
	s_lshl_b64 s[0:1], s[0:1], 2
	s_lshl_b64 s[14:15], s[14:15], 2
	v_dual_mov_b32 v8, 0 :: v_dual_lshlrev_b32 v3, 7, v105
	s_add_u32 s0, s14, s0
	s_addc_u32 s47, s15, s1
	v_mad_u32_u24 v0, 0x900, v105, 0
	v_dual_mov_b32 v110, 0 :: v_dual_lshlrev_b32 v1, 2, v106
	v_mul_u32_u24_e32 v2, 0x90, v108
	s_mov_b32 s41, 0
	s_mul_i32 s45, s11, 3
	s_delay_alu instid0(VALU_DEP_2)
	v_dual_mov_b32 v10, v110 :: v_dual_add_nc_u32 v109, v0, v1
	s_waitcnt lgkmcnt(0)
	s_add_u32 s1, s0, s20
	s_addc_u32 s4, s47, s21
	s_lshl_b64 s[14:15], s[30:31], 2
	v_add_co_u32 v3, s0, s0, v3
	s_add_u32 s14, s12, s14
	s_addc_u32 s15, s13, s15
	s_cmp_lt_i32 s2, s33
	v_add_co_ci_u32_e64 v4, null, s47, 0, s0
	s_cselect_b32 s37, -1, 0
	s_ashr_i32 s3, s2, 31
	v_add_co_u32 v1, vcc_lo, v3, v1
	s_lshl_b64 s[12:13], s[2:3], 2
	v_add_co_ci_u32_e32 v3, vcc_lo, 0, v4, vcc_lo
	s_add_u32 s12, s14, s12
	s_addc_u32 s13, s15, s13
	s_add_i32 s3, s2, 1
	v_add_co_u32 v81, vcc_lo, s20, v1
	s_cmp_lt_i32 s3, s33
	v_add_co_ci_u32_e32 v82, vcc_lo, s21, v3, vcc_lo
	s_cselect_b32 s3, -1, 0
	s_add_i32 s14, s2, 2
	v_dual_mov_b32 v12, v110 :: v_dual_add_nc_u32 v111, v0, v2
	s_cmp_lt_i32 s14, s33
	v_dual_mov_b32 v9, v110 :: v_dual_mov_b32 v0, 0
	s_cselect_b32 s38, -1, 0
	s_add_i32 s14, s2, 3
	v_mov_b32_e32 v11, v110
	s_cmp_lt_i32 s14, s33
	v_mov_b32_e32 v13, v110
	s_cselect_b32 s39, -1, 0
	s_add_i32 s14, s2, 4
	v_mov_b32_e32 v14, v110
	s_cmp_lt_i32 s14, s33
	v_mov_b32_e32 v15, v110
	;; [unrolled: 5-line block ×5, first 2 shown]
	s_cselect_b32 s44, -1, 0
	s_add_i32 s15, s2, 8
	v_mov_b32_e32 v7, v110
	s_cmp_lt_i32 s15, s33
	s_mov_b32 s14, s11
	s_cselect_b32 s46, -1, 0
	s_add_i32 s15, s2, 9
	s_mul_i32 s49, s11, 5
	s_cmp_lt_i32 s15, s33
	s_mul_i32 s50, s11, 6
	s_cselect_b32 s47, -1, 0
	s_add_i32 s0, s2, 10
	s_mul_i32 s51, s11, 7
	s_cmp_lt_i32 s0, s33
	s_mul_i32 s53, s11, 9
	s_cselect_b32 s20, -1, 0
	s_ashr_i32 s15, s11, 31
	s_lshl_b32 s21, s11, 1
	s_lshl_b32 s48, s11, 2
	s_lshl_b64 s[14:15], s[14:15], 2
	s_lshl_b32 s52, s11, 3
	s_mul_i32 s54, s11, 10
	s_mul_i32 s55, s11, 11
	;; [unrolled: 1-line block ×6, first 2 shown]
	s_lshl_b32 s60, s11, 4
	s_mul_i32 s61, s11, 17
	s_mul_i32 s62, s11, 18
	;; [unrolled: 1-line block ×15, first 2 shown]
	s_branch .LBB54_6
.LBB54_5:                               ;   in Loop: Header=BB54_6 Depth=1
	s_or_b32 exec_lo, exec_lo, s0
	s_delay_alu instid0(VALU_DEP_1)
	v_perm_b32 v83, v83, v85, 0x7060302
	v_add_nc_u32_e32 v84, 0x400, v109
	v_add_nc_u32_e32 v85, 0x600, v109
	;; [unrolled: 1-line block ×3, first 2 shown]
	v_add_co_u32 v81, s0, 0x100, v81
	ds_store_2addr_b32 v84, v83, v110 offset0:104 offset1:140
	ds_store_2addr_b32 v84, v110, v110 offset0:176 offset1:212
	ds_store_2addr_b32 v85, v110, v110 offset0:120 offset1:156
	ds_load_b128 v[83:86], v111
	ds_load_b128 v[87:90], v111 offset:16
	ds_load_b128 v[91:94], v111 offset:32
	ds_load_b128 v[95:98], v111 offset:48
	ds_load_b128 v[112:115], v111 offset:64
	ds_load_b128 v[116:119], v111 offset:80
	v_cmp_le_i32_e32 vcc_lo, s8, v80
	v_add_co_ci_u32_e64 v82, s0, 0, v82, s0
	s_or_b32 s41, vcc_lo, s41
	s_waitcnt lgkmcnt(4)
	v_wmma_f32_16x16x16_bf16 v[8:15], v[56:63], v[83:90], v[8:15]
	ds_load_b128 v[56:59], v111 offset:96
	ds_load_b128 v[60:63], v111 offset:112
	v_wmma_f32_16x16x16_bf16 v[0:7], v[72:79], v[83:90], v[0:7]
	s_waitcnt lgkmcnt(4)
	v_wmma_f32_16x16x16_bf16 v[8:15], v[40:47], v[91:98], v[8:15]
	s_delay_alu instid0(VALU_DEP_2) | instskip(SKIP_1) | instid1(VALU_DEP_2)
	v_wmma_f32_16x16x16_bf16 v[0:7], v[64:71], v[91:98], v[0:7]
	s_waitcnt lgkmcnt(2)
	v_wmma_f32_16x16x16_bf16 v[8:15], v[24:31], v[112:119], v[8:15]
	s_delay_alu instid0(VALU_DEP_2) | instskip(SKIP_1) | instid1(VALU_DEP_2)
	v_wmma_f32_16x16x16_bf16 v[0:7], v[48:55], v[112:119], v[0:7]
	s_waitcnt lgkmcnt(0)
	v_wmma_f32_16x16x16_bf16 v[8:15], v[16:23], v[56:63], v[8:15]
	s_delay_alu instid0(VALU_DEP_2)
	v_wmma_f32_16x16x16_bf16 v[0:7], v[32:39], v[56:63], v[0:7]
	s_and_not1_b32 exec_lo, exec_lo, s41
	s_cbranch_execz .LBB54_127
.LBB54_6:                               ; =>This Inner Loop Header: Depth=1
	v_dual_mov_b32 v103, 0 :: v_dual_add_nc_u32 v16, s21, v80
	v_add_nc_u32_e32 v22, s48, v80
	v_add_nc_u32_e32 v18, s45, v80
	v_add_co_u32 v20, vcc_lo, v81, s14
	s_delay_alu instid0(VALU_DEP_4)
	v_ashrrev_i32_e32 v17, 31, v16
	v_add_co_ci_u32_e32 v21, vcc_lo, s15, v82, vcc_lo
	v_ashrrev_i32_e32 v23, 31, v22
	v_ashrrev_i32_e32 v19, 31, v18
	v_add_nc_u32_e32 v24, s49, v80
	v_lshlrev_b64 v[16:17], 2, v[16:17]
	s_clause 0x1
	global_load_b32 v38, v[81:82], off
	global_load_b32 v39, v[20:21], off
	v_lshlrev_b64 v[20:21], 2, v[22:23]
	v_add_nc_u32_e32 v22, s50, v80
	v_lshlrev_b64 v[18:19], 2, v[18:19]
	v_ashrrev_i32_e32 v25, 31, v24
	v_add_nc_u32_e32 v26, s51, v80
	v_add_co_u32 v16, vcc_lo, s1, v16
	v_ashrrev_i32_e32 v23, 31, v22
	v_add_co_ci_u32_e32 v17, vcc_lo, s4, v17, vcc_lo
	v_add_nc_u32_e32 v28, s52, v80
	v_add_co_u32 v18, vcc_lo, s1, v18
	v_lshlrev_b64 v[24:25], 2, v[24:25]
	v_ashrrev_i32_e32 v27, 31, v26
	v_add_co_ci_u32_e32 v19, vcc_lo, s4, v19, vcc_lo
	v_add_nc_u32_e32 v30, s53, v80
	v_add_co_u32 v20, vcc_lo, s1, v20
	v_lshlrev_b64 v[22:23], 2, v[22:23]
	v_ashrrev_i32_e32 v29, 31, v28
	v_add_co_ci_u32_e32 v21, vcc_lo, s4, v21, vcc_lo
	v_add_co_u32 v24, vcc_lo, s1, v24
	v_lshlrev_b64 v[26:27], 2, v[26:27]
	v_ashrrev_i32_e32 v31, 31, v30
	v_add_co_ci_u32_e32 v25, vcc_lo, s4, v25, vcc_lo
	v_add_co_u32 v22, vcc_lo, s1, v22
	v_lshlrev_b64 v[28:29], 2, v[28:29]
	v_add_co_ci_u32_e32 v23, vcc_lo, s4, v23, vcc_lo
	v_add_nc_u32_e32 v32, s54, v80
	v_add_co_u32 v26, vcc_lo, s1, v26
	v_lshlrev_b64 v[30:31], 2, v[30:31]
	v_add_co_ci_u32_e32 v27, vcc_lo, s4, v27, vcc_lo
	v_add_nc_u32_e32 v34, s55, v80
	v_add_co_u32 v28, vcc_lo, s1, v28
	v_ashrrev_i32_e32 v33, 31, v32
	v_add_co_ci_u32_e32 v29, vcc_lo, s4, v29, vcc_lo
	v_add_nc_u32_e32 v36, s56, v80
	v_add_co_u32 v30, vcc_lo, s1, v30
	v_ashrrev_i32_e32 v35, 31, v34
	v_add_co_ci_u32_e32 v31, vcc_lo, s4, v31, vcc_lo
	s_clause 0x7
	global_load_b32 v40, v[16:17], off
	global_load_b32 v41, v[18:19], off
	global_load_b32 v42, v[20:21], off
	global_load_b32 v43, v[24:25], off
	global_load_b32 v44, v[22:23], off
	global_load_b32 v45, v[26:27], off
	global_load_b32 v46, v[28:29], off
	global_load_b32 v47, v[30:31], off
	v_add_nc_u32_e32 v18, s57, v80
	v_lshlrev_b64 v[32:33], 2, v[32:33]
	v_ashrrev_i32_e32 v37, 31, v36
	v_add_nc_u32_e32 v24, s58, v80
	v_lshlrev_b64 v[16:17], 2, v[34:35]
	v_ashrrev_i32_e32 v19, 31, v18
	v_add_nc_u32_e32 v26, s59, v80
	v_add_co_u32 v20, vcc_lo, s1, v32
	v_lshlrev_b64 v[22:23], 2, v[36:37]
	v_ashrrev_i32_e32 v25, 31, v24
	v_add_co_ci_u32_e32 v21, vcc_lo, s4, v33, vcc_lo
	v_add_nc_u32_e32 v28, s60, v80
	v_add_co_u32 v16, vcc_lo, s1, v16
	v_lshlrev_b64 v[18:19], 2, v[18:19]
	v_ashrrev_i32_e32 v27, 31, v26
	v_add_co_ci_u32_e32 v17, vcc_lo, s4, v17, vcc_lo
	v_add_nc_u32_e32 v30, s61, v80
	v_add_co_u32 v22, vcc_lo, s1, v22
	v_lshlrev_b64 v[24:25], 2, v[24:25]
	v_ashrrev_i32_e32 v29, 31, v28
	v_add_co_ci_u32_e32 v23, vcc_lo, s4, v23, vcc_lo
	v_add_co_u32 v18, vcc_lo, s1, v18
	v_lshlrev_b64 v[26:27], 2, v[26:27]
	v_ashrrev_i32_e32 v31, 31, v30
	v_add_co_ci_u32_e32 v19, vcc_lo, s4, v19, vcc_lo
	v_add_co_u32 v24, vcc_lo, s1, v24
	v_lshlrev_b64 v[28:29], 2, v[28:29]
	v_add_co_ci_u32_e32 v25, vcc_lo, s4, v25, vcc_lo
	v_add_nc_u32_e32 v32, s62, v80
	v_add_co_u32 v26, vcc_lo, s1, v26
	v_lshlrev_b64 v[30:31], 2, v[30:31]
	v_add_co_ci_u32_e32 v27, vcc_lo, s4, v27, vcc_lo
	v_add_nc_u32_e32 v34, s63, v80
	v_add_co_u32 v28, vcc_lo, s1, v28
	v_ashrrev_i32_e32 v33, 31, v32
	v_add_co_ci_u32_e32 v29, vcc_lo, s4, v29, vcc_lo
	v_add_nc_u32_e32 v36, s64, v80
	v_add_co_u32 v30, vcc_lo, s1, v30
	v_ashrrev_i32_e32 v35, 31, v34
	v_add_co_ci_u32_e32 v31, vcc_lo, s4, v31, vcc_lo
	s_clause 0x7
	global_load_b32 v48, v[20:21], off
	global_load_b32 v49, v[16:17], off
	global_load_b32 v50, v[22:23], off
	global_load_b32 v51, v[18:19], off
	global_load_b32 v52, v[24:25], off
	global_load_b32 v53, v[26:27], off
	global_load_b32 v54, v[28:29], off
	global_load_b32 v55, v[30:31], off
	v_add_nc_u32_e32 v18, s65, v80
	v_lshlrev_b64 v[32:33], 2, v[32:33]
	v_ashrrev_i32_e32 v37, 31, v36
	v_add_nc_u32_e32 v24, s66, v80
	v_lshlrev_b64 v[16:17], 2, v[34:35]
	v_ashrrev_i32_e32 v19, 31, v18
	v_add_nc_u32_e32 v26, s67, v80
	v_add_co_u32 v20, vcc_lo, s1, v32
	v_lshlrev_b64 v[22:23], 2, v[36:37]
	;; [unrolled: 49-line block ×3, first 2 shown]
	v_ashrrev_i32_e32 v25, 31, v24
	v_add_co_ci_u32_e32 v21, vcc_lo, s4, v33, vcc_lo
	v_add_co_u32 v16, vcc_lo, s1, v16
	v_lshlrev_b64 v[18:19], 2, v[18:19]
	v_ashrrev_i32_e32 v27, 31, v26
	v_add_co_ci_u32_e32 v17, vcc_lo, s4, v17, vcc_lo
	v_add_co_u32 v22, vcc_lo, s1, v22
	v_lshlrev_b64 v[24:25], 2, v[24:25]
	v_add_co_ci_u32_e32 v23, vcc_lo, s4, v23, vcc_lo
	v_add_co_u32 v18, vcc_lo, s1, v18
	v_lshlrev_b64 v[26:27], 2, v[26:27]
	v_add_co_ci_u32_e32 v19, vcc_lo, s4, v19, vcc_lo
	v_add_co_u32 v24, vcc_lo, s1, v24
	v_add_co_ci_u32_e32 v25, vcc_lo, s4, v25, vcc_lo
	s_delay_alu instid0(VALU_DEP_4)
	v_add_co_u32 v26, vcc_lo, s1, v26
	v_add_co_ci_u32_e32 v27, vcc_lo, s4, v27, vcc_lo
	s_clause 0x5
	global_load_b32 v32, v[20:21], off
	global_load_b32 v33, v[16:17], off
	;; [unrolled: 1-line block ×6, first 2 shown]
	v_mov_b32_e32 v104, 0
	s_and_not1_b32 vcc_lo, exec_lo, s37
	s_waitcnt vmcnt(31)
	ds_store_b32 v109, v38
	s_waitcnt vmcnt(30)
	ds_store_b32 v109, v39 offset:144
	s_waitcnt vmcnt(29)
	ds_store_b32 v109, v40 offset:288
	;; [unrolled: 2-line block ×15, first 2 shown]
	ds_load_b128 v[56:59], v111
	ds_load_b128 v[60:63], v111 offset:16
	ds_load_b128 v[40:43], v111 offset:32
	;; [unrolled: 1-line block ×7, first 2 shown]
	s_waitcnt vmcnt(15)
	ds_store_b32 v109, v54
	s_waitcnt vmcnt(14)
	ds_store_b32 v109, v55 offset:144
	s_waitcnt vmcnt(13)
	ds_store_b32 v109, v64 offset:288
	;; [unrolled: 2-line block ×15, first 2 shown]
	ds_load_b128 v[72:75], v111
	ds_load_b128 v[76:79], v111 offset:16
	ds_load_b128 v[64:67], v111 offset:32
	;; [unrolled: 1-line block ×7, first 2 shown]
	s_cbranch_vccnz .LBB54_9
; %bb.7:                                ;   in Loop: Header=BB54_6 Depth=1
	s_load_b32 s0, s[12:13], 0x0
	v_dual_mov_b32 v104, 0 :: v_dual_mov_b32 v103, 0
	s_waitcnt lgkmcnt(0)
	s_mul_hi_u32 s75, s0, s16
	s_delay_alu instid0(SALU_CYCLE_1) | instskip(NEXT) | instid1(SALU_CYCLE_1)
	s_add_i32 s75, s0, s75
	s_lshr_b32 s75, s75, s17
	s_delay_alu instid0(SALU_CYCLE_1)
	s_cmp_ge_i32 s75, s9
	s_cbranch_scc1 .LBB54_9
; %bb.8:                                ;   in Loop: Header=BB54_6 Depth=1
	v_mad_u64_u32 v[83:84], null, s75, s24, v[80:81]
	s_mul_i32 s75, s75, s18
	s_delay_alu instid0(SALU_CYCLE_1) | instskip(NEXT) | instid1(SALU_CYCLE_1)
	s_sub_i32 s0, s0, s75
	s_mul_i32 s0, s0, s5
	s_delay_alu instid0(VALU_DEP_1) | instid1(SALU_CYCLE_1)
	v_lshl_add_u32 v83, v83, 1, s0
	s_delay_alu instid0(VALU_DEP_1) | instskip(NEXT) | instid1(VALU_DEP_1)
	v_ashrrev_i32_e32 v84, 31, v83
	v_lshlrev_b64 v[83:84], 2, v[83:84]
	s_delay_alu instid0(VALU_DEP_1) | instskip(NEXT) | instid1(VALU_DEP_2)
	v_add_co_u32 v83, vcc_lo, s22, v83
	v_add_co_ci_u32_e32 v84, vcc_lo, s23, v84, vcc_lo
	global_load_b64 v[103:104], v[83:84], off
.LBB54_9:                               ;   in Loop: Header=BB54_6 Depth=1
	v_dual_mov_b32 v97, 0 :: v_dual_mov_b32 v102, 0
	v_mov_b32_e32 v101, 0
	s_and_not1_b32 vcc_lo, exec_lo, s3
	s_cbranch_vccnz .LBB54_12
; %bb.10:                               ;   in Loop: Header=BB54_6 Depth=1
	s_load_b32 s0, s[12:13], 0x4
	v_dual_mov_b32 v102, 0 :: v_dual_mov_b32 v101, 0
	s_waitcnt lgkmcnt(0)
	s_mul_hi_u32 s75, s0, s16
	s_delay_alu instid0(SALU_CYCLE_1) | instskip(NEXT) | instid1(SALU_CYCLE_1)
	s_add_i32 s75, s0, s75
	s_lshr_b32 s75, s75, s17
	s_delay_alu instid0(SALU_CYCLE_1)
	s_cmp_ge_i32 s75, s9
	s_cbranch_scc1 .LBB54_12
; %bb.11:                               ;   in Loop: Header=BB54_6 Depth=1
	v_mad_u64_u32 v[83:84], null, s75, s24, v[80:81]
	s_mul_i32 s75, s75, s18
	s_delay_alu instid0(SALU_CYCLE_1) | instskip(NEXT) | instid1(SALU_CYCLE_1)
	s_sub_i32 s0, s0, s75
	s_mul_i32 s0, s0, s5
	s_delay_alu instid0(VALU_DEP_1) | instid1(SALU_CYCLE_1)
	v_lshl_add_u32 v83, v83, 1, s0
	s_delay_alu instid0(VALU_DEP_1) | instskip(NEXT) | instid1(VALU_DEP_1)
	v_ashrrev_i32_e32 v84, 31, v83
	v_lshlrev_b64 v[83:84], 2, v[83:84]
	s_delay_alu instid0(VALU_DEP_1) | instskip(NEXT) | instid1(VALU_DEP_2)
	v_add_co_u32 v83, vcc_lo, s22, v83
	v_add_co_ci_u32_e32 v84, vcc_lo, s23, v84, vcc_lo
	global_load_b64 v[101:102], v[83:84], off
.LBB54_12:                              ;   in Loop: Header=BB54_6 Depth=1
	v_mov_b32_e32 v98, 0
	s_and_not1_b32 vcc_lo, exec_lo, s38
	s_cbranch_vccnz .LBB54_15
; %bb.13:                               ;   in Loop: Header=BB54_6 Depth=1
	s_load_b32 s0, s[12:13], 0x8
	v_dual_mov_b32 v98, 0 :: v_dual_mov_b32 v97, 0
	s_waitcnt lgkmcnt(0)
	s_mul_hi_u32 s75, s0, s16
	s_delay_alu instid0(SALU_CYCLE_1) | instskip(NEXT) | instid1(SALU_CYCLE_1)
	s_add_i32 s75, s0, s75
	s_lshr_b32 s75, s75, s17
	s_delay_alu instid0(SALU_CYCLE_1)
	s_cmp_ge_i32 s75, s9
	s_cbranch_scc1 .LBB54_15
; %bb.14:                               ;   in Loop: Header=BB54_6 Depth=1
	v_mad_u64_u32 v[83:84], null, s75, s24, v[80:81]
	s_mul_i32 s75, s75, s18
	s_delay_alu instid0(SALU_CYCLE_1) | instskip(NEXT) | instid1(SALU_CYCLE_1)
	s_sub_i32 s0, s0, s75
	s_mul_i32 s0, s0, s5
	s_delay_alu instid0(VALU_DEP_1) | instid1(SALU_CYCLE_1)
	v_lshl_add_u32 v83, v83, 1, s0
	s_delay_alu instid0(VALU_DEP_1) | instskip(NEXT) | instid1(VALU_DEP_1)
	v_ashrrev_i32_e32 v84, 31, v83
	v_lshlrev_b64 v[83:84], 2, v[83:84]
	s_delay_alu instid0(VALU_DEP_1) | instskip(NEXT) | instid1(VALU_DEP_2)
	v_add_co_u32 v83, vcc_lo, s22, v83
	v_add_co_ci_u32_e32 v84, vcc_lo, s23, v84, vcc_lo
	global_load_b64 v[97:98], v[83:84], off
.LBB54_15:                              ;   in Loop: Header=BB54_6 Depth=1
	v_dual_mov_b32 v93, 0 :: v_dual_mov_b32 v100, 0
	v_mov_b32_e32 v99, 0
	s_and_not1_b32 vcc_lo, exec_lo, s39
	s_cbranch_vccnz .LBB54_18
; %bb.16:                               ;   in Loop: Header=BB54_6 Depth=1
	s_load_b32 s0, s[12:13], 0xc
	v_dual_mov_b32 v100, 0 :: v_dual_mov_b32 v99, 0
	s_waitcnt lgkmcnt(0)
	s_mul_hi_u32 s75, s0, s16
	s_delay_alu instid0(SALU_CYCLE_1) | instskip(NEXT) | instid1(SALU_CYCLE_1)
	s_add_i32 s75, s0, s75
	s_lshr_b32 s75, s75, s17
	s_delay_alu instid0(SALU_CYCLE_1)
	s_cmp_ge_i32 s75, s9
	s_cbranch_scc1 .LBB54_18
; %bb.17:                               ;   in Loop: Header=BB54_6 Depth=1
	v_mad_u64_u32 v[83:84], null, s75, s24, v[80:81]
	s_mul_i32 s75, s75, s18
	s_delay_alu instid0(SALU_CYCLE_1) | instskip(NEXT) | instid1(SALU_CYCLE_1)
	s_sub_i32 s0, s0, s75
	s_mul_i32 s0, s0, s5
	s_delay_alu instid0(VALU_DEP_1) | instid1(SALU_CYCLE_1)
	v_lshl_add_u32 v83, v83, 1, s0
	s_delay_alu instid0(VALU_DEP_1) | instskip(NEXT) | instid1(VALU_DEP_1)
	v_ashrrev_i32_e32 v84, 31, v83
	v_lshlrev_b64 v[83:84], 2, v[83:84]
	s_delay_alu instid0(VALU_DEP_1) | instskip(NEXT) | instid1(VALU_DEP_2)
	v_add_co_u32 v83, vcc_lo, s22, v83
	v_add_co_ci_u32_e32 v84, vcc_lo, s23, v84, vcc_lo
	global_load_b64 v[99:100], v[83:84], off
.LBB54_18:                              ;   in Loop: Header=BB54_6 Depth=1
	v_mov_b32_e32 v94, 0
	s_and_not1_b32 vcc_lo, exec_lo, s40
	s_cbranch_vccnz .LBB54_21
; %bb.19:                               ;   in Loop: Header=BB54_6 Depth=1
	s_load_b32 s0, s[12:13], 0x10
	v_dual_mov_b32 v94, 0 :: v_dual_mov_b32 v93, 0
	s_waitcnt lgkmcnt(0)
	s_mul_hi_u32 s75, s0, s16
	s_delay_alu instid0(SALU_CYCLE_1) | instskip(NEXT) | instid1(SALU_CYCLE_1)
	s_add_i32 s75, s0, s75
	s_lshr_b32 s75, s75, s17
	s_delay_alu instid0(SALU_CYCLE_1)
	s_cmp_ge_i32 s75, s9
	s_cbranch_scc1 .LBB54_21
; %bb.20:                               ;   in Loop: Header=BB54_6 Depth=1
	v_mad_u64_u32 v[83:84], null, s75, s24, v[80:81]
	s_mul_i32 s75, s75, s18
	s_delay_alu instid0(SALU_CYCLE_1) | instskip(NEXT) | instid1(SALU_CYCLE_1)
	s_sub_i32 s0, s0, s75
	s_mul_i32 s0, s0, s5
	s_delay_alu instid0(VALU_DEP_1) | instid1(SALU_CYCLE_1)
	v_lshl_add_u32 v83, v83, 1, s0
	s_delay_alu instid0(VALU_DEP_1) | instskip(NEXT) | instid1(VALU_DEP_1)
	v_ashrrev_i32_e32 v84, 31, v83
	v_lshlrev_b64 v[83:84], 2, v[83:84]
	s_delay_alu instid0(VALU_DEP_1) | instskip(NEXT) | instid1(VALU_DEP_2)
	v_add_co_u32 v83, vcc_lo, s22, v83
	v_add_co_ci_u32_e32 v84, vcc_lo, s23, v84, vcc_lo
	global_load_b64 v[93:94], v[83:84], off
.LBB54_21:                              ;   in Loop: Header=BB54_6 Depth=1
	;; [unrolled: 61-line block ×5, first 2 shown]
	s_waitcnt vmcnt(0)
	v_and_b32_e32 v112, 0x7f800000, v103
	s_delay_alu instid0(VALU_DEP_1) | instskip(SKIP_1) | instid1(SALU_CYCLE_1)
	v_cmp_ne_u32_e32 vcc_lo, 0x7f800000, v112
                                        ; implicit-def: $vgpr112
	s_and_saveexec_b32 s0, vcc_lo
	s_xor_b32 s0, exec_lo, s0
; %bb.40:                               ;   in Loop: Header=BB54_6 Depth=1
	v_bfe_u32 v112, v103, 16, 1
	s_delay_alu instid0(VALU_DEP_1)
	v_add3_u32 v112, v103, v112, 0x7fff
; %bb.41:                               ;   in Loop: Header=BB54_6 Depth=1
	s_and_not1_saveexec_b32 s0, s0
; %bb.42:                               ;   in Loop: Header=BB54_6 Depth=1
	v_and_b32_e32 v112, 0xffff, v103
	v_or_b32_e32 v113, 0x10000, v103
	s_delay_alu instid0(VALU_DEP_2) | instskip(NEXT) | instid1(VALU_DEP_2)
	v_cmp_eq_u32_e32 vcc_lo, 0, v112
	v_cndmask_b32_e32 v112, v113, v103, vcc_lo
; %bb.43:                               ;   in Loop: Header=BB54_6 Depth=1
	s_or_b32 exec_lo, exec_lo, s0
	v_and_b32_e32 v103, 0x7f800000, v104
	s_delay_alu instid0(VALU_DEP_1) | instskip(SKIP_1) | instid1(SALU_CYCLE_1)
	v_cmp_ne_u32_e32 vcc_lo, 0x7f800000, v103
                                        ; implicit-def: $vgpr103
	s_and_saveexec_b32 s0, vcc_lo
	s_xor_b32 s0, exec_lo, s0
; %bb.44:                               ;   in Loop: Header=BB54_6 Depth=1
	v_bfe_u32 v103, v104, 16, 1
	s_delay_alu instid0(VALU_DEP_1)
	v_add3_u32 v103, v104, v103, 0x7fff
                                        ; implicit-def: $vgpr104
; %bb.45:                               ;   in Loop: Header=BB54_6 Depth=1
	s_and_not1_saveexec_b32 s0, s0
; %bb.46:                               ;   in Loop: Header=BB54_6 Depth=1
	v_and_b32_e32 v103, 0xffff, v104
	v_or_b32_e32 v113, 0x10000, v104
	s_delay_alu instid0(VALU_DEP_2) | instskip(NEXT) | instid1(VALU_DEP_2)
	v_cmp_eq_u32_e32 vcc_lo, 0, v103
	v_cndmask_b32_e32 v103, v113, v104, vcc_lo
; %bb.47:                               ;   in Loop: Header=BB54_6 Depth=1
	s_or_b32 exec_lo, exec_lo, s0
	v_and_b32_e32 v104, 0x7f800000, v101
	s_delay_alu instid0(VALU_DEP_2)
	v_perm_b32 v103, v103, v112, 0x7060302
	s_mov_b32 s0, exec_lo
	ds_store_b32 v109, v103
                                        ; implicit-def: $vgpr103
	v_cmpx_ne_u32_e32 0x7f800000, v104
	s_xor_b32 s0, exec_lo, s0
; %bb.48:                               ;   in Loop: Header=BB54_6 Depth=1
	v_bfe_u32 v103, v101, 16, 1
	s_delay_alu instid0(VALU_DEP_1)
	v_add3_u32 v103, v101, v103, 0x7fff
; %bb.49:                               ;   in Loop: Header=BB54_6 Depth=1
	s_and_not1_saveexec_b32 s0, s0
; %bb.50:                               ;   in Loop: Header=BB54_6 Depth=1
	v_and_b32_e32 v103, 0xffff, v101
	v_or_b32_e32 v104, 0x10000, v101
	s_delay_alu instid0(VALU_DEP_2) | instskip(NEXT) | instid1(VALU_DEP_2)
	v_cmp_eq_u32_e32 vcc_lo, 0, v103
	v_cndmask_b32_e32 v103, v104, v101, vcc_lo
; %bb.51:                               ;   in Loop: Header=BB54_6 Depth=1
	s_or_b32 exec_lo, exec_lo, s0
	v_and_b32_e32 v101, 0x7f800000, v102
	s_delay_alu instid0(VALU_DEP_1) | instskip(SKIP_1) | instid1(SALU_CYCLE_1)
	v_cmp_ne_u32_e32 vcc_lo, 0x7f800000, v101
                                        ; implicit-def: $vgpr101
	s_and_saveexec_b32 s0, vcc_lo
	s_xor_b32 s0, exec_lo, s0
; %bb.52:                               ;   in Loop: Header=BB54_6 Depth=1
	v_bfe_u32 v101, v102, 16, 1
	s_delay_alu instid0(VALU_DEP_1)
	v_add3_u32 v101, v102, v101, 0x7fff
                                        ; implicit-def: $vgpr102
; %bb.53:                               ;   in Loop: Header=BB54_6 Depth=1
	s_and_not1_saveexec_b32 s0, s0
; %bb.54:                               ;   in Loop: Header=BB54_6 Depth=1
	v_and_b32_e32 v101, 0xffff, v102
	v_or_b32_e32 v104, 0x10000, v102
	s_delay_alu instid0(VALU_DEP_2) | instskip(NEXT) | instid1(VALU_DEP_2)
	v_cmp_eq_u32_e32 vcc_lo, 0, v101
	v_cndmask_b32_e32 v101, v104, v102, vcc_lo
; %bb.55:                               ;   in Loop: Header=BB54_6 Depth=1
	s_or_b32 exec_lo, exec_lo, s0
	v_and_b32_e32 v102, 0x7f800000, v97
	s_delay_alu instid0(VALU_DEP_2)
	v_perm_b32 v101, v101, v103, 0x7060302
	s_mov_b32 s0, exec_lo
	ds_store_b32 v109, v101 offset:144
                                        ; implicit-def: $vgpr101
	v_cmpx_ne_u32_e32 0x7f800000, v102
	s_xor_b32 s0, exec_lo, s0
; %bb.56:                               ;   in Loop: Header=BB54_6 Depth=1
	v_bfe_u32 v101, v97, 16, 1
	s_delay_alu instid0(VALU_DEP_1)
	v_add3_u32 v101, v97, v101, 0x7fff
; %bb.57:                               ;   in Loop: Header=BB54_6 Depth=1
	s_and_not1_saveexec_b32 s0, s0
; %bb.58:                               ;   in Loop: Header=BB54_6 Depth=1
	v_and_b32_e32 v101, 0xffff, v97
	v_or_b32_e32 v102, 0x10000, v97
	s_delay_alu instid0(VALU_DEP_2) | instskip(NEXT) | instid1(VALU_DEP_2)
	v_cmp_eq_u32_e32 vcc_lo, 0, v101
	v_cndmask_b32_e32 v101, v102, v97, vcc_lo
; %bb.59:                               ;   in Loop: Header=BB54_6 Depth=1
	s_or_b32 exec_lo, exec_lo, s0
	v_and_b32_e32 v97, 0x7f800000, v98
	s_delay_alu instid0(VALU_DEP_1) | instskip(SKIP_1) | instid1(SALU_CYCLE_1)
	v_cmp_ne_u32_e32 vcc_lo, 0x7f800000, v97
                                        ; implicit-def: $vgpr97
	s_and_saveexec_b32 s0, vcc_lo
	s_xor_b32 s0, exec_lo, s0
; %bb.60:                               ;   in Loop: Header=BB54_6 Depth=1
	v_bfe_u32 v97, v98, 16, 1
	s_delay_alu instid0(VALU_DEP_1)
	v_add3_u32 v97, v98, v97, 0x7fff
                                        ; implicit-def: $vgpr98
; %bb.61:                               ;   in Loop: Header=BB54_6 Depth=1
	s_and_not1_saveexec_b32 s0, s0
; %bb.62:                               ;   in Loop: Header=BB54_6 Depth=1
	v_and_b32_e32 v97, 0xffff, v98
	v_or_b32_e32 v102, 0x10000, v98
	s_delay_alu instid0(VALU_DEP_2) | instskip(NEXT) | instid1(VALU_DEP_2)
	v_cmp_eq_u32_e32 vcc_lo, 0, v97
	v_cndmask_b32_e32 v97, v102, v98, vcc_lo
; %bb.63:                               ;   in Loop: Header=BB54_6 Depth=1
	s_or_b32 exec_lo, exec_lo, s0
	v_and_b32_e32 v98, 0x7f800000, v99
	s_delay_alu instid0(VALU_DEP_2)
	v_perm_b32 v97, v97, v101, 0x7060302
	s_mov_b32 s0, exec_lo
	ds_store_b32 v109, v97 offset:288
                                        ; implicit-def: $vgpr97
	v_cmpx_ne_u32_e32 0x7f800000, v98
	s_xor_b32 s0, exec_lo, s0
; %bb.64:                               ;   in Loop: Header=BB54_6 Depth=1
	v_bfe_u32 v97, v99, 16, 1
	s_delay_alu instid0(VALU_DEP_1)
	v_add3_u32 v97, v99, v97, 0x7fff
; %bb.65:                               ;   in Loop: Header=BB54_6 Depth=1
	s_and_not1_saveexec_b32 s0, s0
; %bb.66:                               ;   in Loop: Header=BB54_6 Depth=1
	v_and_b32_e32 v97, 0xffff, v99
	v_or_b32_e32 v98, 0x10000, v99
	s_delay_alu instid0(VALU_DEP_2) | instskip(NEXT) | instid1(VALU_DEP_2)
	v_cmp_eq_u32_e32 vcc_lo, 0, v97
	v_cndmask_b32_e32 v97, v98, v99, vcc_lo
; %bb.67:                               ;   in Loop: Header=BB54_6 Depth=1
	s_or_b32 exec_lo, exec_lo, s0
	v_and_b32_e32 v98, 0x7f800000, v100
	s_delay_alu instid0(VALU_DEP_1) | instskip(SKIP_1) | instid1(SALU_CYCLE_1)
	v_cmp_ne_u32_e32 vcc_lo, 0x7f800000, v98
                                        ; implicit-def: $vgpr98
	s_and_saveexec_b32 s0, vcc_lo
	s_xor_b32 s0, exec_lo, s0
; %bb.68:                               ;   in Loop: Header=BB54_6 Depth=1
	v_bfe_u32 v98, v100, 16, 1
	s_delay_alu instid0(VALU_DEP_1)
	v_add3_u32 v98, v100, v98, 0x7fff
                                        ; implicit-def: $vgpr100
; %bb.69:                               ;   in Loop: Header=BB54_6 Depth=1
	s_and_not1_saveexec_b32 s0, s0
; %bb.70:                               ;   in Loop: Header=BB54_6 Depth=1
	v_and_b32_e32 v98, 0xffff, v100
	v_or_b32_e32 v99, 0x10000, v100
	s_delay_alu instid0(VALU_DEP_2) | instskip(NEXT) | instid1(VALU_DEP_2)
	v_cmp_eq_u32_e32 vcc_lo, 0, v98
	v_cndmask_b32_e32 v98, v99, v100, vcc_lo
; %bb.71:                               ;   in Loop: Header=BB54_6 Depth=1
	s_or_b32 exec_lo, exec_lo, s0
	v_and_b32_e32 v99, 0x7f800000, v93
	s_delay_alu instid0(VALU_DEP_2)
	v_perm_b32 v97, v98, v97, 0x7060302
	s_mov_b32 s0, exec_lo
	ds_store_b32 v109, v97 offset:432
                                        ; implicit-def: $vgpr97
	v_cmpx_ne_u32_e32 0x7f800000, v99
	s_xor_b32 s0, exec_lo, s0
; %bb.72:                               ;   in Loop: Header=BB54_6 Depth=1
	v_bfe_u32 v97, v93, 16, 1
	s_delay_alu instid0(VALU_DEP_1)
	v_add3_u32 v97, v93, v97, 0x7fff
; %bb.73:                               ;   in Loop: Header=BB54_6 Depth=1
	s_and_not1_saveexec_b32 s0, s0
; %bb.74:                               ;   in Loop: Header=BB54_6 Depth=1
	v_and_b32_e32 v97, 0xffff, v93
	v_or_b32_e32 v98, 0x10000, v93
	s_delay_alu instid0(VALU_DEP_2) | instskip(NEXT) | instid1(VALU_DEP_2)
	v_cmp_eq_u32_e32 vcc_lo, 0, v97
	v_cndmask_b32_e32 v97, v98, v93, vcc_lo
; %bb.75:                               ;   in Loop: Header=BB54_6 Depth=1
	s_or_b32 exec_lo, exec_lo, s0
	v_and_b32_e32 v93, 0x7f800000, v94
	s_delay_alu instid0(VALU_DEP_1) | instskip(SKIP_1) | instid1(SALU_CYCLE_1)
	v_cmp_ne_u32_e32 vcc_lo, 0x7f800000, v93
                                        ; implicit-def: $vgpr93
	s_and_saveexec_b32 s0, vcc_lo
	s_xor_b32 s0, exec_lo, s0
; %bb.76:                               ;   in Loop: Header=BB54_6 Depth=1
	v_bfe_u32 v93, v94, 16, 1
	s_delay_alu instid0(VALU_DEP_1)
	v_add3_u32 v93, v94, v93, 0x7fff
                                        ; implicit-def: $vgpr94
; %bb.77:                               ;   in Loop: Header=BB54_6 Depth=1
	s_and_not1_saveexec_b32 s0, s0
; %bb.78:                               ;   in Loop: Header=BB54_6 Depth=1
	v_and_b32_e32 v93, 0xffff, v94
	v_or_b32_e32 v98, 0x10000, v94
	s_delay_alu instid0(VALU_DEP_2) | instskip(NEXT) | instid1(VALU_DEP_2)
	v_cmp_eq_u32_e32 vcc_lo, 0, v93
	v_cndmask_b32_e32 v93, v98, v94, vcc_lo
; %bb.79:                               ;   in Loop: Header=BB54_6 Depth=1
	s_or_b32 exec_lo, exec_lo, s0
	v_and_b32_e32 v94, 0x7f800000, v95
	s_delay_alu instid0(VALU_DEP_2)
	v_perm_b32 v93, v93, v97, 0x7060302
	s_mov_b32 s0, exec_lo
	ds_store_b32 v109, v93 offset:576
                                        ; implicit-def: $vgpr93
	v_cmpx_ne_u32_e32 0x7f800000, v94
	s_xor_b32 s0, exec_lo, s0
; %bb.80:                               ;   in Loop: Header=BB54_6 Depth=1
	v_bfe_u32 v93, v95, 16, 1
	s_delay_alu instid0(VALU_DEP_1)
	v_add3_u32 v93, v95, v93, 0x7fff
; %bb.81:                               ;   in Loop: Header=BB54_6 Depth=1
	s_and_not1_saveexec_b32 s0, s0
; %bb.82:                               ;   in Loop: Header=BB54_6 Depth=1
	v_and_b32_e32 v93, 0xffff, v95
	v_or_b32_e32 v94, 0x10000, v95
	s_delay_alu instid0(VALU_DEP_2) | instskip(NEXT) | instid1(VALU_DEP_2)
	v_cmp_eq_u32_e32 vcc_lo, 0, v93
	v_cndmask_b32_e32 v93, v94, v95, vcc_lo
; %bb.83:                               ;   in Loop: Header=BB54_6 Depth=1
	s_or_b32 exec_lo, exec_lo, s0
	v_and_b32_e32 v94, 0x7f800000, v96
	s_delay_alu instid0(VALU_DEP_1) | instskip(SKIP_1) | instid1(SALU_CYCLE_1)
	v_cmp_ne_u32_e32 vcc_lo, 0x7f800000, v94
                                        ; implicit-def: $vgpr94
	s_and_saveexec_b32 s0, vcc_lo
	s_xor_b32 s0, exec_lo, s0
; %bb.84:                               ;   in Loop: Header=BB54_6 Depth=1
	v_bfe_u32 v94, v96, 16, 1
	s_delay_alu instid0(VALU_DEP_1)
	v_add3_u32 v94, v96, v94, 0x7fff
                                        ; implicit-def: $vgpr96
; %bb.85:                               ;   in Loop: Header=BB54_6 Depth=1
	s_and_not1_saveexec_b32 s0, s0
; %bb.86:                               ;   in Loop: Header=BB54_6 Depth=1
	v_and_b32_e32 v94, 0xffff, v96
	v_or_b32_e32 v95, 0x10000, v96
	s_delay_alu instid0(VALU_DEP_2) | instskip(NEXT) | instid1(VALU_DEP_2)
	v_cmp_eq_u32_e32 vcc_lo, 0, v94
	v_cndmask_b32_e32 v94, v95, v96, vcc_lo
; %bb.87:                               ;   in Loop: Header=BB54_6 Depth=1
	s_or_b32 exec_lo, exec_lo, s0
	v_and_b32_e32 v95, 0x7f800000, v89
	s_delay_alu instid0(VALU_DEP_2)
	v_perm_b32 v93, v94, v93, 0x7060302
	s_mov_b32 s0, exec_lo
	ds_store_b32 v109, v93 offset:720
                                        ; implicit-def: $vgpr93
	v_cmpx_ne_u32_e32 0x7f800000, v95
	s_xor_b32 s0, exec_lo, s0
; %bb.88:                               ;   in Loop: Header=BB54_6 Depth=1
	v_bfe_u32 v93, v89, 16, 1
	s_delay_alu instid0(VALU_DEP_1)
	v_add3_u32 v93, v89, v93, 0x7fff
; %bb.89:                               ;   in Loop: Header=BB54_6 Depth=1
	s_and_not1_saveexec_b32 s0, s0
; %bb.90:                               ;   in Loop: Header=BB54_6 Depth=1
	v_and_b32_e32 v93, 0xffff, v89
	v_or_b32_e32 v94, 0x10000, v89
	s_delay_alu instid0(VALU_DEP_2) | instskip(NEXT) | instid1(VALU_DEP_2)
	v_cmp_eq_u32_e32 vcc_lo, 0, v93
	v_cndmask_b32_e32 v93, v94, v89, vcc_lo
; %bb.91:                               ;   in Loop: Header=BB54_6 Depth=1
	s_or_b32 exec_lo, exec_lo, s0
	v_and_b32_e32 v89, 0x7f800000, v90
	s_delay_alu instid0(VALU_DEP_1) | instskip(SKIP_1) | instid1(SALU_CYCLE_1)
	v_cmp_ne_u32_e32 vcc_lo, 0x7f800000, v89
                                        ; implicit-def: $vgpr89
	s_and_saveexec_b32 s0, vcc_lo
	s_xor_b32 s0, exec_lo, s0
; %bb.92:                               ;   in Loop: Header=BB54_6 Depth=1
	v_bfe_u32 v89, v90, 16, 1
	s_delay_alu instid0(VALU_DEP_1)
	v_add3_u32 v89, v90, v89, 0x7fff
                                        ; implicit-def: $vgpr90
; %bb.93:                               ;   in Loop: Header=BB54_6 Depth=1
	s_and_not1_saveexec_b32 s0, s0
; %bb.94:                               ;   in Loop: Header=BB54_6 Depth=1
	v_and_b32_e32 v89, 0xffff, v90
	v_or_b32_e32 v94, 0x10000, v90
	s_delay_alu instid0(VALU_DEP_2) | instskip(NEXT) | instid1(VALU_DEP_2)
	v_cmp_eq_u32_e32 vcc_lo, 0, v89
	v_cndmask_b32_e32 v89, v94, v90, vcc_lo
; %bb.95:                               ;   in Loop: Header=BB54_6 Depth=1
	s_or_b32 exec_lo, exec_lo, s0
	v_and_b32_e32 v90, 0x7f800000, v91
	s_delay_alu instid0(VALU_DEP_2)
	v_perm_b32 v89, v89, v93, 0x7060302
	s_mov_b32 s0, exec_lo
	ds_store_b32 v109, v89 offset:864
                                        ; implicit-def: $vgpr89
	v_cmpx_ne_u32_e32 0x7f800000, v90
	s_xor_b32 s0, exec_lo, s0
; %bb.96:                               ;   in Loop: Header=BB54_6 Depth=1
	v_bfe_u32 v89, v91, 16, 1
	s_delay_alu instid0(VALU_DEP_1)
	v_add3_u32 v89, v91, v89, 0x7fff
; %bb.97:                               ;   in Loop: Header=BB54_6 Depth=1
	s_and_not1_saveexec_b32 s0, s0
; %bb.98:                               ;   in Loop: Header=BB54_6 Depth=1
	v_and_b32_e32 v89, 0xffff, v91
	v_or_b32_e32 v90, 0x10000, v91
	s_delay_alu instid0(VALU_DEP_2) | instskip(NEXT) | instid1(VALU_DEP_2)
	v_cmp_eq_u32_e32 vcc_lo, 0, v89
	v_cndmask_b32_e32 v89, v90, v91, vcc_lo
; %bb.99:                               ;   in Loop: Header=BB54_6 Depth=1
	s_or_b32 exec_lo, exec_lo, s0
	v_and_b32_e32 v90, 0x7f800000, v92
	s_delay_alu instid0(VALU_DEP_1) | instskip(SKIP_1) | instid1(SALU_CYCLE_1)
	v_cmp_ne_u32_e32 vcc_lo, 0x7f800000, v90
                                        ; implicit-def: $vgpr90
	s_and_saveexec_b32 s0, vcc_lo
	s_xor_b32 s0, exec_lo, s0
; %bb.100:                              ;   in Loop: Header=BB54_6 Depth=1
	v_bfe_u32 v90, v92, 16, 1
	s_delay_alu instid0(VALU_DEP_1)
	v_add3_u32 v90, v92, v90, 0x7fff
                                        ; implicit-def: $vgpr92
; %bb.101:                              ;   in Loop: Header=BB54_6 Depth=1
	s_and_not1_saveexec_b32 s0, s0
; %bb.102:                              ;   in Loop: Header=BB54_6 Depth=1
	v_and_b32_e32 v90, 0xffff, v92
	v_or_b32_e32 v91, 0x10000, v92
	s_delay_alu instid0(VALU_DEP_2) | instskip(NEXT) | instid1(VALU_DEP_2)
	v_cmp_eq_u32_e32 vcc_lo, 0, v90
	v_cndmask_b32_e32 v90, v91, v92, vcc_lo
; %bb.103:                              ;   in Loop: Header=BB54_6 Depth=1
	s_or_b32 exec_lo, exec_lo, s0
	v_and_b32_e32 v91, 0x7f800000, v85
	s_delay_alu instid0(VALU_DEP_2)
	v_perm_b32 v89, v90, v89, 0x7060302
	s_mov_b32 s0, exec_lo
	ds_store_b32 v109, v89 offset:1008
                                        ; implicit-def: $vgpr89
	v_cmpx_ne_u32_e32 0x7f800000, v91
	s_xor_b32 s0, exec_lo, s0
; %bb.104:                              ;   in Loop: Header=BB54_6 Depth=1
	v_bfe_u32 v89, v85, 16, 1
	s_delay_alu instid0(VALU_DEP_1)
	v_add3_u32 v89, v85, v89, 0x7fff
; %bb.105:                              ;   in Loop: Header=BB54_6 Depth=1
	s_and_not1_saveexec_b32 s0, s0
; %bb.106:                              ;   in Loop: Header=BB54_6 Depth=1
	v_and_b32_e32 v89, 0xffff, v85
	v_or_b32_e32 v90, 0x10000, v85
	s_delay_alu instid0(VALU_DEP_2) | instskip(NEXT) | instid1(VALU_DEP_2)
	v_cmp_eq_u32_e32 vcc_lo, 0, v89
	v_cndmask_b32_e32 v89, v90, v85, vcc_lo
; %bb.107:                              ;   in Loop: Header=BB54_6 Depth=1
	s_or_b32 exec_lo, exec_lo, s0
	v_and_b32_e32 v85, 0x7f800000, v86
	s_delay_alu instid0(VALU_DEP_1) | instskip(SKIP_1) | instid1(SALU_CYCLE_1)
	v_cmp_ne_u32_e32 vcc_lo, 0x7f800000, v85
                                        ; implicit-def: $vgpr85
	s_and_saveexec_b32 s0, vcc_lo
	s_xor_b32 s0, exec_lo, s0
; %bb.108:                              ;   in Loop: Header=BB54_6 Depth=1
	v_bfe_u32 v85, v86, 16, 1
	s_delay_alu instid0(VALU_DEP_1)
	v_add3_u32 v85, v86, v85, 0x7fff
                                        ; implicit-def: $vgpr86
; %bb.109:                              ;   in Loop: Header=BB54_6 Depth=1
	s_and_not1_saveexec_b32 s0, s0
; %bb.110:                              ;   in Loop: Header=BB54_6 Depth=1
	v_and_b32_e32 v85, 0xffff, v86
	v_or_b32_e32 v90, 0x10000, v86
	s_delay_alu instid0(VALU_DEP_2) | instskip(NEXT) | instid1(VALU_DEP_2)
	v_cmp_eq_u32_e32 vcc_lo, 0, v85
	v_cndmask_b32_e32 v85, v90, v86, vcc_lo
; %bb.111:                              ;   in Loop: Header=BB54_6 Depth=1
	s_or_b32 exec_lo, exec_lo, s0
	v_and_b32_e32 v86, 0x7f800000, v87
	s_delay_alu instid0(VALU_DEP_2)
	v_perm_b32 v85, v85, v89, 0x7060302
	s_mov_b32 s0, exec_lo
	ds_store_b32 v109, v85 offset:1152
                                        ; implicit-def: $vgpr85
	v_cmpx_ne_u32_e32 0x7f800000, v86
	s_xor_b32 s0, exec_lo, s0
; %bb.112:                              ;   in Loop: Header=BB54_6 Depth=1
	v_bfe_u32 v85, v87, 16, 1
	s_delay_alu instid0(VALU_DEP_1)
	v_add3_u32 v85, v87, v85, 0x7fff
; %bb.113:                              ;   in Loop: Header=BB54_6 Depth=1
	s_and_not1_saveexec_b32 s0, s0
; %bb.114:                              ;   in Loop: Header=BB54_6 Depth=1
	v_and_b32_e32 v85, 0xffff, v87
	v_or_b32_e32 v86, 0x10000, v87
	s_delay_alu instid0(VALU_DEP_2) | instskip(NEXT) | instid1(VALU_DEP_2)
	v_cmp_eq_u32_e32 vcc_lo, 0, v85
	v_cndmask_b32_e32 v85, v86, v87, vcc_lo
; %bb.115:                              ;   in Loop: Header=BB54_6 Depth=1
	s_or_b32 exec_lo, exec_lo, s0
	v_and_b32_e32 v86, 0x7f800000, v88
	s_delay_alu instid0(VALU_DEP_1) | instskip(SKIP_1) | instid1(SALU_CYCLE_1)
	v_cmp_ne_u32_e32 vcc_lo, 0x7f800000, v86
                                        ; implicit-def: $vgpr86
	s_and_saveexec_b32 s0, vcc_lo
	s_xor_b32 s0, exec_lo, s0
; %bb.116:                              ;   in Loop: Header=BB54_6 Depth=1
	v_bfe_u32 v86, v88, 16, 1
	s_delay_alu instid0(VALU_DEP_1)
	v_add3_u32 v86, v88, v86, 0x7fff
                                        ; implicit-def: $vgpr88
; %bb.117:                              ;   in Loop: Header=BB54_6 Depth=1
	s_and_not1_saveexec_b32 s0, s0
; %bb.118:                              ;   in Loop: Header=BB54_6 Depth=1
	v_and_b32_e32 v86, 0xffff, v88
	v_or_b32_e32 v87, 0x10000, v88
	s_delay_alu instid0(VALU_DEP_2) | instskip(NEXT) | instid1(VALU_DEP_2)
	v_cmp_eq_u32_e32 vcc_lo, 0, v86
	v_cndmask_b32_e32 v86, v87, v88, vcc_lo
; %bb.119:                              ;   in Loop: Header=BB54_6 Depth=1
	s_or_b32 exec_lo, exec_lo, s0
	v_and_b32_e32 v87, 0x7f800000, v83
	s_delay_alu instid0(VALU_DEP_2)
	v_perm_b32 v85, v86, v85, 0x7060302
	s_mov_b32 s0, exec_lo
	ds_store_b32 v109, v85 offset:1296
                                        ; implicit-def: $vgpr85
	v_cmpx_ne_u32_e32 0x7f800000, v87
	s_xor_b32 s0, exec_lo, s0
; %bb.120:                              ;   in Loop: Header=BB54_6 Depth=1
	v_bfe_u32 v85, v83, 16, 1
	s_delay_alu instid0(VALU_DEP_1)
	v_add3_u32 v85, v83, v85, 0x7fff
; %bb.121:                              ;   in Loop: Header=BB54_6 Depth=1
	s_and_not1_saveexec_b32 s0, s0
; %bb.122:                              ;   in Loop: Header=BB54_6 Depth=1
	v_and_b32_e32 v85, 0xffff, v83
	v_or_b32_e32 v86, 0x10000, v83
	s_delay_alu instid0(VALU_DEP_2) | instskip(NEXT) | instid1(VALU_DEP_2)
	v_cmp_eq_u32_e32 vcc_lo, 0, v85
	v_cndmask_b32_e32 v85, v86, v83, vcc_lo
; %bb.123:                              ;   in Loop: Header=BB54_6 Depth=1
	s_or_b32 exec_lo, exec_lo, s0
	v_and_b32_e32 v83, 0x7f800000, v84
	s_delay_alu instid0(VALU_DEP_1) | instskip(SKIP_1) | instid1(SALU_CYCLE_1)
	v_cmp_ne_u32_e32 vcc_lo, 0x7f800000, v83
                                        ; implicit-def: $vgpr83
	s_and_saveexec_b32 s0, vcc_lo
	s_xor_b32 s0, exec_lo, s0
; %bb.124:                              ;   in Loop: Header=BB54_6 Depth=1
	v_bfe_u32 v83, v84, 16, 1
	s_delay_alu instid0(VALU_DEP_1)
	v_add3_u32 v83, v84, v83, 0x7fff
                                        ; implicit-def: $vgpr84
; %bb.125:                              ;   in Loop: Header=BB54_6 Depth=1
	s_and_not1_saveexec_b32 s0, s0
	s_cbranch_execz .LBB54_5
; %bb.126:                              ;   in Loop: Header=BB54_6 Depth=1
	v_and_b32_e32 v83, 0xffff, v84
	v_or_b32_e32 v86, 0x10000, v84
	s_delay_alu instid0(VALU_DEP_2) | instskip(NEXT) | instid1(VALU_DEP_2)
	v_cmp_eq_u32_e32 vcc_lo, 0, v83
	v_cndmask_b32_e32 v83, v86, v84, vcc_lo
	s_branch .LBB54_5
.LBB54_127:
	s_or_b32 exec_lo, exec_lo, s41
.LBB54_128:
	s_delay_alu instid0(SALU_CYCLE_1)
	s_or_b32 exec_lo, exec_lo, s36
	v_lshrrev_b32_e32 v16, 2, v106
	v_mad_u32_u24 v17, 0x110, v108, 0
	v_lshlrev_b32_e32 v18, 2, v107
	s_waitcnt lgkmcnt(0)
	s_barrier
	v_and_b32_e32 v16, 0xfc, v16
	buffer_gl0_inv
	s_lshl_b64 s[4:5], s[30:31], 2
	v_cmp_gt_u32_e64 s0, 11, v105
	s_add_u32 s1, s34, s4
	v_add3_u32 v16, v17, v16, v18
	s_addc_u32 s4, s35, s5
	s_cmp_gt_i32 s10, 0
	ds_store_2addr_b32 v16, v8, v9 offset1:2
	ds_store_2addr_b32 v16, v10, v11 offset0:4 offset1:6
	ds_store_2addr_b32 v16, v12, v13 offset0:8 offset1:10
	;; [unrolled: 1-line block ×6, first 2 shown]
	v_add_nc_u32_e32 v0, s2, v105
	s_cselect_b32 s3, -1, 0
	v_lshl_add_u32 v4, v106, 2, 0
	v_add_nc_u32_e32 v3, s7, v106
	v_mul_u32_u24_e32 v5, 0x110, v105
	v_cmp_gt_i32_e32 vcc_lo, s33, v0
	ds_store_2addr_b32 v16, v6, v7 offset0:28 offset1:30
	s_waitcnt lgkmcnt(0)
	s_barrier
	buffer_gl0_inv
	s_and_b32 s5, s3, vcc_lo
	s_delay_alu instid0(SALU_CYCLE_1) | instskip(NEXT) | instid1(SALU_CYCLE_1)
	s_and_b32 s5, s0, s5
	s_and_saveexec_b32 s0, s5
	s_cbranch_execz .LBB54_131
; %bb.129:
	v_ashrrev_i32_e32 v1, 31, v0
	s_delay_alu instid0(VALU_DEP_1) | instskip(NEXT) | instid1(VALU_DEP_1)
	v_lshlrev_b64 v[1:2], 2, v[0:1]
	v_add_co_u32 v1, vcc_lo, s1, v1
	s_delay_alu instid0(VALU_DEP_2) | instskip(SKIP_3) | instid1(VALU_DEP_1)
	v_add_co_ci_u32_e32 v2, vcc_lo, s4, v2, vcc_lo
	global_load_b32 v1, v[1:2], off
	s_waitcnt vmcnt(0)
	v_mul_hi_u32 v2, v1, s19
	v_add_nc_u32_e32 v2, v1, v2
	s_delay_alu instid0(VALU_DEP_1) | instskip(NEXT) | instid1(VALU_DEP_1)
	v_lshrrev_b32_e32 v2, s26, v2
	v_cmp_gt_i32_e32 vcc_lo, s9, v2
	s_and_b32 exec_lo, exec_lo, vcc_lo
	s_cbranch_execz .LBB54_131
; %bb.130:
	v_mul_lo_u32 v8, v2, s27
	v_add_nc_u32_e32 v6, v4, v5
	ds_load_2addr_b32 v[6:7], v6 offset1:32
	v_sub_nc_u32_e32 v1, v1, v8
	v_mul_lo_u32 v8, v2, s25
	v_mov_b32_e32 v2, 0
	s_delay_alu instid0(VALU_DEP_3) | instskip(NEXT) | instid1(VALU_DEP_1)
	v_mul_lo_u32 v1, v1, s6
	v_add3_u32 v1, v3, v8, v1
	s_waitcnt lgkmcnt(0)
	v_add_f32_e32 v6, 0, v6
	s_delay_alu instid0(VALU_DEP_2) | instskip(NEXT) | instid1(VALU_DEP_2)
	v_lshlrev_b64 v[1:2], 2, v[1:2]
	v_add_f32_e32 v6, v6, v7
	s_delay_alu instid0(VALU_DEP_2) | instskip(NEXT) | instid1(VALU_DEP_3)
	v_add_co_u32 v1, vcc_lo, s28, v1
	v_add_co_ci_u32_e32 v2, vcc_lo, s29, v2, vcc_lo
	global_store_b32 v[1:2], v6, off
.LBB54_131:
	s_or_b32 exec_lo, exec_lo, s0
	v_add_nc_u32_e32 v1, 2, v0
	v_cmp_gt_u32_e64 s0, 9, v105
	s_delay_alu instid0(VALU_DEP_2)
	v_cmp_gt_i32_e32 vcc_lo, s33, v1
	s_and_b32 s5, s3, vcc_lo
	s_delay_alu instid0(VALU_DEP_2) | instid1(SALU_CYCLE_1)
	s_and_b32 s5, s0, s5
	s_delay_alu instid0(SALU_CYCLE_1)
	s_and_saveexec_b32 s0, s5
	s_cbranch_execz .LBB54_134
; %bb.132:
	s_ashr_i32 s5, s2, 31
	v_add_co_u32 v1, s7, v105, s2
	s_delay_alu instid0(VALU_DEP_1) | instskip(NEXT) | instid1(VALU_DEP_1)
	v_add_co_ci_u32_e64 v2, null, 0, s5, s7
	v_lshlrev_b64 v[1:2], 2, v[1:2]
	s_delay_alu instid0(VALU_DEP_1) | instskip(NEXT) | instid1(VALU_DEP_2)
	v_add_co_u32 v1, vcc_lo, s1, v1
	v_add_co_ci_u32_e32 v2, vcc_lo, s4, v2, vcc_lo
	global_load_b32 v1, v[1:2], off offset:8
	s_waitcnt vmcnt(0)
	v_mul_hi_u32 v2, v1, s19
	s_delay_alu instid0(VALU_DEP_1) | instskip(NEXT) | instid1(VALU_DEP_1)
	v_add_nc_u32_e32 v2, v1, v2
	v_lshrrev_b32_e32 v6, s26, v2
	v_mov_b32_e32 v2, 0
	s_delay_alu instid0(VALU_DEP_2)
	v_cmp_gt_i32_e32 vcc_lo, s9, v6
	s_and_b32 exec_lo, exec_lo, vcc_lo
	s_cbranch_execz .LBB54_134
; %bb.133:
	v_mul_lo_u32 v9, v6, s27
	v_add_nc_u32_e32 v7, v5, v4
	v_mul_lo_u32 v6, v6, s25
	ds_load_2addr_b32 v[7:8], v7 offset0:136 offset1:168
	v_sub_nc_u32_e32 v1, v1, v9
	s_delay_alu instid0(VALU_DEP_1) | instskip(NEXT) | instid1(VALU_DEP_1)
	v_mul_lo_u32 v1, v1, s6
	v_add3_u32 v1, v3, v6, v1
	s_waitcnt lgkmcnt(0)
	v_add_f32_e32 v6, 0, v7
	s_delay_alu instid0(VALU_DEP_2) | instskip(NEXT) | instid1(VALU_DEP_2)
	v_lshlrev_b64 v[1:2], 2, v[1:2]
	v_add_f32_e32 v6, v6, v8
	s_delay_alu instid0(VALU_DEP_2) | instskip(NEXT) | instid1(VALU_DEP_3)
	v_add_co_u32 v1, vcc_lo, s28, v1
	v_add_co_ci_u32_e32 v2, vcc_lo, s29, v2, vcc_lo
	global_store_b32 v[1:2], v6, off
.LBB54_134:
	s_or_b32 exec_lo, exec_lo, s0
	v_add_nc_u32_e32 v1, 4, v0
	v_cmp_gt_u32_e64 s0, 7, v105
	s_delay_alu instid0(VALU_DEP_2)
	v_cmp_gt_i32_e32 vcc_lo, s33, v1
	s_and_b32 s5, s3, vcc_lo
	s_delay_alu instid0(VALU_DEP_2) | instid1(SALU_CYCLE_1)
	s_and_b32 s5, s0, s5
	s_delay_alu instid0(SALU_CYCLE_1)
	s_and_saveexec_b32 s0, s5
	s_cbranch_execz .LBB54_137
; %bb.135:
	s_ashr_i32 s5, s2, 31
	v_add_co_u32 v1, s7, v105, s2
	s_delay_alu instid0(VALU_DEP_1) | instskip(NEXT) | instid1(VALU_DEP_1)
	v_add_co_ci_u32_e64 v2, null, 0, s5, s7
	v_lshlrev_b64 v[1:2], 2, v[1:2]
	s_delay_alu instid0(VALU_DEP_1) | instskip(NEXT) | instid1(VALU_DEP_2)
	v_add_co_u32 v1, vcc_lo, s1, v1
	v_add_co_ci_u32_e32 v2, vcc_lo, s4, v2, vcc_lo
	global_load_b32 v1, v[1:2], off offset:16
	s_waitcnt vmcnt(0)
	v_mul_hi_u32 v2, v1, s19
	s_delay_alu instid0(VALU_DEP_1) | instskip(NEXT) | instid1(VALU_DEP_1)
	v_add_nc_u32_e32 v2, v1, v2
	v_lshrrev_b32_e32 v6, s26, v2
	v_mov_b32_e32 v2, 0
	s_delay_alu instid0(VALU_DEP_2)
	v_cmp_gt_i32_e32 vcc_lo, s9, v6
	s_and_b32 exec_lo, exec_lo, vcc_lo
	s_cbranch_execz .LBB54_137
; %bb.136:
	v_add_nc_u32_e32 v7, v4, v5
	v_mul_lo_u32 v9, v6, s27
	v_mul_lo_u32 v6, v6, s25
	s_delay_alu instid0(VALU_DEP_3) | instskip(NEXT) | instid1(VALU_DEP_3)
	v_add_nc_u32_e32 v7, 0x400, v7
	v_sub_nc_u32_e32 v1, v1, v9
	ds_load_2addr_b32 v[7:8], v7 offset0:16 offset1:48
	v_mul_lo_u32 v1, v1, s6
	s_delay_alu instid0(VALU_DEP_1) | instskip(NEXT) | instid1(VALU_DEP_1)
	v_add3_u32 v1, v3, v6, v1
	v_lshlrev_b64 v[1:2], 2, v[1:2]
	s_waitcnt lgkmcnt(0)
	v_add_f32_e32 v6, 0, v7
	s_delay_alu instid0(VALU_DEP_2) | instskip(NEXT) | instid1(VALU_DEP_2)
	v_add_co_u32 v1, vcc_lo, s28, v1
	v_add_f32_e32 v6, v6, v8
	s_delay_alu instid0(VALU_DEP_4)
	v_add_co_ci_u32_e32 v2, vcc_lo, s29, v2, vcc_lo
	global_store_b32 v[1:2], v6, off
.LBB54_137:
	s_or_b32 exec_lo, exec_lo, s0
	v_add_nc_u32_e32 v1, 6, v0
	v_cmp_gt_u32_e64 s0, 5, v105
	s_delay_alu instid0(VALU_DEP_2)
	v_cmp_gt_i32_e32 vcc_lo, s33, v1
	s_and_b32 s5, s3, vcc_lo
	s_delay_alu instid0(VALU_DEP_2) | instid1(SALU_CYCLE_1)
	s_and_b32 s5, s0, s5
	s_delay_alu instid0(SALU_CYCLE_1)
	s_and_saveexec_b32 s0, s5
	s_cbranch_execz .LBB54_140
; %bb.138:
	s_ashr_i32 s5, s2, 31
	v_add_co_u32 v1, s7, v105, s2
	s_delay_alu instid0(VALU_DEP_1) | instskip(NEXT) | instid1(VALU_DEP_1)
	v_add_co_ci_u32_e64 v2, null, 0, s5, s7
	v_lshlrev_b64 v[1:2], 2, v[1:2]
	s_delay_alu instid0(VALU_DEP_1) | instskip(NEXT) | instid1(VALU_DEP_2)
	v_add_co_u32 v1, vcc_lo, s1, v1
	v_add_co_ci_u32_e32 v2, vcc_lo, s4, v2, vcc_lo
	global_load_b32 v1, v[1:2], off offset:24
	s_waitcnt vmcnt(0)
	v_mul_hi_u32 v2, v1, s19
	s_delay_alu instid0(VALU_DEP_1) | instskip(NEXT) | instid1(VALU_DEP_1)
	v_add_nc_u32_e32 v2, v1, v2
	v_lshrrev_b32_e32 v6, s26, v2
	v_mov_b32_e32 v2, 0
	s_delay_alu instid0(VALU_DEP_2)
	v_cmp_gt_i32_e32 vcc_lo, s9, v6
	s_and_b32 exec_lo, exec_lo, vcc_lo
	s_cbranch_execz .LBB54_140
; %bb.139:
	v_add_nc_u32_e32 v7, v4, v5
	v_mul_lo_u32 v9, v6, s27
	v_mul_lo_u32 v6, v6, s25
	s_delay_alu instid0(VALU_DEP_3) | instskip(NEXT) | instid1(VALU_DEP_3)
	v_add_nc_u32_e32 v7, 0x400, v7
	v_sub_nc_u32_e32 v1, v1, v9
	ds_load_2addr_b32 v[7:8], v7 offset0:152 offset1:184
	v_mul_lo_u32 v1, v1, s6
	s_delay_alu instid0(VALU_DEP_1) | instskip(NEXT) | instid1(VALU_DEP_1)
	v_add3_u32 v1, v3, v6, v1
	v_lshlrev_b64 v[1:2], 2, v[1:2]
	s_waitcnt lgkmcnt(0)
	v_add_f32_e32 v6, 0, v7
	s_delay_alu instid0(VALU_DEP_2) | instskip(NEXT) | instid1(VALU_DEP_2)
	v_add_co_u32 v1, vcc_lo, s28, v1
	v_add_f32_e32 v6, v6, v8
	s_delay_alu instid0(VALU_DEP_4)
	v_add_co_ci_u32_e32 v2, vcc_lo, s29, v2, vcc_lo
	global_store_b32 v[1:2], v6, off
.LBB54_140:
	;; [unrolled: 52-line block ×3, first 2 shown]
	s_or_b32 exec_lo, exec_lo, s0
	s_delay_alu instid0(SALU_CYCLE_1)
	s_mov_b32 s0, exec_lo
	v_cmpx_eq_u32_e32 0, v105
	s_cbranch_execz .LBB54_147
; %bb.144:
	s_add_i32 s0, s2, 10
	s_delay_alu instid0(SALU_CYCLE_1) | instskip(SKIP_2) | instid1(SALU_CYCLE_1)
	s_cmp_ge_i32 s0, s33
	s_cselect_b32 s0, -1, 0
	s_xor_b32 s3, s3, -1
	s_or_b32 s0, s3, s0
	s_delay_alu instid0(SALU_CYCLE_1)
	s_and_b32 vcc_lo, exec_lo, s0
	s_cbranch_vccnz .LBB54_147
; %bb.145:
	s_ashr_i32 s3, s2, 31
	s_delay_alu instid0(SALU_CYCLE_1) | instskip(NEXT) | instid1(SALU_CYCLE_1)
	s_lshl_b64 s[2:3], s[2:3], 2
	s_add_u32 s0, s1, s2
	s_addc_u32 s1, s4, s3
	s_load_b32 s0, s[0:1], 0x28
	s_waitcnt lgkmcnt(0)
	s_mul_hi_u32 s1, s0, s19
	s_delay_alu instid0(SALU_CYCLE_1) | instskip(NEXT) | instid1(SALU_CYCLE_1)
	s_add_i32 s1, s0, s1
	s_lshr_b32 s1, s1, s26
	s_delay_alu instid0(SALU_CYCLE_1)
	s_cmp_ge_i32 s1, s9
	s_cbranch_scc1 .LBB54_147
; %bb.146:
	v_add_nc_u32_e32 v0, 0x800, v4
	s_mul_i32 s2, s1, s27
	s_mul_i32 s1, s1, s25
	s_sub_i32 s0, s0, s2
	v_mov_b32_e32 v4, 0
	ds_load_2addr_b32 v[0:1], v0 offset0:168 offset1:200
	s_mul_i32 s0, s0, s6
	s_delay_alu instid0(SALU_CYCLE_1) | instskip(NEXT) | instid1(VALU_DEP_1)
	v_add3_u32 v3, s0, s1, v3
	v_lshlrev_b64 v[2:3], 2, v[3:4]
	s_waitcnt lgkmcnt(0)
	v_add_f32_e32 v0, 0, v0
	s_delay_alu instid0(VALU_DEP_1) | instskip(NEXT) | instid1(VALU_DEP_3)
	v_add_f32_e32 v4, v0, v1
	v_add_co_u32 v0, vcc_lo, s28, v2
	s_delay_alu instid0(VALU_DEP_4)
	v_add_co_ci_u32_e32 v1, vcc_lo, s29, v3, vcc_lo
	global_store_b32 v[0:1], v4, off
.LBB54_147:
	s_nop 0
	s_sendmsg sendmsg(MSG_DEALLOC_VGPRS)
	s_endpgm
	.section	.rodata,"a",@progbits
	.p2align	6, 0x0
	.amdhsa_kernel _ZL13mul_mat_f_idsI15__hip_bfloat162Li32ELi11ELi2EEvPKT_PKfPKiS7_S7_Pfiiiiiiiiiiiiii15HIP_vector_typeIjLj3EESA_
		.amdhsa_group_segment_fixed_size 0
		.amdhsa_private_segment_fixed_size 0
		.amdhsa_kernarg_size 128
		.amdhsa_user_sgpr_count 13
		.amdhsa_user_sgpr_dispatch_ptr 0
		.amdhsa_user_sgpr_queue_ptr 0
		.amdhsa_user_sgpr_kernarg_segment_ptr 1
		.amdhsa_user_sgpr_dispatch_id 0
		.amdhsa_user_sgpr_private_segment_size 0
		.amdhsa_wavefront_size32 1
		.amdhsa_uses_dynamic_stack 0
		.amdhsa_enable_private_segment 0
		.amdhsa_system_sgpr_workgroup_id_x 1
		.amdhsa_system_sgpr_workgroup_id_y 1
		.amdhsa_system_sgpr_workgroup_id_z 1
		.amdhsa_system_sgpr_workgroup_info 0
		.amdhsa_system_vgpr_workitem_id 1
		.amdhsa_next_free_vgpr 120
		.amdhsa_next_free_sgpr 76
		.amdhsa_reserve_vcc 1
		.amdhsa_float_round_mode_32 0
		.amdhsa_float_round_mode_16_64 0
		.amdhsa_float_denorm_mode_32 3
		.amdhsa_float_denorm_mode_16_64 3
		.amdhsa_dx10_clamp 1
		.amdhsa_ieee_mode 1
		.amdhsa_fp16_overflow 0
		.amdhsa_workgroup_processor_mode 1
		.amdhsa_memory_ordered 1
		.amdhsa_forward_progress 0
		.amdhsa_shared_vgpr_count 0
		.amdhsa_exception_fp_ieee_invalid_op 0
		.amdhsa_exception_fp_denorm_src 0
		.amdhsa_exception_fp_ieee_div_zero 0
		.amdhsa_exception_fp_ieee_overflow 0
		.amdhsa_exception_fp_ieee_underflow 0
		.amdhsa_exception_fp_ieee_inexact 0
		.amdhsa_exception_int_div_zero 0
	.end_amdhsa_kernel
	.section	.text._ZL13mul_mat_f_idsI15__hip_bfloat162Li32ELi11ELi2EEvPKT_PKfPKiS7_S7_Pfiiiiiiiiiiiiii15HIP_vector_typeIjLj3EESA_,"axG",@progbits,_ZL13mul_mat_f_idsI15__hip_bfloat162Li32ELi11ELi2EEvPKT_PKfPKiS7_S7_Pfiiiiiiiiiiiiii15HIP_vector_typeIjLj3EESA_,comdat
.Lfunc_end54:
	.size	_ZL13mul_mat_f_idsI15__hip_bfloat162Li32ELi11ELi2EEvPKT_PKfPKiS7_S7_Pfiiiiiiiiiiiiii15HIP_vector_typeIjLj3EESA_, .Lfunc_end54-_ZL13mul_mat_f_idsI15__hip_bfloat162Li32ELi11ELi2EEvPKT_PKfPKiS7_S7_Pfiiiiiiiiiiiiii15HIP_vector_typeIjLj3EESA_
                                        ; -- End function
	.section	.AMDGPU.csdata,"",@progbits
; Kernel info:
; codeLenInByte = 8056
; NumSgprs: 78
; NumVgprs: 120
; ScratchSize: 0
; MemoryBound: 0
; FloatMode: 240
; IeeeMode: 1
; LDSByteSize: 0 bytes/workgroup (compile time only)
; SGPRBlocks: 9
; VGPRBlocks: 14
; NumSGPRsForWavesPerEU: 78
; NumVGPRsForWavesPerEU: 120
; Occupancy: 12
; WaveLimiterHint : 1
; COMPUTE_PGM_RSRC2:SCRATCH_EN: 0
; COMPUTE_PGM_RSRC2:USER_SGPR: 13
; COMPUTE_PGM_RSRC2:TRAP_HANDLER: 0
; COMPUTE_PGM_RSRC2:TGID_X_EN: 1
; COMPUTE_PGM_RSRC2:TGID_Y_EN: 1
; COMPUTE_PGM_RSRC2:TGID_Z_EN: 1
; COMPUTE_PGM_RSRC2:TIDIG_COMP_CNT: 1
	.section	.text._ZL9mul_mat_fI15__hip_bfloat162Li32ELi11ELi2ELb1EEvPKT_PKfPKiPfiiiiiiiiiiiiiiii,"axG",@progbits,_ZL9mul_mat_fI15__hip_bfloat162Li32ELi11ELi2ELb1EEvPKT_PKfPKiPfiiiiiiiiiiiiiiii,comdat
	.globl	_ZL9mul_mat_fI15__hip_bfloat162Li32ELi11ELi2ELb1EEvPKT_PKfPKiPfiiiiiiiiiiiiiiii ; -- Begin function _ZL9mul_mat_fI15__hip_bfloat162Li32ELi11ELi2ELb1EEvPKT_PKfPKiPfiiiiiiiiiiiiiiii
	.p2align	8
	.type	_ZL9mul_mat_fI15__hip_bfloat162Li32ELi11ELi2ELb1EEvPKT_PKfPKiPfiiiiiiiiiiiiiiii,@function
_ZL9mul_mat_fI15__hip_bfloat162Li32ELi11ELi2ELb1EEvPKT_PKfPKiPfiiiiiiiiiiiiiiii: ; @_ZL9mul_mat_fI15__hip_bfloat162Li32ELi11ELi2ELb1EEvPKT_PKfPKiPfiiiiiiiiiiiiiiii
; %bb.0:
	s_clause 0x1
	s_load_b256 s[16:23], s[0:1], 0x20
	s_load_b128 s[24:27], s[0:1], 0x44
	v_and_b32_e32 v80, 0x3ff, v0
	v_bfe_u32 v86, v0, 10, 10
	s_delay_alu instid0(VALU_DEP_2) | instskip(NEXT) | instid1(VALU_DEP_2)
	v_cmp_eq_u32_e32 vcc_lo, 0, v80
	v_lshl_add_u32 v87, v86, 2, 0x100
	s_waitcnt lgkmcnt(0)
	s_add_i32 s2, s17, 10
	s_delay_alu instid0(SALU_CYCLE_1) | instskip(NEXT) | instid1(SALU_CYCLE_1)
	s_mul_hi_i32 s2, s2, 0x2e8ba2e9
	s_lshr_b32 s3, s2, 31
	s_ashr_i32 s2, s2, 1
	s_delay_alu instid0(SALU_CYCLE_1)
	s_add_i32 s2, s2, s3
	s_load_b32 s3, s[0:1], 0x64
	v_cvt_f32_u32_e32 v1, s2
	s_add_u32 s10, s0, 0x60
	s_addc_u32 s11, s1, 0
	s_sub_i32 s5, 0, s2
	s_delay_alu instid0(VALU_DEP_1) | instskip(SKIP_2) | instid1(VALU_DEP_1)
	v_rcp_iflag_f32_e32 v1, v1
	s_waitcnt_depctr 0xfff
	v_mul_f32_e32 v1, 0x4f7ffffe, v1
	v_cvt_u32_f32_e32 v1, v1
	s_delay_alu instid0(VALU_DEP_1) | instskip(NEXT) | instid1(VALU_DEP_1)
	v_readfirstlane_b32 s4, v1
	s_mul_i32 s5, s5, s4
	s_delay_alu instid0(SALU_CYCLE_1) | instskip(NEXT) | instid1(SALU_CYCLE_1)
	s_mul_hi_u32 s5, s4, s5
	s_add_i32 s4, s4, s5
	s_waitcnt lgkmcnt(0)
	s_mul_hi_u32 s4, s3, s4
	s_delay_alu instid0(SALU_CYCLE_1) | instskip(NEXT) | instid1(SALU_CYCLE_1)
	s_mul_i32 s5, s4, s2
	s_sub_i32 s3, s3, s5
	s_add_i32 s5, s4, 1
	s_sub_i32 s6, s3, s2
	s_cmp_ge_u32 s3, s2
	s_cselect_b32 s4, s5, s4
	s_cselect_b32 s3, s6, s3
	s_add_i32 s5, s4, 1
	s_cmp_ge_u32 s3, s2
	s_cselect_b32 s2, s5, s4
	s_load_b64 s[4:5], s[0:1], 0x10
	v_cvt_f32_u32_e32 v1, s2
	s_abs_i32 s33, s27
	s_sub_i32 s6, 0, s2
	v_cvt_f32_u32_e32 v2, s33
	s_delay_alu instid0(VALU_DEP_2) | instskip(NEXT) | instid1(VALU_DEP_1)
	v_rcp_iflag_f32_e32 v1, v1
	v_rcp_iflag_f32_e32 v2, v2
	s_waitcnt_depctr 0xfff
	v_dual_mul_f32 v1, 0x4f7ffffe, v1 :: v_dual_mul_f32 v2, 0x4f7ffffe, v2
	s_delay_alu instid0(VALU_DEP_1) | instskip(NEXT) | instid1(VALU_DEP_1)
	v_cvt_u32_f32_e32 v1, v1
	v_readfirstlane_b32 s3, v1
	s_delay_alu instid0(VALU_DEP_3) | instskip(NEXT) | instid1(VALU_DEP_2)
	v_cvt_u32_f32_e32 v1, v2
	s_mul_i32 s6, s6, s3
	s_delay_alu instid0(VALU_DEP_1) | instskip(SKIP_1) | instid1(SALU_CYCLE_1)
	v_readfirstlane_b32 s35, v1
	s_mul_hi_u32 s6, s3, s6
	s_add_i32 s3, s3, s6
	s_delay_alu instid0(SALU_CYCLE_1)
	s_mul_hi_u32 s3, s14, s3
	s_and_saveexec_b32 s6, vcc_lo
	s_cbranch_execz .LBB55_2
; %bb.1:
	v_mov_b32_e32 v1, -1
	ds_store_b32 v87, v1
.LBB55_2:
	s_or_b32 exec_lo, exec_lo, s6
	s_mul_i32 s6, s3, s2
	s_add_i32 s7, s3, 1
	s_sub_i32 s6, s14, s6
	v_mov_b32_e32 v3, 0
	s_sub_i32 s8, s6, s2
	s_cmp_ge_u32 s6, s2
	s_cselect_b32 s3, s7, s3
	s_cselect_b32 s6, s8, s6
	s_add_i32 s7, s3, 1
	s_cmp_ge_u32 s6, s2
	v_cmp_gt_i32_e64 s8, s18, v80
	s_cselect_b32 s3, s7, s3
	s_delay_alu instid0(SALU_CYCLE_1)
	s_mul_i32 s12, s3, 11
	s_mul_i32 s3, s3, s2
	v_add_nc_u32_e32 v1, s12, v86
	s_mul_hi_i32 s7, s12, s23
	s_mul_i32 s6, s12, s23
	s_sub_i32 s34, s14, s3
	s_lshl_b64 s[6:7], s[6:7], 2
	v_cmp_gt_i32_e64 s2, s17, v1
	s_waitcnt lgkmcnt(0)
	s_add_u32 s14, s4, s6
	s_addc_u32 s36, s5, s7
	s_delay_alu instid0(VALU_DEP_1)
	s_and_saveexec_b32 s5, s2
	s_cbranch_execz .LBB55_10
; %bb.3:
	v_mov_b32_e32 v3, 0
	s_and_saveexec_b32 s6, s8
	s_cbranch_execz .LBB55_9
; %bb.4:
	v_mul_lo_u32 v1, v86, s23
	v_dual_mov_b32 v3, 0 :: v_dual_mov_b32 v6, v80
	s_lshl_b32 s9, s22, 5
	s_mov_b32 s7, 0
	s_delay_alu instid0(VALU_DEP_2) | instskip(NEXT) | instid1(VALU_DEP_1)
	v_ashrrev_i32_e32 v2, 31, v1
	v_lshlrev_b64 v[4:5], 2, v[1:2]
	v_mul_lo_u32 v1, v80, s22
	s_delay_alu instid0(VALU_DEP_2) | instskip(NEXT) | instid1(VALU_DEP_1)
	v_add_co_u32 v4, s3, s14, v4
	v_add_co_ci_u32_e64 v5, s3, s36, v5, s3
	s_set_inst_prefetch_distance 0x1
	s_branch .LBB55_6
	.p2align	6
.LBB55_5:                               ;   in Loop: Header=BB55_6 Depth=1
	s_or_b32 exec_lo, exec_lo, s28
	v_add_nc_u32_e32 v6, 32, v6
	s_xor_b32 s3, s3, -1
	v_add_nc_u32_e32 v1, s9, v1
	s_delay_alu instid0(VALU_DEP_2) | instskip(NEXT) | instid1(VALU_DEP_1)
	v_cmp_le_i32_e64 s4, s18, v6
	s_or_b32 s3, s3, s4
	s_delay_alu instid0(SALU_CYCLE_1) | instskip(NEXT) | instid1(SALU_CYCLE_1)
	s_and_b32 s3, exec_lo, s3
	s_or_b32 s7, s3, s7
	s_delay_alu instid0(SALU_CYCLE_1)
	s_and_not1_b32 exec_lo, exec_lo, s7
	s_cbranch_execz .LBB55_8
.LBB55_6:                               ; =>This Inner Loop Header: Depth=1
	s_delay_alu instid0(VALU_DEP_3) | instskip(SKIP_1) | instid1(VALU_DEP_1)
	v_ashrrev_i32_e32 v2, 31, v1
	s_mov_b32 s28, exec_lo
	v_lshlrev_b64 v[7:8], 2, v[1:2]
	s_delay_alu instid0(VALU_DEP_1) | instskip(NEXT) | instid1(VALU_DEP_1)
	v_add_co_u32 v7, s3, v4, v7
	v_add_co_ci_u32_e64 v8, s3, v5, v8, s3
	global_load_b32 v2, v[7:8], off
	s_waitcnt vmcnt(0)
	v_cmp_ne_u32_e64 s3, s34, v2
	v_cmpx_eq_u32_e64 s34, v2
	s_cbranch_execz .LBB55_5
; %bb.7:                                ;   in Loop: Header=BB55_6 Depth=1
	v_mov_b32_e32 v3, 1
	ds_store_b32 v87, v6
	s_branch .LBB55_5
.LBB55_8:
	s_set_inst_prefetch_distance 0x2
	s_or_b32 exec_lo, exec_lo, s7
.LBB55_9:
	s_delay_alu instid0(SALU_CYCLE_1)
	s_or_b32 exec_lo, exec_lo, s6
.LBB55_10:
	s_delay_alu instid0(SALU_CYCLE_1)
	s_or_b32 exec_lo, exec_lo, s5
	s_and_saveexec_b32 s3, vcc_lo
	s_cbranch_execz .LBB55_12
; %bb.11:
	v_mov_b32_e32 v1, -1
	ds_store_b32 v87, v1 offset:8
.LBB55_12:
	s_or_b32 exec_lo, exec_lo, s3
	v_add_nc_u32_e32 v88, 2, v86
	s_delay_alu instid0(VALU_DEP_1) | instskip(NEXT) | instid1(VALU_DEP_1)
	v_add_nc_u32_e32 v1, s12, v88
	v_cmp_gt_i32_e64 s3, s17, v1
	s_delay_alu instid0(VALU_DEP_1)
	s_and_saveexec_b32 s6, s3
	s_cbranch_execz .LBB55_20
; %bb.13:
	s_and_saveexec_b32 s7, s8
	s_cbranch_execz .LBB55_19
; %bb.14:
	v_mul_lo_u32 v1, v88, s23
	v_mov_b32_e32 v6, v80
	s_lshl_b32 s28, s22, 5
	s_mov_b32 s9, 0
	s_delay_alu instid0(VALU_DEP_2) | instskip(NEXT) | instid1(VALU_DEP_1)
	v_ashrrev_i32_e32 v2, 31, v1
	v_lshlrev_b64 v[4:5], 2, v[1:2]
	v_mul_lo_u32 v1, v80, s22
	s_delay_alu instid0(VALU_DEP_2) | instskip(NEXT) | instid1(VALU_DEP_1)
	v_add_co_u32 v4, s4, s14, v4
	v_add_co_ci_u32_e64 v5, s4, s36, v5, s4
	s_set_inst_prefetch_distance 0x1
	s_branch .LBB55_16
	.p2align	6
.LBB55_15:                              ;   in Loop: Header=BB55_16 Depth=1
	s_or_b32 exec_lo, exec_lo, s29
	v_add_nc_u32_e32 v6, 32, v6
	s_xor_b32 s4, s4, -1
	v_add_nc_u32_e32 v1, s28, v1
	s_delay_alu instid0(VALU_DEP_2) | instskip(NEXT) | instid1(VALU_DEP_1)
	v_cmp_le_i32_e64 s5, s18, v6
	s_or_b32 s4, s4, s5
	s_delay_alu instid0(SALU_CYCLE_1) | instskip(NEXT) | instid1(SALU_CYCLE_1)
	s_and_b32 s4, exec_lo, s4
	s_or_b32 s9, s4, s9
	s_delay_alu instid0(SALU_CYCLE_1)
	s_and_not1_b32 exec_lo, exec_lo, s9
	s_cbranch_execz .LBB55_18
.LBB55_16:                              ; =>This Inner Loop Header: Depth=1
	s_delay_alu instid0(VALU_DEP_3) | instskip(SKIP_1) | instid1(VALU_DEP_1)
	v_ashrrev_i32_e32 v2, 31, v1
	s_mov_b32 s29, exec_lo
	v_lshlrev_b64 v[7:8], 2, v[1:2]
	s_delay_alu instid0(VALU_DEP_1) | instskip(NEXT) | instid1(VALU_DEP_1)
	v_add_co_u32 v7, s4, v4, v7
	v_add_co_ci_u32_e64 v8, s4, v5, v8, s4
	global_load_b32 v2, v[7:8], off
	s_waitcnt vmcnt(0)
	v_cmp_ne_u32_e64 s4, s34, v2
	v_cmpx_eq_u32_e64 s34, v2
	s_cbranch_execz .LBB55_15
; %bb.17:                               ;   in Loop: Header=BB55_16 Depth=1
	v_mov_b32_e32 v3, 1
	ds_store_b32 v87, v6 offset:8
	s_branch .LBB55_15
.LBB55_18:
	s_set_inst_prefetch_distance 0x2
	s_or_b32 exec_lo, exec_lo, s9
.LBB55_19:
	s_delay_alu instid0(SALU_CYCLE_1)
	s_or_b32 exec_lo, exec_lo, s7
.LBB55_20:
	s_delay_alu instid0(SALU_CYCLE_1)
	s_or_b32 exec_lo, exec_lo, s6
	s_and_saveexec_b32 s4, vcc_lo
	s_cbranch_execz .LBB55_22
; %bb.21:
	v_mov_b32_e32 v1, -1
	ds_store_b32 v87, v1 offset:16
.LBB55_22:
	s_or_b32 exec_lo, exec_lo, s4
	v_add_nc_u32_e32 v89, 4, v86
	s_delay_alu instid0(VALU_DEP_1) | instskip(NEXT) | instid1(VALU_DEP_1)
	v_add_nc_u32_e32 v1, s12, v89
	v_cmp_gt_i32_e64 s4, s17, v1
	s_delay_alu instid0(VALU_DEP_1)
	s_and_saveexec_b32 s7, s4
	s_cbranch_execz .LBB55_30
; %bb.23:
	s_and_saveexec_b32 s9, s8
	s_cbranch_execz .LBB55_29
; %bb.24:
	v_mul_lo_u32 v1, v89, s23
	v_mov_b32_e32 v6, v80
	s_lshl_b32 s29, s22, 5
	s_mov_b32 s28, 0
	s_delay_alu instid0(VALU_DEP_2) | instskip(NEXT) | instid1(VALU_DEP_1)
	v_ashrrev_i32_e32 v2, 31, v1
	v_lshlrev_b64 v[4:5], 2, v[1:2]
	v_mul_lo_u32 v1, v80, s22
	s_delay_alu instid0(VALU_DEP_2) | instskip(NEXT) | instid1(VALU_DEP_1)
	v_add_co_u32 v4, s5, s14, v4
	v_add_co_ci_u32_e64 v5, s5, s36, v5, s5
	s_set_inst_prefetch_distance 0x1
	s_branch .LBB55_26
	.p2align	6
.LBB55_25:                              ;   in Loop: Header=BB55_26 Depth=1
	s_or_b32 exec_lo, exec_lo, s30
	v_add_nc_u32_e32 v6, 32, v6
	s_xor_b32 s5, s5, -1
	v_add_nc_u32_e32 v1, s29, v1
	s_delay_alu instid0(VALU_DEP_2) | instskip(NEXT) | instid1(VALU_DEP_1)
	v_cmp_le_i32_e64 s6, s18, v6
	s_or_b32 s5, s5, s6
	s_delay_alu instid0(SALU_CYCLE_1) | instskip(NEXT) | instid1(SALU_CYCLE_1)
	s_and_b32 s5, exec_lo, s5
	s_or_b32 s28, s5, s28
	s_delay_alu instid0(SALU_CYCLE_1)
	s_and_not1_b32 exec_lo, exec_lo, s28
	s_cbranch_execz .LBB55_28
.LBB55_26:                              ; =>This Inner Loop Header: Depth=1
	s_delay_alu instid0(VALU_DEP_3) | instskip(SKIP_1) | instid1(VALU_DEP_1)
	v_ashrrev_i32_e32 v2, 31, v1
	s_mov_b32 s30, exec_lo
	v_lshlrev_b64 v[7:8], 2, v[1:2]
	s_delay_alu instid0(VALU_DEP_1) | instskip(NEXT) | instid1(VALU_DEP_1)
	v_add_co_u32 v7, s5, v4, v7
	v_add_co_ci_u32_e64 v8, s5, v5, v8, s5
	global_load_b32 v2, v[7:8], off
	s_waitcnt vmcnt(0)
	v_cmp_ne_u32_e64 s5, s34, v2
	v_cmpx_eq_u32_e64 s34, v2
	s_cbranch_execz .LBB55_25
; %bb.27:                               ;   in Loop: Header=BB55_26 Depth=1
	v_mov_b32_e32 v3, 1
	ds_store_b32 v87, v6 offset:16
	s_branch .LBB55_25
.LBB55_28:
	s_set_inst_prefetch_distance 0x2
	s_or_b32 exec_lo, exec_lo, s28
.LBB55_29:
	s_delay_alu instid0(SALU_CYCLE_1)
	s_or_b32 exec_lo, exec_lo, s9
.LBB55_30:
	s_delay_alu instid0(SALU_CYCLE_1)
	s_or_b32 exec_lo, exec_lo, s7
	s_and_saveexec_b32 s5, vcc_lo
	s_cbranch_execz .LBB55_32
; %bb.31:
	v_mov_b32_e32 v1, -1
	ds_store_b32 v87, v1 offset:24
.LBB55_32:
	s_or_b32 exec_lo, exec_lo, s5
	v_add_nc_u32_e32 v90, 6, v86
	s_delay_alu instid0(VALU_DEP_1) | instskip(NEXT) | instid1(VALU_DEP_1)
	v_add_nc_u32_e32 v1, s12, v90
	v_cmp_gt_i32_e64 s5, s17, v1
	s_delay_alu instid0(VALU_DEP_1)
	s_and_saveexec_b32 s9, s5
	s_cbranch_execz .LBB55_40
; %bb.33:
	s_and_saveexec_b32 s28, s8
	s_cbranch_execz .LBB55_39
; %bb.34:
	v_mul_lo_u32 v1, v90, s23
	v_mov_b32_e32 v6, v80
	s_lshl_b32 s30, s22, 5
	s_mov_b32 s29, 0
	s_delay_alu instid0(VALU_DEP_2) | instskip(NEXT) | instid1(VALU_DEP_1)
	v_ashrrev_i32_e32 v2, 31, v1
	v_lshlrev_b64 v[4:5], 2, v[1:2]
	v_mul_lo_u32 v1, v80, s22
	s_delay_alu instid0(VALU_DEP_2) | instskip(NEXT) | instid1(VALU_DEP_1)
	v_add_co_u32 v4, s6, s14, v4
	v_add_co_ci_u32_e64 v5, s6, s36, v5, s6
	s_set_inst_prefetch_distance 0x1
	s_branch .LBB55_36
	.p2align	6
.LBB55_35:                              ;   in Loop: Header=BB55_36 Depth=1
	s_or_b32 exec_lo, exec_lo, s31
	v_add_nc_u32_e32 v6, 32, v6
	s_xor_b32 s6, s6, -1
	v_add_nc_u32_e32 v1, s30, v1
	s_delay_alu instid0(VALU_DEP_2) | instskip(NEXT) | instid1(VALU_DEP_1)
	v_cmp_le_i32_e64 s7, s18, v6
	s_or_b32 s6, s6, s7
	s_delay_alu instid0(SALU_CYCLE_1) | instskip(NEXT) | instid1(SALU_CYCLE_1)
	s_and_b32 s6, exec_lo, s6
	s_or_b32 s29, s6, s29
	s_delay_alu instid0(SALU_CYCLE_1)
	s_and_not1_b32 exec_lo, exec_lo, s29
	s_cbranch_execz .LBB55_38
.LBB55_36:                              ; =>This Inner Loop Header: Depth=1
	s_delay_alu instid0(VALU_DEP_3) | instskip(SKIP_1) | instid1(VALU_DEP_1)
	v_ashrrev_i32_e32 v2, 31, v1
	s_mov_b32 s31, exec_lo
	v_lshlrev_b64 v[7:8], 2, v[1:2]
	s_delay_alu instid0(VALU_DEP_1) | instskip(NEXT) | instid1(VALU_DEP_1)
	v_add_co_u32 v7, s6, v4, v7
	v_add_co_ci_u32_e64 v8, s6, v5, v8, s6
	global_load_b32 v2, v[7:8], off
	s_waitcnt vmcnt(0)
	v_cmp_ne_u32_e64 s6, s34, v2
	v_cmpx_eq_u32_e64 s34, v2
	s_cbranch_execz .LBB55_35
; %bb.37:                               ;   in Loop: Header=BB55_36 Depth=1
	v_mov_b32_e32 v3, 1
	ds_store_b32 v87, v6 offset:24
	s_branch .LBB55_35
.LBB55_38:
	s_set_inst_prefetch_distance 0x2
	s_or_b32 exec_lo, exec_lo, s29
.LBB55_39:
	s_delay_alu instid0(SALU_CYCLE_1)
	s_or_b32 exec_lo, exec_lo, s28
.LBB55_40:
	s_delay_alu instid0(SALU_CYCLE_1)
	s_or_b32 exec_lo, exec_lo, s9
	s_sub_i32 s28, 0, s33
	s_and_saveexec_b32 s6, vcc_lo
	s_cbranch_execz .LBB55_42
; %bb.41:
	v_mov_b32_e32 v1, -1
	ds_store_b32 v87, v1 offset:32
.LBB55_42:
	s_or_b32 exec_lo, exec_lo, s6
	v_add_nc_u32_e32 v91, 8, v86
	s_mul_i32 s28, s28, s35
	s_delay_alu instid0(VALU_DEP_1) | instskip(NEXT) | instid1(VALU_DEP_1)
	v_add_nc_u32_e32 v1, s12, v91
	v_cmp_gt_i32_e64 s6, s17, v1
	s_delay_alu instid0(VALU_DEP_1)
	s_and_saveexec_b32 s29, s6
	s_cbranch_execz .LBB55_50
; %bb.43:
	s_and_saveexec_b32 s30, s8
	s_cbranch_execz .LBB55_49
; %bb.44:
	v_mul_lo_u32 v1, v91, s23
	v_mov_b32_e32 v6, v80
	s_lshl_b32 s37, s22, 5
	s_mov_b32 s31, 0
	s_delay_alu instid0(VALU_DEP_2) | instskip(NEXT) | instid1(VALU_DEP_1)
	v_ashrrev_i32_e32 v2, 31, v1
	v_lshlrev_b64 v[4:5], 2, v[1:2]
	v_mul_lo_u32 v1, v80, s22
	s_delay_alu instid0(VALU_DEP_2) | instskip(NEXT) | instid1(VALU_DEP_1)
	v_add_co_u32 v4, s7, s14, v4
	v_add_co_ci_u32_e64 v5, s7, s36, v5, s7
	s_set_inst_prefetch_distance 0x1
	s_branch .LBB55_46
	.p2align	6
.LBB55_45:                              ;   in Loop: Header=BB55_46 Depth=1
	s_or_b32 exec_lo, exec_lo, s38
	v_add_nc_u32_e32 v6, 32, v6
	s_xor_b32 s7, s7, -1
	v_add_nc_u32_e32 v1, s37, v1
	s_delay_alu instid0(VALU_DEP_2) | instskip(NEXT) | instid1(VALU_DEP_1)
	v_cmp_le_i32_e64 s9, s18, v6
	s_or_b32 s7, s7, s9
	s_delay_alu instid0(SALU_CYCLE_1) | instskip(NEXT) | instid1(SALU_CYCLE_1)
	s_and_b32 s7, exec_lo, s7
	s_or_b32 s31, s7, s31
	s_delay_alu instid0(SALU_CYCLE_1)
	s_and_not1_b32 exec_lo, exec_lo, s31
	s_cbranch_execz .LBB55_48
.LBB55_46:                              ; =>This Inner Loop Header: Depth=1
	s_delay_alu instid0(VALU_DEP_3) | instskip(SKIP_1) | instid1(VALU_DEP_1)
	v_ashrrev_i32_e32 v2, 31, v1
	s_mov_b32 s38, exec_lo
	v_lshlrev_b64 v[7:8], 2, v[1:2]
	s_delay_alu instid0(VALU_DEP_1) | instskip(NEXT) | instid1(VALU_DEP_1)
	v_add_co_u32 v7, s7, v4, v7
	v_add_co_ci_u32_e64 v8, s7, v5, v8, s7
	global_load_b32 v2, v[7:8], off
	s_waitcnt vmcnt(0)
	v_cmp_ne_u32_e64 s7, s34, v2
	v_cmpx_eq_u32_e64 s34, v2
	s_cbranch_execz .LBB55_45
; %bb.47:                               ;   in Loop: Header=BB55_46 Depth=1
	v_mov_b32_e32 v3, 1
	ds_store_b32 v87, v6 offset:32
	s_branch .LBB55_45
.LBB55_48:
	s_set_inst_prefetch_distance 0x2
	s_or_b32 exec_lo, exec_lo, s31
.LBB55_49:
	s_delay_alu instid0(SALU_CYCLE_1)
	s_or_b32 exec_lo, exec_lo, s30
.LBB55_50:
	s_delay_alu instid0(SALU_CYCLE_1)
	s_or_b32 exec_lo, exec_lo, s29
	s_mul_hi_u32 s9, s35, s28
	s_and_saveexec_b32 s7, vcc_lo
	s_cbranch_execz .LBB55_52
; %bb.51:
	v_mov_b32_e32 v1, -1
	ds_store_b32 v87, v1 offset:40
.LBB55_52:
	s_or_b32 exec_lo, exec_lo, s7
	s_load_b128 s[28:31], s[0:1], 0x54
	v_add_nc_u32_e32 v92, 10, v86
	s_waitcnt lgkmcnt(0)
	s_abs_i32 s31, s15
	s_add_i32 s35, s35, s9
	s_delay_alu instid0(VALU_DEP_1) | instskip(NEXT) | instid1(VALU_DEP_1)
	v_add_nc_u32_e32 v1, s12, v92
	v_cmp_gt_i32_e64 s7, s17, v1
	s_delay_alu instid0(VALU_DEP_1)
	s_and_saveexec_b32 s9, s7
	s_cbranch_execz .LBB55_60
; %bb.53:
	s_and_saveexec_b32 s37, s8
	s_cbranch_execz .LBB55_59
; %bb.54:
	v_mul_lo_u32 v1, v92, s23
	v_mov_b32_e32 v6, v80
	s_delay_alu instid0(VALU_DEP_2) | instskip(NEXT) | instid1(VALU_DEP_1)
	v_ashrrev_i32_e32 v2, 31, v1
	v_lshlrev_b64 v[4:5], 2, v[1:2]
	v_mul_lo_u32 v1, v80, s22
	s_lshl_b32 s22, s22, 5
	s_delay_alu instid0(VALU_DEP_2) | instskip(NEXT) | instid1(VALU_DEP_3)
	v_add_co_u32 v4, vcc_lo, s14, v4
	v_add_co_ci_u32_e32 v5, vcc_lo, s36, v5, vcc_lo
	s_mov_b32 s14, 0
	s_set_inst_prefetch_distance 0x1
	s_branch .LBB55_56
	.p2align	6
.LBB55_55:                              ;   in Loop: Header=BB55_56 Depth=1
	s_or_b32 exec_lo, exec_lo, s23
	v_add_nc_u32_e32 v6, 32, v6
	s_xor_b32 s23, vcc_lo, -1
	v_add_nc_u32_e32 v1, s22, v1
	s_delay_alu instid0(VALU_DEP_2) | instskip(NEXT) | instid1(VALU_DEP_1)
	v_cmp_le_i32_e64 s8, s18, v6
	s_or_b32 s8, s23, s8
	s_delay_alu instid0(SALU_CYCLE_1) | instskip(NEXT) | instid1(SALU_CYCLE_1)
	s_and_b32 s8, exec_lo, s8
	s_or_b32 s14, s8, s14
	s_delay_alu instid0(SALU_CYCLE_1)
	s_and_not1_b32 exec_lo, exec_lo, s14
	s_cbranch_execz .LBB55_58
.LBB55_56:                              ; =>This Inner Loop Header: Depth=1
	s_delay_alu instid0(VALU_DEP_3) | instskip(SKIP_1) | instid1(VALU_DEP_1)
	v_ashrrev_i32_e32 v2, 31, v1
	s_mov_b32 s23, exec_lo
	v_lshlrev_b64 v[7:8], 2, v[1:2]
	s_delay_alu instid0(VALU_DEP_1) | instskip(NEXT) | instid1(VALU_DEP_2)
	v_add_co_u32 v7, vcc_lo, v4, v7
	v_add_co_ci_u32_e32 v8, vcc_lo, v5, v8, vcc_lo
	global_load_b32 v2, v[7:8], off
	s_waitcnt vmcnt(0)
	v_cmp_ne_u32_e32 vcc_lo, s34, v2
	v_cmpx_eq_u32_e64 s34, v2
	s_cbranch_execz .LBB55_55
; %bb.57:                               ;   in Loop: Header=BB55_56 Depth=1
	v_mov_b32_e32 v3, 1
	ds_store_b32 v87, v6 offset:40
	s_branch .LBB55_55
.LBB55_58:
	s_set_inst_prefetch_distance 0x2
	s_or_b32 exec_lo, exec_lo, s14
.LBB55_59:
	s_delay_alu instid0(SALU_CYCLE_1)
	s_or_b32 exec_lo, exec_lo, s37
.LBB55_60:
	s_delay_alu instid0(SALU_CYCLE_1)
	s_or_b32 exec_lo, exec_lo, s9
	v_cmp_ne_u32_e32 vcc_lo, 0, v3
	s_load_b64 s[36:37], s[10:11], 0xc
	s_clause 0x1
	s_load_b128 s[8:11], s[0:1], 0x0
	s_load_b64 s[22:23], s[0:1], 0x18
	v_cndmask_b32_e64 v1, 0, 1, vcc_lo
	s_delay_alu instid0(VALU_DEP_1) | instskip(NEXT) | instid1(VALU_DEP_1)
	v_or_b32_dpp v1, v1, v1 row_shl:1 row_mask:0xf bank_mask:0xf bound_ctrl:1
	v_or_b32_dpp v1, v1, v1 row_shl:2 row_mask:0xf bank_mask:0xf bound_ctrl:1
	s_delay_alu instid0(VALU_DEP_1)
	v_or_b32_dpp v1, v1, v1 row_shl:4 row_mask:0xf bank_mask:0xf bound_ctrl:1
	s_waitcnt lgkmcnt(0)
	s_lshr_b32 s14, s36, 16
	s_and_b32 s0, s36, 0xffff
	s_and_b32 s18, s37, 0xffff
	s_mul_i32 s1, s14, s0
	v_or_b32_dpp v1, v1, v1 row_shl:8 row_mask:0xf bank_mask:0xf bound_ctrl:1
	s_bfe_i32 s1, s1, 0x180000
	s_delay_alu instid0(SALU_CYCLE_1) | instskip(NEXT) | instid1(SALU_CYCLE_1)
	s_mul_i32 s1, s1, s18
	s_add_i32 s1, s1, 31
	s_delay_alu instid0(VALU_DEP_1) | instskip(SKIP_1) | instid1(SALU_CYCLE_1)
	v_mov_b32_dpp v1, v1 row_share:0 row_mask:0xf bank_mask:0xf bound_ctrl:1
	s_and_not1_b32 s1, s1, 31
	s_cmp_lg_u32 s1, 32
	s_mul_hi_u32 s1, s31, s35
	s_delay_alu instid0(VALU_DEP_1) | instskip(NEXT) | instid1(VALU_DEP_1)
	v_permlanex16_b32 v2, v1, 0, 0 op_sel:[0,1]
	v_or_b32_e32 v2, v2, v1
	s_cbranch_scc0 .LBB55_69
; %bb.61:
	v_bfe_u32 v0, v0, 20, 10
	s_delay_alu instid0(VALU_DEP_1) | instskip(NEXT) | instid1(VALU_DEP_1)
	v_mad_u32_u24 v3, v0, s14, v86
	v_mad_u64_u32 v[0:1], null, v3, s0, v[80:81]
	v_mbcnt_lo_u32_b32 v1, -1, 0
	s_mov_b32 s0, exec_lo
	s_delay_alu instid0(VALU_DEP_2) | instskip(NEXT) | instid1(VALU_DEP_1)
	v_lshrrev_b32_e32 v3, 5, v0
	v_or_b32_e32 v3, v1, v3
	s_delay_alu instid0(VALU_DEP_1)
	v_cmpx_eq_u32_e32 0, v3
	s_cbranch_execz .LBB55_63
; %bb.62:
	v_mov_b32_e32 v3, 0
	ds_store_b32 v3, v2
.LBB55_63:
	s_or_b32 exec_lo, exec_lo, s0
	v_cmp_eq_u32_e32 vcc_lo, 0, v1
	v_cmp_lt_u32_e64 s0, 31, v0
	s_mov_b32 s14, 0
	s_waitcnt lgkmcnt(0)
	s_barrier
	buffer_gl0_inv
	s_and_b32 s18, s0, vcc_lo
	s_delay_alu instid0(SALU_CYCLE_1)
	s_and_saveexec_b32 s0, s18
	s_cbranch_execz .LBB55_68
; %bb.64:
	s_mov_b32 s18, exec_lo
.LBB55_65:                              ; =>This Inner Loop Header: Depth=1
	s_delay_alu instid0(SALU_CYCLE_1) | instskip(NEXT) | instid1(SALU_CYCLE_1)
	s_ctz_i32_b32 s35, s18
	v_readlane_b32 s36, v2, s35
	s_lshl_b32 s35, 1, s35
	s_delay_alu instid0(SALU_CYCLE_1) | instskip(NEXT) | instid1(VALU_DEP_1)
	s_and_not1_b32 s18, s18, s35
	s_or_b32 s14, s14, s36
	s_cmp_lg_u32 s18, 0
	s_cbranch_scc1 .LBB55_65
; %bb.66:
	v_mbcnt_lo_u32_b32 v0, exec_lo, 0
	s_mov_b32 s18, exec_lo
	s_delay_alu instid0(VALU_DEP_1)
	v_cmpx_eq_u32_e32 0, v0
	s_xor_b32 s18, exec_lo, s18
	s_cbranch_execz .LBB55_68
; %bb.67:
	v_dual_mov_b32 v0, 0 :: v_dual_mov_b32 v1, s14
	ds_or_b32 v0, v1
.LBB55_68:
	s_or_b32 exec_lo, exec_lo, s0
	v_mov_b32_e32 v0, 0
	s_waitcnt lgkmcnt(0)
	s_barrier
	buffer_gl0_inv
	ds_load_b32 v2, v0
	s_waitcnt lgkmcnt(0)
	s_barrier
	buffer_gl0_inv
.LBB55_69:
	s_ashr_i32 s0, s15, 31
	s_ashr_i32 s18, s27, 31
	s_mov_b32 s14, exec_lo
	v_cmpx_ne_u32_e32 0, v2
	s_cbranch_execz .LBB55_220
; %bb.70:
	v_lshlrev_b32_e32 v93, 5, v86
	v_and_b32_e32 v94, 15, v80
	s_mov_b32 s14, exec_lo
                                        ; implicit-def: $sgpr27
	s_delay_alu instid0(VALU_DEP_2) | instskip(NEXT) | instid1(VALU_DEP_1)
	v_add_nc_u32_e32 v95, v93, v80
	v_cmpx_le_i32_e64 s16, v95
	s_xor_b32 s14, exec_lo, s14
; %bb.71:
	v_and_b32_e32 v94, 15, v80
	s_mov_b32 s27, 0
                                        ; implicit-def: $vgpr95
; %bb.72:
	s_or_saveexec_b32 s14, s14
	v_dual_mov_b32 v15, s27 :: v_dual_mov_b32 v14, s27
	v_dual_mov_b32 v13, s27 :: v_dual_mov_b32 v12, s27
	;; [unrolled: 1-line block ×8, first 2 shown]
	s_lshl_b32 s13, s13, 5
	s_xor_b32 exec_lo, exec_lo, s14
	s_cbranch_execz .LBB55_197
; %bb.73:
	s_mul_i32 s27, s1, s33
	s_xor_b32 s18, s0, s18
	s_sub_i32 s0, s31, s27
	s_add_i32 s27, s1, 1
	s_sub_i32 s31, s0, s33
	s_cmp_ge_u32 s0, s33
	s_mul_hi_i32 s39, s29, s15
	s_cselect_b32 s1, s27, s1
	s_cselect_b32 s0, s31, s0
	s_add_i32 s27, s1, 1
	s_cmp_ge_u32 s0, s33
	s_mul_i32 s38, s29, s15
	s_cselect_b32 s0, s27, s1
	v_dual_mov_b32 v97, 0 :: v_dual_lshlrev_b32 v2, 1, v80
	s_xor_b32 s1, s0, s18
	s_mul_i32 s0, s34, s24
	s_sub_i32 s1, s1, s18
	s_mul_i32 s34, s13, s19
	s_mul_hi_i32 s37, s1, s28
	s_mul_i32 s36, s1, s28
	s_ashr_i32 s1, s0, 31
	s_lshl_b64 s[44:45], s[36:37], 2
	v_lshl_add_u32 v81, v86, 6, v2
	s_add_u32 s18, s8, s44
	s_addc_u32 s24, s9, s45
	s_lshl_b64 s[46:47], s[0:1], 2
	s_mul_hi_i32 s1, s20, s12
	s_add_u32 s18, s18, s46
	s_addc_u32 s24, s24, s47
	s_ashr_i32 s35, s34, 31
	s_mul_i32 s0, s20, s12
	s_lshl_b64 s[48:49], s[34:35], 2
	v_dual_mov_b32 v99, 0x100 :: v_dual_lshlrev_b32 v2, 2, v95
	s_add_u32 s18, s18, s48
	s_addc_u32 s24, s24, s49
	s_lshl_b64 s[28:29], s[38:39], 2
	s_lshl_b64 s[0:1], s[0:1], 3
	s_add_u32 s10, s10, s28
	s_addc_u32 s11, s11, s29
	s_add_u32 s10, s10, s0
	s_addc_u32 s11, s11, s1
	s_cmp_lt_i32 s12, s17
	s_movk_i32 s1, 0x900
	s_cselect_b32 s27, -1, 0
	s_add_i32 s0, s12, 1
	v_mad_u32_u24 v1, v86, s1, 0x100
	s_cmp_lt_i32 s0, s17
	v_mul_u32_u24_e32 v0, 0x90, v94
	s_cselect_b32 s28, -1, 0
	s_add_i32 s0, s12, 2
	v_lshl_add_u32 v96, v80, 2, v1
	s_cmp_lt_i32 s0, s17
	v_add_nc_u32_e32 v98, v1, v0
	s_cselect_b32 s29, -1, 0
	s_add_i32 s0, s12, 3
	s_lshl_b32 s31, s20, 2
	s_cmp_lt_i32 s0, s17
	v_dual_mov_b32 v0, 0 :: v_dual_mov_b32 v1, v97
	s_cselect_b32 s33, -1, 0
	s_add_i32 s0, s12, 4
	v_dual_mov_b32 v3, v97 :: v_dual_mov_b32 v8, 0
	s_cmp_lt_i32 s0, s17
	v_mov_b32_e32 v4, v97
	s_cselect_b32 s34, -1, 0
	s_add_i32 s0, s12, 5
	s_lshl_b32 s35, s20, 3
	s_cmp_lt_i32 s0, s17
	v_mov_b32_e32 v5, v97
	s_cselect_b32 s36, -1, 0
	s_add_i32 s0, s12, 6
	v_mov_b32_e32 v6, v97
	s_cmp_lt_i32 s0, s17
	v_mov_b32_e32 v7, v97
	s_cselect_b32 s37, -1, 0
	s_add_i32 s0, s12, 7
	v_mov_b32_e32 v9, v97
	;; [unrolled: 5-line block ×3, first 2 shown]
	s_cmp_lt_i32 s0, s17
	v_mov_b32_e32 v12, v97
	s_cselect_b32 s41, -1, 0
	s_add_i32 s0, s12, 9
	s_lshl_b32 s42, s20, 4
	s_cmp_lt_i32 s0, s17
	v_mov_b32_e32 v13, v97
	s_cselect_b32 s43, -1, 0
	s_add_i32 s0, s12, 10
	v_mov_b32_e32 v14, v97
	s_cmp_lt_i32 s0, s17
	s_mov_b32 s0, s19
	s_cselect_b32 s17, -1, 0
	s_ashr_i32 s1, s19, 31
	v_mov_b32_e32 v15, v97
	s_lshl_b64 s[0:1], s[0:1], 2
	s_add_u32 s44, s44, s48
	s_addc_u32 s45, s45, s49
	s_add_u32 s44, s44, s46
	s_addc_u32 s45, s45, s47
	;; [unrolled: 2-line block ×3, first 2 shown]
	v_add_co_u32 v82, s8, s8, v2
	s_delay_alu instid0(VALU_DEP_1)
	v_add_co_ci_u32_e64 v83, null, s9, 0, s8
	v_mov_b32_e32 v2, v97
	s_mul_i32 s39, s20, 6
	s_mul_i32 s40, s20, 10
	;; [unrolled: 1-line block ×6, first 2 shown]
	s_lshl_b32 s20, s20, 1
	s_lshl_b32 s46, s19, 1
	s_mul_i32 s47, s19, 3
	s_lshl_b32 s48, s19, 2
	s_mul_i32 s49, s19, 5
	s_mul_i32 s50, s19, 6
	;; [unrolled: 1-line block ×3, first 2 shown]
	s_lshl_b32 s52, s19, 3
	s_mul_i32 s53, s19, 9
	s_mul_i32 s54, s19, 10
	;; [unrolled: 1-line block ×7, first 2 shown]
	s_lshl_b32 s60, s19, 4
	s_mul_i32 s61, s19, 17
	s_mul_i32 s62, s19, 18
	;; [unrolled: 1-line block ×15, first 2 shown]
	s_mov_b32 s19, 0
	s_branch .LBB55_75
.LBB55_74:                              ;   in Loop: Header=BB55_75 Depth=1
	s_or_b32 exec_lo, exec_lo, s76
	s_delay_alu instid0(VALU_DEP_1)
	v_perm_b32 v84, v84, v100, 0x7060302
	v_add_nc_u32_e32 v85, 0x400, v96
	v_add_nc_u32_e32 v95, 64, v95
	v_add_co_u32 v82, vcc_lo, 0x100, v82
	ds_store_2addr_b32 v85, v84, v97 offset0:120 offset1:156
	ds_store_2addr_b32 v85, v97, v97 offset0:192 offset1:228
	v_add_nc_u32_e32 v84, 0x800, v96
	v_add_co_ci_u32_e32 v83, vcc_lo, 0, v83, vcc_lo
	v_cmp_le_i32_e32 vcc_lo, s16, v95
	v_add_nc_u32_e32 v81, 0x80, v81
	ds_store_2addr_b32 v84, v97, v97 offset0:8 offset1:44
	ds_load_b128 v[100:103], v98 offset:64
	ds_load_b128 v[104:107], v98 offset:80
	;; [unrolled: 1-line block ×4, first 2 shown]
	s_or_b32 s19, vcc_lo, s19
	s_waitcnt lgkmcnt(2)
	v_wmma_f32_16x16x16_bf16 v[8:15], v[56:63], v[100:107], v[8:15]
	v_wmma_f32_16x16x16_bf16 v[0:7], v[72:79], v[100:107], v[0:7]
	s_waitcnt lgkmcnt(0)
	s_delay_alu instid0(VALU_DEP_2)
	v_wmma_f32_16x16x16_bf16 v[8:15], v[48:55], v[108:115], v[8:15]
	ds_load_b128 v[48:51], v98 offset:128
	ds_load_b128 v[52:55], v98 offset:144
	v_wmma_f32_16x16x16_bf16 v[0:7], v[64:71], v[108:115], v[0:7]
	s_waitcnt lgkmcnt(0)
	v_wmma_f32_16x16x16_bf16 v[8:15], v[32:39], v[48:55], v[8:15]
	ds_load_b128 v[32:35], v98 offset:160
	ds_load_b128 v[36:39], v98 offset:176
	v_wmma_f32_16x16x16_bf16 v[0:7], v[40:47], v[48:55], v[0:7]
	s_waitcnt lgkmcnt(0)
	v_wmma_f32_16x16x16_bf16 v[8:15], v[16:23], v[32:39], v[8:15]
	s_delay_alu instid0(VALU_DEP_2)
	v_wmma_f32_16x16x16_bf16 v[0:7], v[24:31], v[32:39], v[0:7]
	s_and_not1_b32 exec_lo, exec_lo, s19
	s_cbranch_execz .LBB55_196
.LBB55_75:                              ; =>This Inner Loop Header: Depth=1
	v_dual_mov_b32 v85, 0 :: v_dual_add_nc_u32 v16, s46, v95
	v_add_nc_u32_e32 v22, s48, v95
	v_add_nc_u32_e32 v18, s47, v95
	v_add_co_u32 v20, vcc_lo, v82, s0
	s_delay_alu instid0(VALU_DEP_4)
	v_ashrrev_i32_e32 v17, 31, v16
	v_add_co_ci_u32_e32 v21, vcc_lo, s1, v83, vcc_lo
	v_ashrrev_i32_e32 v23, 31, v22
	v_ashrrev_i32_e32 v19, 31, v18
	v_add_nc_u32_e32 v24, s49, v95
	v_lshlrev_b64 v[16:17], 2, v[16:17]
	s_clause 0x1
	global_load_b32 v38, v[82:83], off
	global_load_b32 v39, v[20:21], off
	v_lshlrev_b64 v[20:21], 2, v[22:23]
	v_add_nc_u32_e32 v22, s50, v95
	v_lshlrev_b64 v[18:19], 2, v[18:19]
	v_ashrrev_i32_e32 v25, 31, v24
	v_add_nc_u32_e32 v26, s51, v95
	v_add_co_u32 v16, vcc_lo, s18, v16
	v_ashrrev_i32_e32 v23, 31, v22
	v_add_co_ci_u32_e32 v17, vcc_lo, s24, v17, vcc_lo
	v_add_nc_u32_e32 v28, s52, v95
	v_add_co_u32 v18, vcc_lo, s18, v18
	v_lshlrev_b64 v[24:25], 2, v[24:25]
	v_ashrrev_i32_e32 v27, 31, v26
	v_add_co_ci_u32_e32 v19, vcc_lo, s24, v19, vcc_lo
	v_add_nc_u32_e32 v30, s53, v95
	v_add_co_u32 v20, vcc_lo, s18, v20
	v_lshlrev_b64 v[22:23], 2, v[22:23]
	v_ashrrev_i32_e32 v29, 31, v28
	v_add_co_ci_u32_e32 v21, vcc_lo, s24, v21, vcc_lo
	v_add_co_u32 v24, vcc_lo, s18, v24
	v_lshlrev_b64 v[26:27], 2, v[26:27]
	v_ashrrev_i32_e32 v31, 31, v30
	v_add_co_ci_u32_e32 v25, vcc_lo, s24, v25, vcc_lo
	v_add_co_u32 v22, vcc_lo, s18, v22
	v_lshlrev_b64 v[28:29], 2, v[28:29]
	v_add_co_ci_u32_e32 v23, vcc_lo, s24, v23, vcc_lo
	v_add_nc_u32_e32 v32, s54, v95
	v_add_co_u32 v26, vcc_lo, s18, v26
	v_lshlrev_b64 v[30:31], 2, v[30:31]
	v_add_co_ci_u32_e32 v27, vcc_lo, s24, v27, vcc_lo
	v_add_nc_u32_e32 v34, s55, v95
	v_add_co_u32 v28, vcc_lo, s18, v28
	v_ashrrev_i32_e32 v33, 31, v32
	v_add_co_ci_u32_e32 v29, vcc_lo, s24, v29, vcc_lo
	v_add_nc_u32_e32 v36, s56, v95
	v_add_co_u32 v30, vcc_lo, s18, v30
	v_ashrrev_i32_e32 v35, 31, v34
	v_add_co_ci_u32_e32 v31, vcc_lo, s24, v31, vcc_lo
	s_clause 0x7
	global_load_b32 v40, v[16:17], off
	global_load_b32 v41, v[18:19], off
	global_load_b32 v42, v[20:21], off
	global_load_b32 v43, v[24:25], off
	global_load_b32 v44, v[22:23], off
	global_load_b32 v45, v[26:27], off
	global_load_b32 v46, v[28:29], off
	global_load_b32 v47, v[30:31], off
	v_add_nc_u32_e32 v18, s57, v95
	v_lshlrev_b64 v[32:33], 2, v[32:33]
	v_ashrrev_i32_e32 v37, 31, v36
	v_add_nc_u32_e32 v24, s58, v95
	v_lshlrev_b64 v[16:17], 2, v[34:35]
	v_ashrrev_i32_e32 v19, 31, v18
	v_add_nc_u32_e32 v26, s59, v95
	v_add_co_u32 v20, vcc_lo, s18, v32
	v_lshlrev_b64 v[22:23], 2, v[36:37]
	v_ashrrev_i32_e32 v25, 31, v24
	v_add_co_ci_u32_e32 v21, vcc_lo, s24, v33, vcc_lo
	v_add_nc_u32_e32 v28, s60, v95
	v_add_co_u32 v16, vcc_lo, s18, v16
	v_lshlrev_b64 v[18:19], 2, v[18:19]
	v_ashrrev_i32_e32 v27, 31, v26
	v_add_co_ci_u32_e32 v17, vcc_lo, s24, v17, vcc_lo
	v_add_nc_u32_e32 v30, s61, v95
	v_add_co_u32 v22, vcc_lo, s18, v22
	v_lshlrev_b64 v[24:25], 2, v[24:25]
	v_ashrrev_i32_e32 v29, 31, v28
	v_add_co_ci_u32_e32 v23, vcc_lo, s24, v23, vcc_lo
	v_add_co_u32 v18, vcc_lo, s18, v18
	v_lshlrev_b64 v[26:27], 2, v[26:27]
	v_ashrrev_i32_e32 v31, 31, v30
	v_add_co_ci_u32_e32 v19, vcc_lo, s24, v19, vcc_lo
	v_add_co_u32 v24, vcc_lo, s18, v24
	v_lshlrev_b64 v[28:29], 2, v[28:29]
	v_add_co_ci_u32_e32 v25, vcc_lo, s24, v25, vcc_lo
	v_add_nc_u32_e32 v32, s62, v95
	v_add_co_u32 v26, vcc_lo, s18, v26
	v_lshlrev_b64 v[30:31], 2, v[30:31]
	v_add_co_ci_u32_e32 v27, vcc_lo, s24, v27, vcc_lo
	v_add_nc_u32_e32 v34, s63, v95
	v_add_co_u32 v28, vcc_lo, s18, v28
	v_ashrrev_i32_e32 v33, 31, v32
	v_add_co_ci_u32_e32 v29, vcc_lo, s24, v29, vcc_lo
	v_add_nc_u32_e32 v36, s64, v95
	v_add_co_u32 v30, vcc_lo, s18, v30
	v_ashrrev_i32_e32 v35, 31, v34
	v_add_co_ci_u32_e32 v31, vcc_lo, s24, v31, vcc_lo
	s_clause 0x7
	global_load_b32 v48, v[20:21], off
	global_load_b32 v49, v[16:17], off
	global_load_b32 v50, v[22:23], off
	global_load_b32 v51, v[18:19], off
	global_load_b32 v52, v[24:25], off
	global_load_b32 v53, v[26:27], off
	global_load_b32 v64, v[28:29], off
	global_load_b32 v65, v[30:31], off
	v_add_nc_u32_e32 v18, s65, v95
	v_lshlrev_b64 v[32:33], 2, v[32:33]
	v_ashrrev_i32_e32 v37, 31, v36
	v_add_nc_u32_e32 v24, s66, v95
	v_lshlrev_b64 v[16:17], 2, v[34:35]
	v_ashrrev_i32_e32 v19, 31, v18
	v_add_nc_u32_e32 v26, s67, v95
	v_add_co_u32 v20, vcc_lo, s18, v32
	v_lshlrev_b64 v[22:23], 2, v[36:37]
	;; [unrolled: 49-line block ×3, first 2 shown]
	v_ashrrev_i32_e32 v25, 31, v24
	v_add_co_ci_u32_e32 v21, vcc_lo, s24, v33, vcc_lo
	v_add_co_u32 v16, vcc_lo, s18, v16
	v_lshlrev_b64 v[18:19], 2, v[18:19]
	v_ashrrev_i32_e32 v27, 31, v26
	v_add_co_ci_u32_e32 v17, vcc_lo, s24, v17, vcc_lo
	v_add_co_u32 v22, vcc_lo, s18, v22
	v_lshlrev_b64 v[24:25], 2, v[24:25]
	v_add_co_ci_u32_e32 v23, vcc_lo, s24, v23, vcc_lo
	v_add_co_u32 v18, vcc_lo, s18, v18
	v_lshlrev_b64 v[26:27], 2, v[26:27]
	v_add_co_ci_u32_e32 v19, vcc_lo, s24, v19, vcc_lo
	v_add_co_u32 v24, vcc_lo, s18, v24
	v_add_co_ci_u32_e32 v25, vcc_lo, s24, v25, vcc_lo
	s_delay_alu instid0(VALU_DEP_4)
	v_add_co_u32 v26, vcc_lo, s18, v26
	v_add_co_ci_u32_e32 v27, vcc_lo, s24, v27, vcc_lo
	s_clause 0x5
	global_load_b32 v30, v[20:21], off
	global_load_b32 v31, v[16:17], off
	;; [unrolled: 1-line block ×6, first 2 shown]
	v_mov_b32_e32 v84, 0
	s_and_not1_b32 vcc_lo, exec_lo, s27
	s_waitcnt vmcnt(31)
	ds_store_b32 v96, v38 offset:64
	s_waitcnt vmcnt(30)
	ds_store_b32 v96, v39 offset:208
	;; [unrolled: 2-line block ×16, first 2 shown]
	ds_load_b128 v[56:59], v98 offset:64
	ds_load_b128 v[60:63], v98 offset:80
	;; [unrolled: 1-line block ×8, first 2 shown]
	s_waitcnt vmcnt(15)
	ds_store_b32 v96, v64 offset:64
	s_waitcnt vmcnt(14)
	ds_store_b32 v96, v65 offset:208
	;; [unrolled: 2-line block ×16, first 2 shown]
	ds_load_b128 v[72:75], v98 offset:64
	ds_load_b128 v[76:79], v98 offset:80
	;; [unrolled: 1-line block ×8, first 2 shown]
	s_cbranch_vccnz .LBB55_78
; %bb.76:                               ;   in Loop: Header=BB55_75 Depth=1
	ds_load_b32 v100, v99
	v_dual_mov_b32 v84, 0 :: v_dual_mov_b32 v85, 0
	s_waitcnt lgkmcnt(0)
	v_cmp_gt_i32_e32 vcc_lo, 0, v100
	s_cbranch_vccnz .LBB55_78
; %bb.77:                               ;   in Loop: Header=BB55_75 Depth=1
	v_mad_u64_u32 v[84:85], null, v100, s25, v[81:82]
	s_delay_alu instid0(VALU_DEP_1) | instskip(NEXT) | instid1(VALU_DEP_1)
	v_ashrrev_i32_e32 v85, 31, v84
	v_lshlrev_b64 v[84:85], 2, v[84:85]
	s_delay_alu instid0(VALU_DEP_1) | instskip(NEXT) | instid1(VALU_DEP_2)
	v_add_co_u32 v84, vcc_lo, s10, v84
	v_add_co_ci_u32_e32 v85, vcc_lo, s11, v85, vcc_lo
	global_load_b64 v[84:85], v[84:85], off
.LBB55_78:                              ;   in Loop: Header=BB55_75 Depth=1
	s_waitcnt vmcnt(0)
	v_and_b32_e32 v100, 0x7f800000, v84
	s_delay_alu instid0(VALU_DEP_1) | instskip(SKIP_1) | instid1(SALU_CYCLE_1)
	v_cmp_ne_u32_e32 vcc_lo, 0x7f800000, v100
                                        ; implicit-def: $vgpr100
	s_and_saveexec_b32 s76, vcc_lo
	s_xor_b32 s76, exec_lo, s76
; %bb.79:                               ;   in Loop: Header=BB55_75 Depth=1
	v_bfe_u32 v100, v84, 16, 1
	s_delay_alu instid0(VALU_DEP_1)
	v_add3_u32 v100, v84, v100, 0x7fff
; %bb.80:                               ;   in Loop: Header=BB55_75 Depth=1
	s_and_not1_saveexec_b32 s76, s76
; %bb.81:                               ;   in Loop: Header=BB55_75 Depth=1
	v_and_b32_e32 v100, 0xffff, v84
	v_or_b32_e32 v101, 0x10000, v84
	s_delay_alu instid0(VALU_DEP_2) | instskip(NEXT) | instid1(VALU_DEP_2)
	v_cmp_eq_u32_e32 vcc_lo, 0, v100
	v_cndmask_b32_e32 v100, v101, v84, vcc_lo
; %bb.82:                               ;   in Loop: Header=BB55_75 Depth=1
	s_or_b32 exec_lo, exec_lo, s76
	v_and_b32_e32 v84, 0x7f800000, v85
	s_delay_alu instid0(VALU_DEP_1) | instskip(SKIP_1) | instid1(SALU_CYCLE_1)
	v_cmp_ne_u32_e32 vcc_lo, 0x7f800000, v84
                                        ; implicit-def: $vgpr84
	s_and_saveexec_b32 s76, vcc_lo
	s_xor_b32 s76, exec_lo, s76
; %bb.83:                               ;   in Loop: Header=BB55_75 Depth=1
	v_bfe_u32 v84, v85, 16, 1
	s_delay_alu instid0(VALU_DEP_1)
	v_add3_u32 v84, v85, v84, 0x7fff
                                        ; implicit-def: $vgpr85
; %bb.84:                               ;   in Loop: Header=BB55_75 Depth=1
	s_and_not1_saveexec_b32 s76, s76
; %bb.85:                               ;   in Loop: Header=BB55_75 Depth=1
	v_and_b32_e32 v84, 0xffff, v85
	v_or_b32_e32 v101, 0x10000, v85
	s_delay_alu instid0(VALU_DEP_2) | instskip(NEXT) | instid1(VALU_DEP_2)
	v_cmp_eq_u32_e32 vcc_lo, 0, v84
	v_cndmask_b32_e32 v84, v101, v85, vcc_lo
; %bb.86:                               ;   in Loop: Header=BB55_75 Depth=1
	s_or_b32 exec_lo, exec_lo, s76
	s_delay_alu instid0(VALU_DEP_1)
	v_perm_b32 v100, v84, v100, 0x7060302
	v_dual_mov_b32 v85, 0 :: v_dual_mov_b32 v84, 0
	s_and_not1_b32 vcc_lo, exec_lo, s28
	ds_store_b32 v96, v100 offset:64
	s_cbranch_vccnz .LBB55_89
; %bb.87:                               ;   in Loop: Header=BB55_75 Depth=1
	ds_load_b32 v100, v99 offset:4
	v_dual_mov_b32 v84, 0 :: v_dual_mov_b32 v85, 0
	s_waitcnt lgkmcnt(0)
	v_cmp_gt_i32_e32 vcc_lo, 0, v100
	s_cbranch_vccnz .LBB55_89
; %bb.88:                               ;   in Loop: Header=BB55_75 Depth=1
	v_mul_lo_u32 v84, v100, s25
	s_delay_alu instid0(VALU_DEP_1) | instskip(NEXT) | instid1(VALU_DEP_1)
	v_add3_u32 v84, v84, s20, v81
	v_ashrrev_i32_e32 v85, 31, v84
	s_delay_alu instid0(VALU_DEP_1) | instskip(NEXT) | instid1(VALU_DEP_1)
	v_lshlrev_b64 v[84:85], 2, v[84:85]
	v_add_co_u32 v84, vcc_lo, s10, v84
	s_delay_alu instid0(VALU_DEP_2)
	v_add_co_ci_u32_e32 v85, vcc_lo, s11, v85, vcc_lo
	global_load_b64 v[84:85], v[84:85], off
.LBB55_89:                              ;   in Loop: Header=BB55_75 Depth=1
	s_waitcnt vmcnt(0)
	v_and_b32_e32 v100, 0x7f800000, v84
	s_delay_alu instid0(VALU_DEP_1) | instskip(SKIP_1) | instid1(SALU_CYCLE_1)
	v_cmp_ne_u32_e32 vcc_lo, 0x7f800000, v100
                                        ; implicit-def: $vgpr100
	s_and_saveexec_b32 s76, vcc_lo
	s_xor_b32 s76, exec_lo, s76
; %bb.90:                               ;   in Loop: Header=BB55_75 Depth=1
	v_bfe_u32 v100, v84, 16, 1
	s_delay_alu instid0(VALU_DEP_1)
	v_add3_u32 v100, v84, v100, 0x7fff
; %bb.91:                               ;   in Loop: Header=BB55_75 Depth=1
	s_and_not1_saveexec_b32 s76, s76
; %bb.92:                               ;   in Loop: Header=BB55_75 Depth=1
	v_and_b32_e32 v100, 0xffff, v84
	v_or_b32_e32 v101, 0x10000, v84
	s_delay_alu instid0(VALU_DEP_2) | instskip(NEXT) | instid1(VALU_DEP_2)
	v_cmp_eq_u32_e32 vcc_lo, 0, v100
	v_cndmask_b32_e32 v100, v101, v84, vcc_lo
; %bb.93:                               ;   in Loop: Header=BB55_75 Depth=1
	s_or_b32 exec_lo, exec_lo, s76
	v_and_b32_e32 v84, 0x7f800000, v85
	s_delay_alu instid0(VALU_DEP_1) | instskip(SKIP_1) | instid1(SALU_CYCLE_1)
	v_cmp_ne_u32_e32 vcc_lo, 0x7f800000, v84
                                        ; implicit-def: $vgpr84
	s_and_saveexec_b32 s76, vcc_lo
	s_xor_b32 s76, exec_lo, s76
; %bb.94:                               ;   in Loop: Header=BB55_75 Depth=1
	v_bfe_u32 v84, v85, 16, 1
	s_delay_alu instid0(VALU_DEP_1)
	v_add3_u32 v84, v85, v84, 0x7fff
                                        ; implicit-def: $vgpr85
; %bb.95:                               ;   in Loop: Header=BB55_75 Depth=1
	s_and_not1_saveexec_b32 s76, s76
; %bb.96:                               ;   in Loop: Header=BB55_75 Depth=1
	v_and_b32_e32 v84, 0xffff, v85
	v_or_b32_e32 v101, 0x10000, v85
	s_delay_alu instid0(VALU_DEP_2) | instskip(NEXT) | instid1(VALU_DEP_2)
	v_cmp_eq_u32_e32 vcc_lo, 0, v84
	v_cndmask_b32_e32 v84, v101, v85, vcc_lo
; %bb.97:                               ;   in Loop: Header=BB55_75 Depth=1
	s_or_b32 exec_lo, exec_lo, s76
	s_delay_alu instid0(VALU_DEP_1)
	v_perm_b32 v100, v84, v100, 0x7060302
	v_dual_mov_b32 v85, 0 :: v_dual_mov_b32 v84, 0
	s_and_not1_b32 vcc_lo, exec_lo, s29
	ds_store_b32 v96, v100 offset:208
	s_cbranch_vccnz .LBB55_100
; %bb.98:                               ;   in Loop: Header=BB55_75 Depth=1
	ds_load_b32 v100, v99 offset:8
	v_dual_mov_b32 v84, 0 :: v_dual_mov_b32 v85, 0
	s_waitcnt lgkmcnt(0)
	v_cmp_gt_i32_e32 vcc_lo, 0, v100
	s_cbranch_vccnz .LBB55_100
; %bb.99:                               ;   in Loop: Header=BB55_75 Depth=1
	v_mul_lo_u32 v84, v100, s25
	s_delay_alu instid0(VALU_DEP_1) | instskip(NEXT) | instid1(VALU_DEP_1)
	v_add3_u32 v84, v84, s31, v81
	v_ashrrev_i32_e32 v85, 31, v84
	s_delay_alu instid0(VALU_DEP_1) | instskip(NEXT) | instid1(VALU_DEP_1)
	v_lshlrev_b64 v[84:85], 2, v[84:85]
	v_add_co_u32 v84, vcc_lo, s10, v84
	s_delay_alu instid0(VALU_DEP_2)
	v_add_co_ci_u32_e32 v85, vcc_lo, s11, v85, vcc_lo
	global_load_b64 v[84:85], v[84:85], off
.LBB55_100:                             ;   in Loop: Header=BB55_75 Depth=1
	s_waitcnt vmcnt(0)
	v_and_b32_e32 v100, 0x7f800000, v84
	s_delay_alu instid0(VALU_DEP_1) | instskip(SKIP_1) | instid1(SALU_CYCLE_1)
	v_cmp_ne_u32_e32 vcc_lo, 0x7f800000, v100
                                        ; implicit-def: $vgpr100
	s_and_saveexec_b32 s76, vcc_lo
	s_xor_b32 s76, exec_lo, s76
; %bb.101:                              ;   in Loop: Header=BB55_75 Depth=1
	v_bfe_u32 v100, v84, 16, 1
	s_delay_alu instid0(VALU_DEP_1)
	v_add3_u32 v100, v84, v100, 0x7fff
; %bb.102:                              ;   in Loop: Header=BB55_75 Depth=1
	s_and_not1_saveexec_b32 s76, s76
; %bb.103:                              ;   in Loop: Header=BB55_75 Depth=1
	v_and_b32_e32 v100, 0xffff, v84
	v_or_b32_e32 v101, 0x10000, v84
	s_delay_alu instid0(VALU_DEP_2) | instskip(NEXT) | instid1(VALU_DEP_2)
	v_cmp_eq_u32_e32 vcc_lo, 0, v100
	v_cndmask_b32_e32 v100, v101, v84, vcc_lo
; %bb.104:                              ;   in Loop: Header=BB55_75 Depth=1
	s_or_b32 exec_lo, exec_lo, s76
	v_and_b32_e32 v84, 0x7f800000, v85
	s_delay_alu instid0(VALU_DEP_1) | instskip(SKIP_1) | instid1(SALU_CYCLE_1)
	v_cmp_ne_u32_e32 vcc_lo, 0x7f800000, v84
                                        ; implicit-def: $vgpr84
	s_and_saveexec_b32 s76, vcc_lo
	s_xor_b32 s76, exec_lo, s76
; %bb.105:                              ;   in Loop: Header=BB55_75 Depth=1
	v_bfe_u32 v84, v85, 16, 1
	s_delay_alu instid0(VALU_DEP_1)
	v_add3_u32 v84, v85, v84, 0x7fff
                                        ; implicit-def: $vgpr85
; %bb.106:                              ;   in Loop: Header=BB55_75 Depth=1
	s_and_not1_saveexec_b32 s76, s76
; %bb.107:                              ;   in Loop: Header=BB55_75 Depth=1
	v_and_b32_e32 v84, 0xffff, v85
	v_or_b32_e32 v101, 0x10000, v85
	s_delay_alu instid0(VALU_DEP_2) | instskip(NEXT) | instid1(VALU_DEP_2)
	v_cmp_eq_u32_e32 vcc_lo, 0, v84
	v_cndmask_b32_e32 v84, v101, v85, vcc_lo
; %bb.108:                              ;   in Loop: Header=BB55_75 Depth=1
	s_or_b32 exec_lo, exec_lo, s76
	s_delay_alu instid0(VALU_DEP_1)
	v_perm_b32 v100, v84, v100, 0x7060302
	v_dual_mov_b32 v85, 0 :: v_dual_mov_b32 v84, 0
	s_and_not1_b32 vcc_lo, exec_lo, s33
	ds_store_b32 v96, v100 offset:352
	s_cbranch_vccnz .LBB55_111
; %bb.109:                              ;   in Loop: Header=BB55_75 Depth=1
	ds_load_b32 v100, v99 offset:12
	v_dual_mov_b32 v84, 0 :: v_dual_mov_b32 v85, 0
	s_waitcnt lgkmcnt(0)
	v_cmp_gt_i32_e32 vcc_lo, 0, v100
	s_cbranch_vccnz .LBB55_111
; %bb.110:                              ;   in Loop: Header=BB55_75 Depth=1
	v_mul_lo_u32 v84, v100, s25
	s_delay_alu instid0(VALU_DEP_1) | instskip(NEXT) | instid1(VALU_DEP_1)
	v_add3_u32 v84, v84, s39, v81
	v_ashrrev_i32_e32 v85, 31, v84
	s_delay_alu instid0(VALU_DEP_1) | instskip(NEXT) | instid1(VALU_DEP_1)
	v_lshlrev_b64 v[84:85], 2, v[84:85]
	v_add_co_u32 v84, vcc_lo, s10, v84
	s_delay_alu instid0(VALU_DEP_2)
	v_add_co_ci_u32_e32 v85, vcc_lo, s11, v85, vcc_lo
	global_load_b64 v[84:85], v[84:85], off
.LBB55_111:                             ;   in Loop: Header=BB55_75 Depth=1
	s_waitcnt vmcnt(0)
	v_and_b32_e32 v100, 0x7f800000, v84
	s_delay_alu instid0(VALU_DEP_1) | instskip(SKIP_1) | instid1(SALU_CYCLE_1)
	v_cmp_ne_u32_e32 vcc_lo, 0x7f800000, v100
                                        ; implicit-def: $vgpr100
	s_and_saveexec_b32 s76, vcc_lo
	s_xor_b32 s76, exec_lo, s76
; %bb.112:                              ;   in Loop: Header=BB55_75 Depth=1
	v_bfe_u32 v100, v84, 16, 1
	s_delay_alu instid0(VALU_DEP_1)
	v_add3_u32 v100, v84, v100, 0x7fff
; %bb.113:                              ;   in Loop: Header=BB55_75 Depth=1
	s_and_not1_saveexec_b32 s76, s76
; %bb.114:                              ;   in Loop: Header=BB55_75 Depth=1
	v_and_b32_e32 v100, 0xffff, v84
	v_or_b32_e32 v101, 0x10000, v84
	s_delay_alu instid0(VALU_DEP_2) | instskip(NEXT) | instid1(VALU_DEP_2)
	v_cmp_eq_u32_e32 vcc_lo, 0, v100
	v_cndmask_b32_e32 v100, v101, v84, vcc_lo
; %bb.115:                              ;   in Loop: Header=BB55_75 Depth=1
	s_or_b32 exec_lo, exec_lo, s76
	v_and_b32_e32 v84, 0x7f800000, v85
	s_delay_alu instid0(VALU_DEP_1) | instskip(SKIP_1) | instid1(SALU_CYCLE_1)
	v_cmp_ne_u32_e32 vcc_lo, 0x7f800000, v84
                                        ; implicit-def: $vgpr84
	s_and_saveexec_b32 s76, vcc_lo
	s_xor_b32 s76, exec_lo, s76
; %bb.116:                              ;   in Loop: Header=BB55_75 Depth=1
	v_bfe_u32 v84, v85, 16, 1
	s_delay_alu instid0(VALU_DEP_1)
	v_add3_u32 v84, v85, v84, 0x7fff
                                        ; implicit-def: $vgpr85
; %bb.117:                              ;   in Loop: Header=BB55_75 Depth=1
	s_and_not1_saveexec_b32 s76, s76
; %bb.118:                              ;   in Loop: Header=BB55_75 Depth=1
	v_and_b32_e32 v84, 0xffff, v85
	v_or_b32_e32 v101, 0x10000, v85
	s_delay_alu instid0(VALU_DEP_2) | instskip(NEXT) | instid1(VALU_DEP_2)
	v_cmp_eq_u32_e32 vcc_lo, 0, v84
	v_cndmask_b32_e32 v84, v101, v85, vcc_lo
; %bb.119:                              ;   in Loop: Header=BB55_75 Depth=1
	s_or_b32 exec_lo, exec_lo, s76
	s_delay_alu instid0(VALU_DEP_1)
	v_perm_b32 v100, v84, v100, 0x7060302
	v_dual_mov_b32 v85, 0 :: v_dual_mov_b32 v84, 0
	s_and_not1_b32 vcc_lo, exec_lo, s34
	ds_store_b32 v96, v100 offset:496
	s_cbranch_vccnz .LBB55_122
; %bb.120:                              ;   in Loop: Header=BB55_75 Depth=1
	ds_load_b32 v100, v99 offset:16
	v_dual_mov_b32 v84, 0 :: v_dual_mov_b32 v85, 0
	s_waitcnt lgkmcnt(0)
	v_cmp_gt_i32_e32 vcc_lo, 0, v100
	s_cbranch_vccnz .LBB55_122
; %bb.121:                              ;   in Loop: Header=BB55_75 Depth=1
	v_mul_lo_u32 v84, v100, s25
	s_delay_alu instid0(VALU_DEP_1) | instskip(NEXT) | instid1(VALU_DEP_1)
	v_add3_u32 v84, v84, s35, v81
	v_ashrrev_i32_e32 v85, 31, v84
	s_delay_alu instid0(VALU_DEP_1) | instskip(NEXT) | instid1(VALU_DEP_1)
	v_lshlrev_b64 v[84:85], 2, v[84:85]
	v_add_co_u32 v84, vcc_lo, s10, v84
	s_delay_alu instid0(VALU_DEP_2)
	v_add_co_ci_u32_e32 v85, vcc_lo, s11, v85, vcc_lo
	global_load_b64 v[84:85], v[84:85], off
.LBB55_122:                             ;   in Loop: Header=BB55_75 Depth=1
	s_waitcnt vmcnt(0)
	v_and_b32_e32 v100, 0x7f800000, v84
	s_delay_alu instid0(VALU_DEP_1) | instskip(SKIP_1) | instid1(SALU_CYCLE_1)
	v_cmp_ne_u32_e32 vcc_lo, 0x7f800000, v100
                                        ; implicit-def: $vgpr100
	s_and_saveexec_b32 s76, vcc_lo
	s_xor_b32 s76, exec_lo, s76
; %bb.123:                              ;   in Loop: Header=BB55_75 Depth=1
	v_bfe_u32 v100, v84, 16, 1
	s_delay_alu instid0(VALU_DEP_1)
	v_add3_u32 v100, v84, v100, 0x7fff
; %bb.124:                              ;   in Loop: Header=BB55_75 Depth=1
	s_and_not1_saveexec_b32 s76, s76
; %bb.125:                              ;   in Loop: Header=BB55_75 Depth=1
	v_and_b32_e32 v100, 0xffff, v84
	v_or_b32_e32 v101, 0x10000, v84
	s_delay_alu instid0(VALU_DEP_2) | instskip(NEXT) | instid1(VALU_DEP_2)
	v_cmp_eq_u32_e32 vcc_lo, 0, v100
	v_cndmask_b32_e32 v100, v101, v84, vcc_lo
; %bb.126:                              ;   in Loop: Header=BB55_75 Depth=1
	s_or_b32 exec_lo, exec_lo, s76
	v_and_b32_e32 v84, 0x7f800000, v85
	s_delay_alu instid0(VALU_DEP_1) | instskip(SKIP_1) | instid1(SALU_CYCLE_1)
	v_cmp_ne_u32_e32 vcc_lo, 0x7f800000, v84
                                        ; implicit-def: $vgpr84
	s_and_saveexec_b32 s76, vcc_lo
	s_xor_b32 s76, exec_lo, s76
; %bb.127:                              ;   in Loop: Header=BB55_75 Depth=1
	v_bfe_u32 v84, v85, 16, 1
	s_delay_alu instid0(VALU_DEP_1)
	v_add3_u32 v84, v85, v84, 0x7fff
                                        ; implicit-def: $vgpr85
; %bb.128:                              ;   in Loop: Header=BB55_75 Depth=1
	s_and_not1_saveexec_b32 s76, s76
; %bb.129:                              ;   in Loop: Header=BB55_75 Depth=1
	v_and_b32_e32 v84, 0xffff, v85
	v_or_b32_e32 v101, 0x10000, v85
	s_delay_alu instid0(VALU_DEP_2) | instskip(NEXT) | instid1(VALU_DEP_2)
	v_cmp_eq_u32_e32 vcc_lo, 0, v84
	v_cndmask_b32_e32 v84, v101, v85, vcc_lo
; %bb.130:                              ;   in Loop: Header=BB55_75 Depth=1
	s_or_b32 exec_lo, exec_lo, s76
	s_delay_alu instid0(VALU_DEP_1)
	v_perm_b32 v100, v84, v100, 0x7060302
	v_dual_mov_b32 v85, 0 :: v_dual_mov_b32 v84, 0
	s_and_not1_b32 vcc_lo, exec_lo, s36
	ds_store_b32 v96, v100 offset:640
	s_cbranch_vccnz .LBB55_133
; %bb.131:                              ;   in Loop: Header=BB55_75 Depth=1
	ds_load_b32 v100, v99 offset:20
	v_dual_mov_b32 v84, 0 :: v_dual_mov_b32 v85, 0
	s_waitcnt lgkmcnt(0)
	v_cmp_gt_i32_e32 vcc_lo, 0, v100
	s_cbranch_vccnz .LBB55_133
; %bb.132:                              ;   in Loop: Header=BB55_75 Depth=1
	v_mul_lo_u32 v84, v100, s25
	s_delay_alu instid0(VALU_DEP_1) | instskip(NEXT) | instid1(VALU_DEP_1)
	v_add3_u32 v84, v84, s40, v81
	v_ashrrev_i32_e32 v85, 31, v84
	s_delay_alu instid0(VALU_DEP_1) | instskip(NEXT) | instid1(VALU_DEP_1)
	v_lshlrev_b64 v[84:85], 2, v[84:85]
	v_add_co_u32 v84, vcc_lo, s10, v84
	s_delay_alu instid0(VALU_DEP_2)
	v_add_co_ci_u32_e32 v85, vcc_lo, s11, v85, vcc_lo
	global_load_b64 v[84:85], v[84:85], off
.LBB55_133:                             ;   in Loop: Header=BB55_75 Depth=1
	s_waitcnt vmcnt(0)
	v_and_b32_e32 v100, 0x7f800000, v84
	s_delay_alu instid0(VALU_DEP_1) | instskip(SKIP_1) | instid1(SALU_CYCLE_1)
	v_cmp_ne_u32_e32 vcc_lo, 0x7f800000, v100
                                        ; implicit-def: $vgpr100
	s_and_saveexec_b32 s76, vcc_lo
	s_xor_b32 s76, exec_lo, s76
; %bb.134:                              ;   in Loop: Header=BB55_75 Depth=1
	v_bfe_u32 v100, v84, 16, 1
	s_delay_alu instid0(VALU_DEP_1)
	v_add3_u32 v100, v84, v100, 0x7fff
; %bb.135:                              ;   in Loop: Header=BB55_75 Depth=1
	s_and_not1_saveexec_b32 s76, s76
; %bb.136:                              ;   in Loop: Header=BB55_75 Depth=1
	v_and_b32_e32 v100, 0xffff, v84
	v_or_b32_e32 v101, 0x10000, v84
	s_delay_alu instid0(VALU_DEP_2) | instskip(NEXT) | instid1(VALU_DEP_2)
	v_cmp_eq_u32_e32 vcc_lo, 0, v100
	v_cndmask_b32_e32 v100, v101, v84, vcc_lo
; %bb.137:                              ;   in Loop: Header=BB55_75 Depth=1
	s_or_b32 exec_lo, exec_lo, s76
	v_and_b32_e32 v84, 0x7f800000, v85
	s_delay_alu instid0(VALU_DEP_1) | instskip(SKIP_1) | instid1(SALU_CYCLE_1)
	v_cmp_ne_u32_e32 vcc_lo, 0x7f800000, v84
                                        ; implicit-def: $vgpr84
	s_and_saveexec_b32 s76, vcc_lo
	s_xor_b32 s76, exec_lo, s76
; %bb.138:                              ;   in Loop: Header=BB55_75 Depth=1
	v_bfe_u32 v84, v85, 16, 1
	s_delay_alu instid0(VALU_DEP_1)
	v_add3_u32 v84, v85, v84, 0x7fff
                                        ; implicit-def: $vgpr85
; %bb.139:                              ;   in Loop: Header=BB55_75 Depth=1
	s_and_not1_saveexec_b32 s76, s76
; %bb.140:                              ;   in Loop: Header=BB55_75 Depth=1
	v_and_b32_e32 v84, 0xffff, v85
	v_or_b32_e32 v101, 0x10000, v85
	s_delay_alu instid0(VALU_DEP_2) | instskip(NEXT) | instid1(VALU_DEP_2)
	v_cmp_eq_u32_e32 vcc_lo, 0, v84
	v_cndmask_b32_e32 v84, v101, v85, vcc_lo
; %bb.141:                              ;   in Loop: Header=BB55_75 Depth=1
	s_or_b32 exec_lo, exec_lo, s76
	s_delay_alu instid0(VALU_DEP_1)
	v_perm_b32 v100, v84, v100, 0x7060302
	v_dual_mov_b32 v85, 0 :: v_dual_mov_b32 v84, 0
	s_and_not1_b32 vcc_lo, exec_lo, s37
	ds_store_b32 v96, v100 offset:784
	s_cbranch_vccnz .LBB55_144
; %bb.142:                              ;   in Loop: Header=BB55_75 Depth=1
	ds_load_b32 v100, v99 offset:24
	v_dual_mov_b32 v84, 0 :: v_dual_mov_b32 v85, 0
	s_waitcnt lgkmcnt(0)
	v_cmp_gt_i32_e32 vcc_lo, 0, v100
	s_cbranch_vccnz .LBB55_144
; %bb.143:                              ;   in Loop: Header=BB55_75 Depth=1
	v_mul_lo_u32 v84, v100, s25
	s_delay_alu instid0(VALU_DEP_1) | instskip(NEXT) | instid1(VALU_DEP_1)
	v_add3_u32 v84, v84, s45, v81
	v_ashrrev_i32_e32 v85, 31, v84
	s_delay_alu instid0(VALU_DEP_1) | instskip(NEXT) | instid1(VALU_DEP_1)
	v_lshlrev_b64 v[84:85], 2, v[84:85]
	v_add_co_u32 v84, vcc_lo, s10, v84
	s_delay_alu instid0(VALU_DEP_2)
	v_add_co_ci_u32_e32 v85, vcc_lo, s11, v85, vcc_lo
	global_load_b64 v[84:85], v[84:85], off
.LBB55_144:                             ;   in Loop: Header=BB55_75 Depth=1
	s_waitcnt vmcnt(0)
	v_and_b32_e32 v100, 0x7f800000, v84
	s_delay_alu instid0(VALU_DEP_1) | instskip(SKIP_1) | instid1(SALU_CYCLE_1)
	v_cmp_ne_u32_e32 vcc_lo, 0x7f800000, v100
                                        ; implicit-def: $vgpr100
	s_and_saveexec_b32 s76, vcc_lo
	s_xor_b32 s76, exec_lo, s76
; %bb.145:                              ;   in Loop: Header=BB55_75 Depth=1
	v_bfe_u32 v100, v84, 16, 1
	s_delay_alu instid0(VALU_DEP_1)
	v_add3_u32 v100, v84, v100, 0x7fff
; %bb.146:                              ;   in Loop: Header=BB55_75 Depth=1
	s_and_not1_saveexec_b32 s76, s76
; %bb.147:                              ;   in Loop: Header=BB55_75 Depth=1
	v_and_b32_e32 v100, 0xffff, v84
	v_or_b32_e32 v101, 0x10000, v84
	s_delay_alu instid0(VALU_DEP_2) | instskip(NEXT) | instid1(VALU_DEP_2)
	v_cmp_eq_u32_e32 vcc_lo, 0, v100
	v_cndmask_b32_e32 v100, v101, v84, vcc_lo
; %bb.148:                              ;   in Loop: Header=BB55_75 Depth=1
	s_or_b32 exec_lo, exec_lo, s76
	v_and_b32_e32 v84, 0x7f800000, v85
	s_delay_alu instid0(VALU_DEP_1) | instskip(SKIP_1) | instid1(SALU_CYCLE_1)
	v_cmp_ne_u32_e32 vcc_lo, 0x7f800000, v84
                                        ; implicit-def: $vgpr84
	s_and_saveexec_b32 s76, vcc_lo
	s_xor_b32 s76, exec_lo, s76
; %bb.149:                              ;   in Loop: Header=BB55_75 Depth=1
	v_bfe_u32 v84, v85, 16, 1
	s_delay_alu instid0(VALU_DEP_1)
	v_add3_u32 v84, v85, v84, 0x7fff
                                        ; implicit-def: $vgpr85
; %bb.150:                              ;   in Loop: Header=BB55_75 Depth=1
	s_and_not1_saveexec_b32 s76, s76
; %bb.151:                              ;   in Loop: Header=BB55_75 Depth=1
	v_and_b32_e32 v84, 0xffff, v85
	v_or_b32_e32 v101, 0x10000, v85
	s_delay_alu instid0(VALU_DEP_2) | instskip(NEXT) | instid1(VALU_DEP_2)
	v_cmp_eq_u32_e32 vcc_lo, 0, v84
	v_cndmask_b32_e32 v84, v101, v85, vcc_lo
; %bb.152:                              ;   in Loop: Header=BB55_75 Depth=1
	s_or_b32 exec_lo, exec_lo, s76
	s_delay_alu instid0(VALU_DEP_1)
	v_perm_b32 v100, v84, v100, 0x7060302
	v_dual_mov_b32 v85, 0 :: v_dual_mov_b32 v84, 0
	s_and_not1_b32 vcc_lo, exec_lo, s38
	ds_store_b32 v96, v100 offset:928
	s_cbranch_vccnz .LBB55_155
; %bb.153:                              ;   in Loop: Header=BB55_75 Depth=1
	ds_load_b32 v100, v99 offset:28
	v_dual_mov_b32 v84, 0 :: v_dual_mov_b32 v85, 0
	s_waitcnt lgkmcnt(0)
	v_cmp_gt_i32_e32 vcc_lo, 0, v100
	s_cbranch_vccnz .LBB55_155
; %bb.154:                              ;   in Loop: Header=BB55_75 Depth=1
	v_mul_lo_u32 v84, v100, s25
	s_delay_alu instid0(VALU_DEP_1) | instskip(NEXT) | instid1(VALU_DEP_1)
	v_add3_u32 v84, v84, s44, v81
	v_ashrrev_i32_e32 v85, 31, v84
	s_delay_alu instid0(VALU_DEP_1) | instskip(NEXT) | instid1(VALU_DEP_1)
	v_lshlrev_b64 v[84:85], 2, v[84:85]
	v_add_co_u32 v84, vcc_lo, s10, v84
	s_delay_alu instid0(VALU_DEP_2)
	v_add_co_ci_u32_e32 v85, vcc_lo, s11, v85, vcc_lo
	global_load_b64 v[84:85], v[84:85], off
.LBB55_155:                             ;   in Loop: Header=BB55_75 Depth=1
	s_waitcnt vmcnt(0)
	v_and_b32_e32 v100, 0x7f800000, v84
	s_delay_alu instid0(VALU_DEP_1) | instskip(SKIP_1) | instid1(SALU_CYCLE_1)
	v_cmp_ne_u32_e32 vcc_lo, 0x7f800000, v100
                                        ; implicit-def: $vgpr100
	s_and_saveexec_b32 s76, vcc_lo
	s_xor_b32 s76, exec_lo, s76
; %bb.156:                              ;   in Loop: Header=BB55_75 Depth=1
	v_bfe_u32 v100, v84, 16, 1
	s_delay_alu instid0(VALU_DEP_1)
	v_add3_u32 v100, v84, v100, 0x7fff
; %bb.157:                              ;   in Loop: Header=BB55_75 Depth=1
	s_and_not1_saveexec_b32 s76, s76
; %bb.158:                              ;   in Loop: Header=BB55_75 Depth=1
	v_and_b32_e32 v100, 0xffff, v84
	v_or_b32_e32 v101, 0x10000, v84
	s_delay_alu instid0(VALU_DEP_2) | instskip(NEXT) | instid1(VALU_DEP_2)
	v_cmp_eq_u32_e32 vcc_lo, 0, v100
	v_cndmask_b32_e32 v100, v101, v84, vcc_lo
; %bb.159:                              ;   in Loop: Header=BB55_75 Depth=1
	s_or_b32 exec_lo, exec_lo, s76
	v_and_b32_e32 v84, 0x7f800000, v85
	s_delay_alu instid0(VALU_DEP_1) | instskip(SKIP_1) | instid1(SALU_CYCLE_1)
	v_cmp_ne_u32_e32 vcc_lo, 0x7f800000, v84
                                        ; implicit-def: $vgpr84
	s_and_saveexec_b32 s76, vcc_lo
	s_xor_b32 s76, exec_lo, s76
; %bb.160:                              ;   in Loop: Header=BB55_75 Depth=1
	v_bfe_u32 v84, v85, 16, 1
	s_delay_alu instid0(VALU_DEP_1)
	v_add3_u32 v84, v85, v84, 0x7fff
                                        ; implicit-def: $vgpr85
; %bb.161:                              ;   in Loop: Header=BB55_75 Depth=1
	s_and_not1_saveexec_b32 s76, s76
; %bb.162:                              ;   in Loop: Header=BB55_75 Depth=1
	v_and_b32_e32 v84, 0xffff, v85
	v_or_b32_e32 v101, 0x10000, v85
	s_delay_alu instid0(VALU_DEP_2) | instskip(NEXT) | instid1(VALU_DEP_2)
	v_cmp_eq_u32_e32 vcc_lo, 0, v84
	v_cndmask_b32_e32 v84, v101, v85, vcc_lo
; %bb.163:                              ;   in Loop: Header=BB55_75 Depth=1
	s_or_b32 exec_lo, exec_lo, s76
	s_delay_alu instid0(VALU_DEP_1)
	v_perm_b32 v100, v84, v100, 0x7060302
	v_dual_mov_b32 v85, 0 :: v_dual_mov_b32 v84, 0
	s_and_not1_b32 vcc_lo, exec_lo, s41
	ds_store_b32 v96, v100 offset:1072
	s_cbranch_vccnz .LBB55_166
; %bb.164:                              ;   in Loop: Header=BB55_75 Depth=1
	ds_load_b32 v100, v99 offset:32
	v_dual_mov_b32 v84, 0 :: v_dual_mov_b32 v85, 0
	s_waitcnt lgkmcnt(0)
	v_cmp_gt_i32_e32 vcc_lo, 0, v100
	s_cbranch_vccnz .LBB55_166
; %bb.165:                              ;   in Loop: Header=BB55_75 Depth=1
	v_mul_lo_u32 v84, v100, s25
	s_delay_alu instid0(VALU_DEP_1) | instskip(NEXT) | instid1(VALU_DEP_1)
	v_add3_u32 v84, v84, s42, v81
	v_ashrrev_i32_e32 v85, 31, v84
	s_delay_alu instid0(VALU_DEP_1) | instskip(NEXT) | instid1(VALU_DEP_1)
	v_lshlrev_b64 v[84:85], 2, v[84:85]
	v_add_co_u32 v84, vcc_lo, s10, v84
	s_delay_alu instid0(VALU_DEP_2)
	v_add_co_ci_u32_e32 v85, vcc_lo, s11, v85, vcc_lo
	global_load_b64 v[84:85], v[84:85], off
.LBB55_166:                             ;   in Loop: Header=BB55_75 Depth=1
	s_waitcnt vmcnt(0)
	v_and_b32_e32 v100, 0x7f800000, v84
	s_delay_alu instid0(VALU_DEP_1) | instskip(SKIP_1) | instid1(SALU_CYCLE_1)
	v_cmp_ne_u32_e32 vcc_lo, 0x7f800000, v100
                                        ; implicit-def: $vgpr100
	s_and_saveexec_b32 s76, vcc_lo
	s_xor_b32 s76, exec_lo, s76
; %bb.167:                              ;   in Loop: Header=BB55_75 Depth=1
	v_bfe_u32 v100, v84, 16, 1
	s_delay_alu instid0(VALU_DEP_1)
	v_add3_u32 v100, v84, v100, 0x7fff
; %bb.168:                              ;   in Loop: Header=BB55_75 Depth=1
	s_and_not1_saveexec_b32 s76, s76
; %bb.169:                              ;   in Loop: Header=BB55_75 Depth=1
	v_and_b32_e32 v100, 0xffff, v84
	v_or_b32_e32 v101, 0x10000, v84
	s_delay_alu instid0(VALU_DEP_2) | instskip(NEXT) | instid1(VALU_DEP_2)
	v_cmp_eq_u32_e32 vcc_lo, 0, v100
	v_cndmask_b32_e32 v100, v101, v84, vcc_lo
; %bb.170:                              ;   in Loop: Header=BB55_75 Depth=1
	s_or_b32 exec_lo, exec_lo, s76
	v_and_b32_e32 v84, 0x7f800000, v85
	s_delay_alu instid0(VALU_DEP_1) | instskip(SKIP_1) | instid1(SALU_CYCLE_1)
	v_cmp_ne_u32_e32 vcc_lo, 0x7f800000, v84
                                        ; implicit-def: $vgpr84
	s_and_saveexec_b32 s76, vcc_lo
	s_xor_b32 s76, exec_lo, s76
; %bb.171:                              ;   in Loop: Header=BB55_75 Depth=1
	v_bfe_u32 v84, v85, 16, 1
	s_delay_alu instid0(VALU_DEP_1)
	v_add3_u32 v84, v85, v84, 0x7fff
                                        ; implicit-def: $vgpr85
; %bb.172:                              ;   in Loop: Header=BB55_75 Depth=1
	s_and_not1_saveexec_b32 s76, s76
; %bb.173:                              ;   in Loop: Header=BB55_75 Depth=1
	v_and_b32_e32 v84, 0xffff, v85
	v_or_b32_e32 v101, 0x10000, v85
	s_delay_alu instid0(VALU_DEP_2) | instskip(NEXT) | instid1(VALU_DEP_2)
	v_cmp_eq_u32_e32 vcc_lo, 0, v84
	v_cndmask_b32_e32 v84, v101, v85, vcc_lo
; %bb.174:                              ;   in Loop: Header=BB55_75 Depth=1
	s_or_b32 exec_lo, exec_lo, s76
	s_delay_alu instid0(VALU_DEP_1)
	v_perm_b32 v100, v84, v100, 0x7060302
	v_dual_mov_b32 v85, 0 :: v_dual_mov_b32 v84, 0
	s_and_not1_b32 vcc_lo, exec_lo, s43
	ds_store_b32 v96, v100 offset:1216
	s_cbranch_vccnz .LBB55_177
; %bb.175:                              ;   in Loop: Header=BB55_75 Depth=1
	ds_load_b32 v100, v99 offset:36
	v_dual_mov_b32 v84, 0 :: v_dual_mov_b32 v85, 0
	s_waitcnt lgkmcnt(0)
	v_cmp_gt_i32_e32 vcc_lo, 0, v100
	s_cbranch_vccnz .LBB55_177
; %bb.176:                              ;   in Loop: Header=BB55_75 Depth=1
	v_mul_lo_u32 v84, v100, s25
	s_delay_alu instid0(VALU_DEP_1) | instskip(NEXT) | instid1(VALU_DEP_1)
	v_add3_u32 v84, v84, s9, v81
	v_ashrrev_i32_e32 v85, 31, v84
	s_delay_alu instid0(VALU_DEP_1) | instskip(NEXT) | instid1(VALU_DEP_1)
	v_lshlrev_b64 v[84:85], 2, v[84:85]
	v_add_co_u32 v84, vcc_lo, s10, v84
	s_delay_alu instid0(VALU_DEP_2)
	v_add_co_ci_u32_e32 v85, vcc_lo, s11, v85, vcc_lo
	global_load_b64 v[84:85], v[84:85], off
.LBB55_177:                             ;   in Loop: Header=BB55_75 Depth=1
	s_waitcnt vmcnt(0)
	v_and_b32_e32 v100, 0x7f800000, v84
	s_delay_alu instid0(VALU_DEP_1) | instskip(SKIP_1) | instid1(SALU_CYCLE_1)
	v_cmp_ne_u32_e32 vcc_lo, 0x7f800000, v100
                                        ; implicit-def: $vgpr100
	s_and_saveexec_b32 s76, vcc_lo
	s_xor_b32 s76, exec_lo, s76
; %bb.178:                              ;   in Loop: Header=BB55_75 Depth=1
	v_bfe_u32 v100, v84, 16, 1
	s_delay_alu instid0(VALU_DEP_1)
	v_add3_u32 v100, v84, v100, 0x7fff
; %bb.179:                              ;   in Loop: Header=BB55_75 Depth=1
	s_and_not1_saveexec_b32 s76, s76
; %bb.180:                              ;   in Loop: Header=BB55_75 Depth=1
	v_and_b32_e32 v100, 0xffff, v84
	v_or_b32_e32 v101, 0x10000, v84
	s_delay_alu instid0(VALU_DEP_2) | instskip(NEXT) | instid1(VALU_DEP_2)
	v_cmp_eq_u32_e32 vcc_lo, 0, v100
	v_cndmask_b32_e32 v100, v101, v84, vcc_lo
; %bb.181:                              ;   in Loop: Header=BB55_75 Depth=1
	s_or_b32 exec_lo, exec_lo, s76
	v_and_b32_e32 v84, 0x7f800000, v85
	s_delay_alu instid0(VALU_DEP_1) | instskip(SKIP_1) | instid1(SALU_CYCLE_1)
	v_cmp_ne_u32_e32 vcc_lo, 0x7f800000, v84
                                        ; implicit-def: $vgpr84
	s_and_saveexec_b32 s76, vcc_lo
	s_xor_b32 s76, exec_lo, s76
; %bb.182:                              ;   in Loop: Header=BB55_75 Depth=1
	v_bfe_u32 v84, v85, 16, 1
	s_delay_alu instid0(VALU_DEP_1)
	v_add3_u32 v84, v85, v84, 0x7fff
                                        ; implicit-def: $vgpr85
; %bb.183:                              ;   in Loop: Header=BB55_75 Depth=1
	s_and_not1_saveexec_b32 s76, s76
; %bb.184:                              ;   in Loop: Header=BB55_75 Depth=1
	v_and_b32_e32 v84, 0xffff, v85
	v_or_b32_e32 v101, 0x10000, v85
	s_delay_alu instid0(VALU_DEP_2) | instskip(NEXT) | instid1(VALU_DEP_2)
	v_cmp_eq_u32_e32 vcc_lo, 0, v84
	v_cndmask_b32_e32 v84, v101, v85, vcc_lo
; %bb.185:                              ;   in Loop: Header=BB55_75 Depth=1
	s_or_b32 exec_lo, exec_lo, s76
	s_delay_alu instid0(VALU_DEP_1)
	v_perm_b32 v100, v84, v100, 0x7060302
	v_dual_mov_b32 v85, 0 :: v_dual_mov_b32 v84, 0
	s_and_not1_b32 vcc_lo, exec_lo, s17
	ds_store_b32 v96, v100 offset:1360
	s_cbranch_vccnz .LBB55_188
; %bb.186:                              ;   in Loop: Header=BB55_75 Depth=1
	ds_load_b32 v100, v99 offset:40
	v_dual_mov_b32 v84, 0 :: v_dual_mov_b32 v85, 0
	s_waitcnt lgkmcnt(0)
	v_cmp_gt_i32_e32 vcc_lo, 0, v100
	s_cbranch_vccnz .LBB55_188
; %bb.187:                              ;   in Loop: Header=BB55_75 Depth=1
	v_mul_lo_u32 v84, v100, s25
	s_delay_alu instid0(VALU_DEP_1) | instskip(NEXT) | instid1(VALU_DEP_1)
	v_add3_u32 v84, v84, s8, v81
	v_ashrrev_i32_e32 v85, 31, v84
	s_delay_alu instid0(VALU_DEP_1) | instskip(NEXT) | instid1(VALU_DEP_1)
	v_lshlrev_b64 v[84:85], 2, v[84:85]
	v_add_co_u32 v84, vcc_lo, s10, v84
	s_delay_alu instid0(VALU_DEP_2)
	v_add_co_ci_u32_e32 v85, vcc_lo, s11, v85, vcc_lo
	global_load_b64 v[84:85], v[84:85], off
.LBB55_188:                             ;   in Loop: Header=BB55_75 Depth=1
	s_waitcnt vmcnt(0)
	v_and_b32_e32 v100, 0x7f800000, v84
	s_delay_alu instid0(VALU_DEP_1) | instskip(SKIP_1) | instid1(SALU_CYCLE_1)
	v_cmp_ne_u32_e32 vcc_lo, 0x7f800000, v100
                                        ; implicit-def: $vgpr100
	s_and_saveexec_b32 s76, vcc_lo
	s_xor_b32 s76, exec_lo, s76
; %bb.189:                              ;   in Loop: Header=BB55_75 Depth=1
	v_bfe_u32 v100, v84, 16, 1
	s_delay_alu instid0(VALU_DEP_1)
	v_add3_u32 v100, v84, v100, 0x7fff
; %bb.190:                              ;   in Loop: Header=BB55_75 Depth=1
	s_and_not1_saveexec_b32 s76, s76
; %bb.191:                              ;   in Loop: Header=BB55_75 Depth=1
	v_and_b32_e32 v100, 0xffff, v84
	v_or_b32_e32 v101, 0x10000, v84
	s_delay_alu instid0(VALU_DEP_2) | instskip(NEXT) | instid1(VALU_DEP_2)
	v_cmp_eq_u32_e32 vcc_lo, 0, v100
	v_cndmask_b32_e32 v100, v101, v84, vcc_lo
; %bb.192:                              ;   in Loop: Header=BB55_75 Depth=1
	s_or_b32 exec_lo, exec_lo, s76
	v_and_b32_e32 v84, 0x7f800000, v85
	s_delay_alu instid0(VALU_DEP_1) | instskip(SKIP_1) | instid1(SALU_CYCLE_1)
	v_cmp_ne_u32_e32 vcc_lo, 0x7f800000, v84
                                        ; implicit-def: $vgpr84
	s_and_saveexec_b32 s76, vcc_lo
	s_xor_b32 s76, exec_lo, s76
; %bb.193:                              ;   in Loop: Header=BB55_75 Depth=1
	v_bfe_u32 v84, v85, 16, 1
	s_delay_alu instid0(VALU_DEP_1)
	v_add3_u32 v84, v85, v84, 0x7fff
                                        ; implicit-def: $vgpr85
; %bb.194:                              ;   in Loop: Header=BB55_75 Depth=1
	s_and_not1_saveexec_b32 s76, s76
	s_cbranch_execz .LBB55_74
; %bb.195:                              ;   in Loop: Header=BB55_75 Depth=1
	v_and_b32_e32 v84, 0xffff, v85
	v_or_b32_e32 v101, 0x10000, v85
	s_delay_alu instid0(VALU_DEP_2) | instskip(NEXT) | instid1(VALU_DEP_2)
	v_cmp_eq_u32_e32 vcc_lo, 0, v84
	v_cndmask_b32_e32 v84, v101, v85, vcc_lo
	s_branch .LBB55_74
.LBB55_196:
	s_or_b32 exec_lo, exec_lo, s19
.LBB55_197:
	s_delay_alu instid0(SALU_CYCLE_1) | instskip(SKIP_4) | instid1(VALU_DEP_3)
	s_or_b32 exec_lo, exec_lo, s14
	v_lshrrev_b32_e32 v16, 2, v80
	s_movk_i32 s0, 0x110
	v_lshlrev_b32_e32 v17, 2, v93
	v_mad_u32_u24 v18, v94, s0, 0x100
	v_and_b32_e32 v16, 0xfc, v16
	s_barrier
	buffer_gl0_inv
	s_mov_b32 s0, exec_lo
	v_add3_u32 v17, v18, v16, v17
	v_lshl_add_u32 v16, v80, 2, 0x100
	ds_store_2addr_b32 v17, v8, v9 offset0:16 offset1:18
	ds_store_2addr_b32 v17, v10, v11 offset0:20 offset1:22
	;; [unrolled: 1-line block ×7, first 2 shown]
	v_mov_b32_e32 v4, -1
	v_mad_u32_u24 v0, 0x110, v86, v16
	ds_store_2addr_b32 v17, v6, v7 offset0:44 offset1:46
	s_waitcnt lgkmcnt(0)
	s_barrier
	buffer_gl0_inv
	ds_load_2addr_b32 v[0:1], v0 offset0:16 offset1:48
	v_cmpx_gt_u32_e32 11, v86
	s_cbranch_execz .LBB55_199
; %bb.198:
	ds_load_b32 v4, v87
.LBB55_199:
	s_or_b32 exec_lo, exec_lo, s0
	s_mul_hi_i32 s1, s30, s15
	s_mul_i32 s0, s30, s15
	s_mul_hi_i32 s9, s12, s21
	s_lshl_b64 s[0:1], s[0:1], 2
	s_mul_i32 s8, s12, s21
	s_waitcnt lgkmcnt(0)
	v_cmp_lt_i32_e32 vcc_lo, -1, v4
	s_add_u32 s10, s22, s0
	v_mul_u32_u24_e32 v3, 0x110, v86
	s_addc_u32 s11, s23, s1
	s_lshl_b64 s[0:1], s[8:9], 2
	v_add_nc_u32_e32 v2, s13, v80
	s_add_u32 s0, s10, s0
	s_addc_u32 s1, s11, s1
	s_and_b32 s8, vcc_lo, s2
	s_delay_alu instid0(SALU_CYCLE_1)
	s_and_saveexec_b32 s2, s8
	s_cbranch_execz .LBB55_201
; %bb.200:
	v_mul_lo_u32 v4, v4, s26
	v_mul_lo_u32 v6, v86, s21
	v_dual_mov_b32 v5, 0 :: v_dual_add_f32 v0, 0, v0
	s_delay_alu instid0(VALU_DEP_2) | instskip(NEXT) | instid1(VALU_DEP_2)
	v_add3_u32 v4, v2, v6, v4
	v_add_f32_e32 v6, v0, v1
	s_delay_alu instid0(VALU_DEP_2) | instskip(NEXT) | instid1(VALU_DEP_1)
	v_lshlrev_b64 v[4:5], 2, v[4:5]
	v_add_co_u32 v0, vcc_lo, s0, v4
	s_delay_alu instid0(VALU_DEP_2)
	v_add_co_ci_u32_e32 v1, vcc_lo, s1, v5, vcc_lo
	global_store_b32 v[0:1], v6, off
.LBB55_201:
	s_or_b32 exec_lo, exec_lo, s2
	v_dual_mov_b32 v4, -1 :: v_dual_add_nc_u32 v3, v3, v16
	s_mov_b32 s2, exec_lo
	ds_load_2addr_b32 v[0:1], v3 offset0:152 offset1:184
	v_cmpx_gt_u32_e32 9, v86
	s_cbranch_execz .LBB55_203
; %bb.202:
	ds_load_b32 v4, v87 offset:8
.LBB55_203:
	s_or_b32 exec_lo, exec_lo, s2
	s_waitcnt lgkmcnt(0)
	v_cmp_lt_i32_e32 vcc_lo, -1, v4
	s_and_b32 s3, vcc_lo, s3
	s_delay_alu instid0(SALU_CYCLE_1)
	s_and_saveexec_b32 s2, s3
	s_cbranch_execz .LBB55_205
; %bb.204:
	v_mul_lo_u32 v4, v4, s26
	v_mul_lo_u32 v6, v88, s21
	v_dual_mov_b32 v5, 0 :: v_dual_add_f32 v0, 0, v0
	s_delay_alu instid0(VALU_DEP_2) | instskip(NEXT) | instid1(VALU_DEP_2)
	v_add3_u32 v4, v2, v6, v4
	v_add_f32_e32 v6, v0, v1
	s_delay_alu instid0(VALU_DEP_2) | instskip(NEXT) | instid1(VALU_DEP_1)
	v_lshlrev_b64 v[4:5], 2, v[4:5]
	v_add_co_u32 v0, vcc_lo, s0, v4
	s_delay_alu instid0(VALU_DEP_2)
	v_add_co_ci_u32_e32 v1, vcc_lo, s1, v5, vcc_lo
	global_store_b32 v[0:1], v6, off
.LBB55_205:
	s_or_b32 exec_lo, exec_lo, s2
	v_add_nc_u32_e32 v0, 0x400, v3
	v_mov_b32_e32 v4, -1
	s_mov_b32 s2, exec_lo
	ds_load_2addr_b32 v[0:1], v0 offset0:32 offset1:64
	v_cmpx_gt_u32_e32 7, v86
	s_cbranch_execz .LBB55_207
; %bb.206:
	ds_load_b32 v4, v87 offset:16
.LBB55_207:
	s_or_b32 exec_lo, exec_lo, s2
	s_waitcnt lgkmcnt(0)
	v_cmp_lt_i32_e32 vcc_lo, -1, v4
	s_and_b32 s3, vcc_lo, s4
	s_delay_alu instid0(SALU_CYCLE_1)
	s_and_saveexec_b32 s2, s3
	s_cbranch_execz .LBB55_209
; %bb.208:
	v_mul_lo_u32 v4, v4, s26
	v_mul_lo_u32 v6, v89, s21
	v_dual_mov_b32 v5, 0 :: v_dual_add_f32 v0, 0, v0
	s_delay_alu instid0(VALU_DEP_2) | instskip(NEXT) | instid1(VALU_DEP_2)
	v_add3_u32 v4, v2, v6, v4
	v_add_f32_e32 v6, v0, v1
	s_delay_alu instid0(VALU_DEP_2) | instskip(NEXT) | instid1(VALU_DEP_1)
	v_lshlrev_b64 v[4:5], 2, v[4:5]
	v_add_co_u32 v0, vcc_lo, s0, v4
	s_delay_alu instid0(VALU_DEP_2)
	v_add_co_ci_u32_e32 v1, vcc_lo, s1, v5, vcc_lo
	global_store_b32 v[0:1], v6, off
.LBB55_209:
	s_or_b32 exec_lo, exec_lo, s2
	v_add_nc_u32_e32 v0, 0x400, v3
	v_mov_b32_e32 v4, -1
	;; [unrolled: 31-line block ×3, first 2 shown]
	s_mov_b32 s2, exec_lo
	ds_load_2addr_b32 v[0:1], v0 offset0:48 offset1:80
	v_cmpx_gt_u32_e32 3, v86
	s_cbranch_execz .LBB55_215
; %bb.214:
	ds_load_b32 v4, v87 offset:32
.LBB55_215:
	s_or_b32 exec_lo, exec_lo, s2
	s_waitcnt lgkmcnt(0)
	v_cmp_lt_i32_e32 vcc_lo, -1, v4
	s_and_b32 s3, vcc_lo, s6
	s_delay_alu instid0(SALU_CYCLE_1)
	s_and_saveexec_b32 s2, s3
	s_cbranch_execz .LBB55_217
; %bb.216:
	v_mul_lo_u32 v4, v4, s26
	v_mul_lo_u32 v6, v91, s21
	v_dual_mov_b32 v5, 0 :: v_dual_add_f32 v0, 0, v0
	s_delay_alu instid0(VALU_DEP_2) | instskip(NEXT) | instid1(VALU_DEP_2)
	v_add3_u32 v4, v2, v6, v4
	v_add_f32_e32 v6, v0, v1
	s_delay_alu instid0(VALU_DEP_2) | instskip(NEXT) | instid1(VALU_DEP_1)
	v_lshlrev_b64 v[4:5], 2, v[4:5]
	v_add_co_u32 v0, vcc_lo, s0, v4
	s_delay_alu instid0(VALU_DEP_2)
	v_add_co_ci_u32_e32 v1, vcc_lo, s1, v5, vcc_lo
	global_store_b32 v[0:1], v6, off
.LBB55_217:
	s_or_b32 exec_lo, exec_lo, s2
	v_cmp_eq_u32_e32 vcc_lo, 0, v86
	s_and_b32 exec_lo, exec_lo, vcc_lo
	s_cbranch_execz .LBB55_220
; %bb.218:
	v_mov_b32_e32 v0, 0x100
	ds_load_b32 v0, v0 offset:40
	s_waitcnt lgkmcnt(0)
	v_readfirstlane_b32 s2, v0
	s_delay_alu instid0(VALU_DEP_1) | instskip(SKIP_1) | instid1(SALU_CYCLE_1)
	s_cmp_gt_i32 s2, -1
	s_cselect_b32 s2, -1, 0
	s_and_b32 s2, s2, s7
	s_delay_alu instid0(SALU_CYCLE_1)
	s_and_b32 exec_lo, exec_lo, s2
	s_cbranch_execz .LBB55_220
; %bb.219:
	v_add_nc_u32_e32 v1, 0x800, v3
	v_mul_lo_u32 v0, v0, s26
	v_mul_lo_u32 v5, v92, s21
	ds_load_2addr_b32 v[3:4], v1 offset0:184 offset1:216
	v_mov_b32_e32 v1, 0
	v_add3_u32 v0, v2, v5, v0
	s_waitcnt lgkmcnt(0)
	v_add_f32_e32 v2, 0, v3
	s_delay_alu instid0(VALU_DEP_2) | instskip(NEXT) | instid1(VALU_DEP_2)
	v_lshlrev_b64 v[0:1], 2, v[0:1]
	v_add_f32_e32 v2, v2, v4
	s_delay_alu instid0(VALU_DEP_2) | instskip(NEXT) | instid1(VALU_DEP_3)
	v_add_co_u32 v0, vcc_lo, s0, v0
	v_add_co_ci_u32_e32 v1, vcc_lo, s1, v1, vcc_lo
	global_store_b32 v[0:1], v2, off
.LBB55_220:
	s_nop 0
	s_sendmsg sendmsg(MSG_DEALLOC_VGPRS)
	s_endpgm
	.section	.rodata,"a",@progbits
	.p2align	6, 0x0
	.amdhsa_kernel _ZL9mul_mat_fI15__hip_bfloat162Li32ELi11ELi2ELb1EEvPKT_PKfPKiPfiiiiiiiiiiiiiiii
		.amdhsa_group_segment_fixed_size 256
		.amdhsa_private_segment_fixed_size 0
		.amdhsa_kernarg_size 352
		.amdhsa_user_sgpr_count 13
		.amdhsa_user_sgpr_dispatch_ptr 0
		.amdhsa_user_sgpr_queue_ptr 0
		.amdhsa_user_sgpr_kernarg_segment_ptr 1
		.amdhsa_user_sgpr_dispatch_id 0
		.amdhsa_user_sgpr_private_segment_size 0
		.amdhsa_wavefront_size32 1
		.amdhsa_uses_dynamic_stack 0
		.amdhsa_enable_private_segment 0
		.amdhsa_system_sgpr_workgroup_id_x 1
		.amdhsa_system_sgpr_workgroup_id_y 1
		.amdhsa_system_sgpr_workgroup_id_z 1
		.amdhsa_system_sgpr_workgroup_info 0
		.amdhsa_system_vgpr_workitem_id 2
		.amdhsa_next_free_vgpr 116
		.amdhsa_next_free_sgpr 77
		.amdhsa_reserve_vcc 1
		.amdhsa_float_round_mode_32 0
		.amdhsa_float_round_mode_16_64 0
		.amdhsa_float_denorm_mode_32 3
		.amdhsa_float_denorm_mode_16_64 3
		.amdhsa_dx10_clamp 1
		.amdhsa_ieee_mode 1
		.amdhsa_fp16_overflow 0
		.amdhsa_workgroup_processor_mode 1
		.amdhsa_memory_ordered 1
		.amdhsa_forward_progress 0
		.amdhsa_shared_vgpr_count 0
		.amdhsa_exception_fp_ieee_invalid_op 0
		.amdhsa_exception_fp_denorm_src 0
		.amdhsa_exception_fp_ieee_div_zero 0
		.amdhsa_exception_fp_ieee_overflow 0
		.amdhsa_exception_fp_ieee_underflow 0
		.amdhsa_exception_fp_ieee_inexact 0
		.amdhsa_exception_int_div_zero 0
	.end_amdhsa_kernel
	.section	.text._ZL9mul_mat_fI15__hip_bfloat162Li32ELi11ELi2ELb1EEvPKT_PKfPKiPfiiiiiiiiiiiiiiii,"axG",@progbits,_ZL9mul_mat_fI15__hip_bfloat162Li32ELi11ELi2ELb1EEvPKT_PKfPKiPfiiiiiiiiiiiiiiii,comdat
.Lfunc_end55:
	.size	_ZL9mul_mat_fI15__hip_bfloat162Li32ELi11ELi2ELb1EEvPKT_PKfPKiPfiiiiiiiiiiiiiiii, .Lfunc_end55-_ZL9mul_mat_fI15__hip_bfloat162Li32ELi11ELi2ELb1EEvPKT_PKfPKiPfiiiiiiiiiiiiiiii
                                        ; -- End function
	.section	.AMDGPU.csdata,"",@progbits
; Kernel info:
; codeLenInByte = 9840
; NumSgprs: 79
; NumVgprs: 116
; ScratchSize: 0
; MemoryBound: 0
; FloatMode: 240
; IeeeMode: 1
; LDSByteSize: 256 bytes/workgroup (compile time only)
; SGPRBlocks: 9
; VGPRBlocks: 14
; NumSGPRsForWavesPerEU: 79
; NumVGPRsForWavesPerEU: 116
; Occupancy: 12
; WaveLimiterHint : 0
; COMPUTE_PGM_RSRC2:SCRATCH_EN: 0
; COMPUTE_PGM_RSRC2:USER_SGPR: 13
; COMPUTE_PGM_RSRC2:TRAP_HANDLER: 0
; COMPUTE_PGM_RSRC2:TGID_X_EN: 1
; COMPUTE_PGM_RSRC2:TGID_Y_EN: 1
; COMPUTE_PGM_RSRC2:TGID_Z_EN: 1
; COMPUTE_PGM_RSRC2:TIDIG_COMP_CNT: 2
	.section	.text._ZL9mul_mat_fI15__hip_bfloat162Li32ELi11ELi2ELb0EEvPKT_PKfPKiPfiiiiiiiiiiiiiiii,"axG",@progbits,_ZL9mul_mat_fI15__hip_bfloat162Li32ELi11ELi2ELb0EEvPKT_PKfPKiPfiiiiiiiiiiiiiiii,comdat
	.globl	_ZL9mul_mat_fI15__hip_bfloat162Li32ELi11ELi2ELb0EEvPKT_PKfPKiPfiiiiiiiiiiiiiiii ; -- Begin function _ZL9mul_mat_fI15__hip_bfloat162Li32ELi11ELi2ELb0EEvPKT_PKfPKiPfiiiiiiiiiiiiiiii
	.p2align	8
	.type	_ZL9mul_mat_fI15__hip_bfloat162Li32ELi11ELi2ELb0EEvPKT_PKfPKiPfiiiiiiiiiiiiiiii,@function
_ZL9mul_mat_fI15__hip_bfloat162Li32ELi11ELi2ELb0EEvPKT_PKfPKiPfiiiiiiiiiiiiiiii: ; @_ZL9mul_mat_fI15__hip_bfloat162Li32ELi11ELi2ELb0EEvPKT_PKfPKiPfiiiiiiiiiiiiiiii
; %bb.0:
	s_clause 0x2
	s_load_b256 s[4:11], s[0:1], 0x40
	s_load_b32 s22, s[0:1], 0x20
	s_load_b128 s[16:19], s[0:1], 0x2c
	v_bfe_u32 v86, v0, 10, 10
	v_and_b32_e32 v87, 0x3ff, v0
	s_mov_b32 s12, 0
	s_ashr_i32 s24, s15, 31
	s_waitcnt lgkmcnt(0)
	s_mov_b32 s19, exec_lo
	v_lshlrev_b32_e32 v88, 5, v86
	v_and_b32_e32 v89, 15, v87
	s_delay_alu instid0(VALU_DEP_2) | instskip(SKIP_4) | instid1(VALU_DEP_2)
	v_add_nc_u32_e32 v90, v88, v87
	s_abs_i32 s2, s4
	s_abs_i32 s23, s8
	v_cvt_f32_u32_e32 v1, s2
	v_cvt_f32_u32_e32 v2, s23
	v_rcp_iflag_f32_e32 v1, v1
	s_delay_alu instid0(VALU_DEP_1) | instskip(SKIP_2) | instid1(VALU_DEP_1)
	v_rcp_iflag_f32_e32 v2, v2
	s_waitcnt_depctr 0xfff
	v_dual_mul_f32 v0, 0x4f7ffffe, v1 :: v_dual_mul_f32 v1, 0x4f7ffffe, v2
	v_cvt_u32_f32_e32 v0, v0
	s_delay_alu instid0(VALU_DEP_2) | instskip(NEXT) | instid1(VALU_DEP_2)
	v_cvt_u32_f32_e32 v1, v1
	v_readfirstlane_b32 s25, v0
	s_delay_alu instid0(VALU_DEP_2)
	v_readfirstlane_b32 s3, v1
	v_cmpx_le_i32_e64 s22, v90
	s_xor_b32 s19, exec_lo, s19
; %bb.1:
	v_and_b32_e32 v89, 15, v87
                                        ; implicit-def: $vgpr90
; %bb.2:
	s_or_saveexec_b32 s19, s19
	s_load_b64 s[20:21], s[0:1], 0x18
	v_dual_mov_b32 v15, s12 :: v_dual_mov_b32 v14, s12
	v_dual_mov_b32 v13, s12 :: v_dual_mov_b32 v12, s12
	;; [unrolled: 1-line block ×8, first 2 shown]
	s_lshl_b32 s12, s13, 5
	s_xor_b32 exec_lo, exec_lo, s19
	s_cbranch_execz .LBB56_94
; %bb.3:
	s_sub_i32 s13, 0, s2
	s_sub_i32 s26, 0, s23
	s_mul_i32 s13, s13, s25
	s_mul_i32 s26, s26, s3
	s_mul_hi_u32 s13, s25, s13
	s_mul_hi_u32 s26, s3, s26
	s_abs_i32 s27, s14
	s_add_i32 s25, s25, s13
	s_add_i32 s26, s3, s26
	s_mul_hi_u32 s3, s27, s25
	s_ashr_i32 s25, s14, 31
	s_ashr_i32 s4, s4, 31
	s_mul_i32 s28, s3, s2
	s_xor_b32 s4, s25, s4
	s_sub_i32 s25, s27, s28
	s_abs_i32 s13, s15
	s_ashr_i32 s8, s8, 31
	s_add_i32 s27, s3, 1
	s_sub_i32 s28, s25, s2
	s_cmp_ge_u32 s25, s2
	s_mul_hi_u32 s26, s13, s26
	s_cselect_b32 s3, s27, s3
	s_cselect_b32 s25, s28, s25
	s_add_i32 s27, s3, 1
	s_cmp_ge_u32 s25, s2
	s_mul_i32 s28, s14, s6
	s_cselect_b32 s25, s27, s3
	s_load_b128 s[0:3], s[0:1], 0x0
	s_xor_b32 s25, s25, s4
	s_xor_b32 s8, s24, s8
	s_sub_i32 s4, s25, s4
	s_mul_i32 s25, s26, s23
	s_add_i32 s24, s26, 1
	s_sub_i32 s13, s13, s25
	s_mul_i32 s4, s4, s5
	s_sub_i32 s25, s13, s23
	s_cmp_ge_u32 s13, s23
	s_mul_hi_i32 s27, s10, s15
	s_cselect_b32 s24, s24, s26
	s_cselect_b32 s13, s25, s13
	s_add_i32 s25, s24, 1
	s_cmp_ge_u32 s13, s23
	s_mul_i32 s26, s10, s15
	s_cselect_b32 s13, s25, s24
	s_ashr_i32 s5, s4, 31
	s_xor_b32 s13, s13, s8
	v_mad_u32_u24 v0, 0x900, v86, 0
	s_sub_i32 s8, s13, s8
	v_dual_mov_b32 v92, 0 :: v_dual_lshlrev_b32 v1, 2, v87
	s_mul_hi_i32 s25, s8, s9
	s_mul_i32 s24, s8, s9
	s_mul_i32 s8, s12, s16
	s_lshl_b64 s[24:25], s[24:25], 2
	v_mul_u32_u24_e32 v2, 0x90, v89
	s_waitcnt lgkmcnt(0)
	s_add_u32 s13, s0, s24
	s_addc_u32 s23, s1, s25
	s_ashr_i32 s9, s8, 31
	s_lshl_b64 s[4:5], s[4:5], 2
	s_lshl_b64 s[8:9], s[8:9], 2
	v_lshlrev_b32_e32 v3, 7, v86
	s_add_u32 s30, s4, s8
	s_addc_u32 s31, s5, s9
	s_add_u32 s6, s30, s13
	s_addc_u32 s8, s31, s23
	s_ashr_i32 s29, s28, 31
	s_lshl_b64 s[4:5], s[26:27], 2
	s_lshl_b64 s[26:27], s[28:29], 2
	v_dual_mov_b32 v8, 0 :: v_dual_add_nc_u32 v93, v0, v2
	s_add_u32 s13, s2, s26
	s_addc_u32 s23, s3, s27
	s_add_u32 s9, s13, s4
	s_addc_u32 s10, s23, s5
	s_ashr_i32 s3, s16, 31
	s_mov_b32 s2, s16
	s_ashr_i32 s27, s17, 31
	s_lshl_b64 s[2:3], s[2:3], 2
	s_add_u32 s24, s30, s24
	s_addc_u32 s25, s31, s25
	v_mov_b32_e32 v2, v92
	v_add_co_u32 v3, s24, s24, v3
	s_delay_alu instid0(VALU_DEP_1) | instskip(SKIP_2) | instid1(VALU_DEP_4)
	v_add_co_ci_u32_e64 v4, null, s25, 0, s24
	v_lshlrev_b32_e32 v5, 8, v86
	v_dual_mov_b32 v0, 0 :: v_dual_add_nc_u32 v91, v0, v1
	v_add_co_u32 v1, vcc_lo, v3, v1
	s_delay_alu instid0(VALU_DEP_4) | instskip(NEXT) | instid1(VALU_DEP_4)
	v_add_co_ci_u32_e32 v3, vcc_lo, 0, v4, vcc_lo
	v_add_co_u32 v4, s4, s4, v5
	v_lshlrev_b32_e32 v6, 3, v87
	v_add_co_ci_u32_e64 v5, null, s5, 0, s4
	v_add_co_u32 v80, vcc_lo, s0, v1
	v_add_co_ci_u32_e32 v81, vcc_lo, s1, v3, vcc_lo
	s_delay_alu instid0(VALU_DEP_4) | instskip(NEXT) | instid1(VALU_DEP_4)
	v_add_co_u32 v1, vcc_lo, v4, v6
	v_add_co_ci_u32_e32 v3, vcc_lo, 0, v5, vcc_lo
	v_mov_b32_e32 v4, v92
	s_delay_alu instid0(VALU_DEP_3) | instskip(SKIP_1) | instid1(VALU_DEP_4)
	v_add_co_u32 v82, vcc_lo, s13, v1
	v_mov_b32_e32 v1, v92
	v_add_co_ci_u32_e32 v83, vcc_lo, s23, v3, vcc_lo
	v_mov_b32_e32 v3, v92
	v_mov_b32_e32 v5, v92
	;; [unrolled: 1-line block ×11, first 2 shown]
	s_mov_b32 s26, s17
	s_mul_i32 s1, s16, 31
	s_lshl_b64 s[4:5], s[26:27], 3
	s_lshl_b32 s13, s17, 1
	s_mul_i32 s23, s17, 3
	s_lshl_b32 s24, s17, 2
	s_mul_i32 s25, s17, 5
	s_mul_i32 s26, s17, 6
	;; [unrolled: 1-line block ×3, first 2 shown]
	s_lshl_b32 s28, s17, 3
	s_mul_i32 s29, s17, 9
	s_mul_i32 s17, s17, 10
	s_lshl_b32 s30, s16, 1
	s_mul_i32 s31, s16, 3
	s_lshl_b32 s33, s16, 2
	s_mul_i32 s34, s16, 5
	s_mul_i32 s35, s16, 6
	;; [unrolled: 1-line block ×3, first 2 shown]
	s_lshl_b32 s37, s16, 3
	s_mul_i32 s38, s16, 9
	s_mul_i32 s39, s16, 10
	s_mul_i32 s40, s16, 11
	s_mul_i32 s41, s16, 12
	s_mul_i32 s42, s16, 13
	s_mul_i32 s43, s16, 14
	s_mul_i32 s44, s16, 15
	s_lshl_b32 s45, s16, 4
	s_mul_i32 s46, s16, 17
	s_mul_i32 s47, s16, 18
	;; [unrolled: 1-line block ×14, first 2 shown]
	s_mov_b32 s16, 0
	s_branch .LBB56_5
.LBB56_4:                               ;   in Loop: Header=BB56_5 Depth=1
	s_or_b32 exec_lo, exec_lo, s0
	s_delay_alu instid0(VALU_DEP_1)
	v_perm_b32 v84, v95, v94, 0x7060302
	v_add_nc_u32_e32 v85, 0x400, v91
	v_add_nc_u32_e32 v94, 0x600, v91
	;; [unrolled: 1-line block ×3, first 2 shown]
	v_add_co_u32 v80, vcc_lo, 0x100, v80
	ds_store_2addr_b32 v85, v84, v92 offset0:104 offset1:140
	ds_store_2addr_b32 v85, v92, v92 offset0:176 offset1:212
	;; [unrolled: 1-line block ×3, first 2 shown]
	ds_load_b128 v[94:97], v93
	ds_load_b128 v[98:101], v93 offset:16
	ds_load_b128 v[102:105], v93 offset:32
	;; [unrolled: 1-line block ×5, first 2 shown]
	v_add_co_ci_u32_e32 v81, vcc_lo, 0, v81, vcc_lo
	v_cmp_le_i32_e32 vcc_lo, s22, v90
	v_add_co_u32 v82, s0, 0x200, v82
	s_delay_alu instid0(VALU_DEP_1)
	v_add_co_ci_u32_e64 v83, s0, 0, v83, s0
	s_or_b32 s16, vcc_lo, s16
	s_waitcnt lgkmcnt(4)
	v_wmma_f32_16x16x16_bf16 v[8:15], v[72:79], v[94:101], v[8:15]
	ds_load_b128 v[72:75], v93 offset:96
	ds_load_b128 v[76:79], v93 offset:112
	v_wmma_f32_16x16x16_bf16 v[0:7], v[64:71], v[94:101], v[0:7]
	s_waitcnt lgkmcnt(4)
	v_wmma_f32_16x16x16_bf16 v[8:15], v[48:55], v[102:109], v[8:15]
	s_delay_alu instid0(VALU_DEP_2) | instskip(SKIP_1) | instid1(VALU_DEP_2)
	v_wmma_f32_16x16x16_bf16 v[0:7], v[56:63], v[102:109], v[0:7]
	s_waitcnt lgkmcnt(2)
	v_wmma_f32_16x16x16_bf16 v[8:15], v[24:31], v[110:117], v[8:15]
	s_delay_alu instid0(VALU_DEP_2) | instskip(SKIP_1) | instid1(VALU_DEP_2)
	v_wmma_f32_16x16x16_bf16 v[0:7], v[40:47], v[110:117], v[0:7]
	s_waitcnt lgkmcnt(0)
	v_wmma_f32_16x16x16_bf16 v[8:15], v[16:23], v[72:79], v[8:15]
	s_delay_alu instid0(VALU_DEP_2)
	v_wmma_f32_16x16x16_bf16 v[0:7], v[32:39], v[72:79], v[0:7]
	s_and_not1_b32 exec_lo, exec_lo, s16
	s_cbranch_execz .LBB56_93
.LBB56_5:                               ; =>This Inner Loop Header: Depth=1
	v_add_nc_u32_e32 v16, s30, v90
	v_add_nc_u32_e32 v22, s33, v90
	;; [unrolled: 1-line block ×3, first 2 shown]
	v_add_co_u32 v20, vcc_lo, v80, s2
	s_delay_alu instid0(VALU_DEP_4)
	v_ashrrev_i32_e32 v17, 31, v16
	v_add_co_ci_u32_e32 v21, vcc_lo, s3, v81, vcc_lo
	v_ashrrev_i32_e32 v23, 31, v22
	v_ashrrev_i32_e32 v19, 31, v18
	v_add_nc_u32_e32 v24, s34, v90
	v_lshlrev_b64 v[16:17], 2, v[16:17]
	s_clause 0x1
	global_load_b32 v38, v[80:81], off
	global_load_b32 v39, v[20:21], off
	v_lshlrev_b64 v[20:21], 2, v[22:23]
	v_add_nc_u32_e32 v22, s35, v90
	v_lshlrev_b64 v[18:19], 2, v[18:19]
	v_ashrrev_i32_e32 v25, 31, v24
	v_add_nc_u32_e32 v26, s36, v90
	v_add_co_u32 v16, vcc_lo, s6, v16
	v_ashrrev_i32_e32 v23, 31, v22
	v_add_co_ci_u32_e32 v17, vcc_lo, s8, v17, vcc_lo
	v_add_nc_u32_e32 v28, s37, v90
	v_add_co_u32 v18, vcc_lo, s6, v18
	v_lshlrev_b64 v[24:25], 2, v[24:25]
	v_ashrrev_i32_e32 v27, 31, v26
	v_add_co_ci_u32_e32 v19, vcc_lo, s8, v19, vcc_lo
	v_add_nc_u32_e32 v30, s38, v90
	v_add_co_u32 v20, vcc_lo, s6, v20
	v_lshlrev_b64 v[22:23], 2, v[22:23]
	v_ashrrev_i32_e32 v29, 31, v28
	v_add_co_ci_u32_e32 v21, vcc_lo, s8, v21, vcc_lo
	v_add_co_u32 v24, vcc_lo, s6, v24
	v_lshlrev_b64 v[26:27], 2, v[26:27]
	v_ashrrev_i32_e32 v31, 31, v30
	v_add_co_ci_u32_e32 v25, vcc_lo, s8, v25, vcc_lo
	v_add_co_u32 v22, vcc_lo, s6, v22
	v_lshlrev_b64 v[28:29], 2, v[28:29]
	v_add_co_ci_u32_e32 v23, vcc_lo, s8, v23, vcc_lo
	v_add_nc_u32_e32 v32, s39, v90
	v_add_co_u32 v26, vcc_lo, s6, v26
	v_lshlrev_b64 v[30:31], 2, v[30:31]
	v_add_co_ci_u32_e32 v27, vcc_lo, s8, v27, vcc_lo
	v_add_nc_u32_e32 v34, s40, v90
	v_add_co_u32 v28, vcc_lo, s6, v28
	v_ashrrev_i32_e32 v33, 31, v32
	v_add_co_ci_u32_e32 v29, vcc_lo, s8, v29, vcc_lo
	v_add_nc_u32_e32 v36, s41, v90
	v_add_co_u32 v30, vcc_lo, s6, v30
	v_ashrrev_i32_e32 v35, 31, v34
	v_add_co_ci_u32_e32 v31, vcc_lo, s8, v31, vcc_lo
	s_clause 0x7
	global_load_b32 v40, v[16:17], off
	global_load_b32 v41, v[18:19], off
	global_load_b32 v42, v[20:21], off
	global_load_b32 v43, v[24:25], off
	global_load_b32 v44, v[22:23], off
	global_load_b32 v45, v[26:27], off
	global_load_b32 v46, v[28:29], off
	global_load_b32 v47, v[30:31], off
	v_add_nc_u32_e32 v18, s42, v90
	v_lshlrev_b64 v[32:33], 2, v[32:33]
	v_ashrrev_i32_e32 v37, 31, v36
	v_add_nc_u32_e32 v24, s43, v90
	v_lshlrev_b64 v[16:17], 2, v[34:35]
	v_ashrrev_i32_e32 v19, 31, v18
	v_add_nc_u32_e32 v26, s44, v90
	v_add_co_u32 v20, vcc_lo, s6, v32
	v_lshlrev_b64 v[22:23], 2, v[36:37]
	v_ashrrev_i32_e32 v25, 31, v24
	v_add_co_ci_u32_e32 v21, vcc_lo, s8, v33, vcc_lo
	v_add_nc_u32_e32 v28, s45, v90
	v_add_co_u32 v16, vcc_lo, s6, v16
	v_lshlrev_b64 v[18:19], 2, v[18:19]
	v_ashrrev_i32_e32 v27, 31, v26
	v_add_co_ci_u32_e32 v17, vcc_lo, s8, v17, vcc_lo
	v_add_nc_u32_e32 v30, s46, v90
	v_add_co_u32 v22, vcc_lo, s6, v22
	v_lshlrev_b64 v[24:25], 2, v[24:25]
	v_ashrrev_i32_e32 v29, 31, v28
	v_add_co_ci_u32_e32 v23, vcc_lo, s8, v23, vcc_lo
	v_add_co_u32 v18, vcc_lo, s6, v18
	v_lshlrev_b64 v[26:27], 2, v[26:27]
	v_ashrrev_i32_e32 v31, 31, v30
	v_add_co_ci_u32_e32 v19, vcc_lo, s8, v19, vcc_lo
	v_add_co_u32 v24, vcc_lo, s6, v24
	v_lshlrev_b64 v[28:29], 2, v[28:29]
	v_add_co_ci_u32_e32 v25, vcc_lo, s8, v25, vcc_lo
	v_add_nc_u32_e32 v32, s47, v90
	v_add_co_u32 v26, vcc_lo, s6, v26
	v_lshlrev_b64 v[30:31], 2, v[30:31]
	v_add_co_ci_u32_e32 v27, vcc_lo, s8, v27, vcc_lo
	v_add_nc_u32_e32 v34, s48, v90
	v_add_co_u32 v28, vcc_lo, s6, v28
	v_ashrrev_i32_e32 v33, 31, v32
	v_add_co_ci_u32_e32 v29, vcc_lo, s8, v29, vcc_lo
	v_add_nc_u32_e32 v36, s49, v90
	v_add_co_u32 v30, vcc_lo, s6, v30
	v_ashrrev_i32_e32 v35, 31, v34
	v_add_co_ci_u32_e32 v31, vcc_lo, s8, v31, vcc_lo
	s_clause 0x7
	global_load_b32 v48, v[20:21], off
	global_load_b32 v49, v[16:17], off
	global_load_b32 v50, v[22:23], off
	global_load_b32 v51, v[18:19], off
	global_load_b32 v52, v[24:25], off
	global_load_b32 v53, v[26:27], off
	global_load_b32 v56, v[28:29], off
	global_load_b32 v57, v[30:31], off
	v_add_nc_u32_e32 v18, s50, v90
	v_lshlrev_b64 v[32:33], 2, v[32:33]
	v_ashrrev_i32_e32 v37, 31, v36
	v_add_nc_u32_e32 v24, s51, v90
	v_lshlrev_b64 v[16:17], 2, v[34:35]
	v_ashrrev_i32_e32 v19, 31, v18
	v_add_nc_u32_e32 v26, s52, v90
	v_add_co_u32 v20, vcc_lo, s6, v32
	v_lshlrev_b64 v[22:23], 2, v[36:37]
	;; [unrolled: 49-line block ×3, first 2 shown]
	v_ashrrev_i32_e32 v25, 31, v24
	v_add_co_ci_u32_e32 v21, vcc_lo, s8, v33, vcc_lo
	v_add_co_u32 v16, vcc_lo, s6, v16
	v_lshlrev_b64 v[18:19], 2, v[18:19]
	v_ashrrev_i32_e32 v27, 31, v26
	v_add_co_ci_u32_e32 v17, vcc_lo, s8, v17, vcc_lo
	v_add_co_u32 v22, vcc_lo, s6, v22
	v_lshlrev_b64 v[24:25], 2, v[24:25]
	v_add_co_ci_u32_e32 v23, vcc_lo, s8, v23, vcc_lo
	v_add_co_u32 v18, vcc_lo, s6, v18
	v_lshlrev_b64 v[26:27], 2, v[26:27]
	v_add_co_ci_u32_e32 v19, vcc_lo, s8, v19, vcc_lo
	v_add_co_u32 v24, vcc_lo, s6, v24
	v_add_co_ci_u32_e32 v25, vcc_lo, s8, v25, vcc_lo
	s_delay_alu instid0(VALU_DEP_4)
	v_add_co_u32 v26, vcc_lo, s6, v26
	v_add_co_ci_u32_e32 v27, vcc_lo, s8, v27, vcc_lo
	s_clause 0x5
	global_load_b32 v32, v[20:21], off
	global_load_b32 v33, v[16:17], off
	global_load_b32 v34, v[22:23], off
	global_load_b32 v35, v[18:19], off
	global_load_b32 v36, v[24:25], off
	global_load_b32 v37, v[26:27], off
	global_load_b64 v[84:85], v[82:83], off
	s_waitcnt vmcnt(32)
	ds_store_b32 v91, v38
	s_waitcnt vmcnt(31)
	ds_store_b32 v91, v39 offset:144
	s_waitcnt vmcnt(30)
	ds_store_b32 v91, v40 offset:288
	;; [unrolled: 2-line block ×15, first 2 shown]
	ds_load_b128 v[72:75], v93
	ds_load_b128 v[76:79], v93 offset:16
	ds_load_b128 v[48:51], v93 offset:32
	;; [unrolled: 1-line block ×7, first 2 shown]
	s_waitcnt vmcnt(16)
	ds_store_b32 v91, v56
	s_waitcnt vmcnt(15)
	ds_store_b32 v91, v57 offset:144
	s_waitcnt vmcnt(14)
	ds_store_b32 v91, v58 offset:288
	;; [unrolled: 2-line block ×15, first 2 shown]
	ds_load_b128 v[64:67], v93
	ds_load_b128 v[68:71], v93 offset:16
	ds_load_b128 v[56:59], v93 offset:32
	;; [unrolled: 1-line block ×7, first 2 shown]
	s_waitcnt vmcnt(0)
	v_and_b32_e32 v94, 0x7f800000, v84
	s_delay_alu instid0(VALU_DEP_1) | instskip(SKIP_1) | instid1(SALU_CYCLE_1)
	v_cmp_ne_u32_e32 vcc_lo, 0x7f800000, v94
                                        ; implicit-def: $vgpr94
	s_and_saveexec_b32 s0, vcc_lo
	s_xor_b32 s0, exec_lo, s0
; %bb.6:                                ;   in Loop: Header=BB56_5 Depth=1
	v_bfe_u32 v94, v84, 16, 1
	s_delay_alu instid0(VALU_DEP_1)
	v_add3_u32 v94, v84, v94, 0x7fff
; %bb.7:                                ;   in Loop: Header=BB56_5 Depth=1
	s_and_not1_saveexec_b32 s0, s0
; %bb.8:                                ;   in Loop: Header=BB56_5 Depth=1
	v_and_b32_e32 v94, 0xffff, v84
	v_or_b32_e32 v95, 0x10000, v84
	s_delay_alu instid0(VALU_DEP_2) | instskip(NEXT) | instid1(VALU_DEP_2)
	v_cmp_eq_u32_e32 vcc_lo, 0, v94
	v_cndmask_b32_e32 v94, v95, v84, vcc_lo
; %bb.9:                                ;   in Loop: Header=BB56_5 Depth=1
	s_or_b32 exec_lo, exec_lo, s0
	v_and_b32_e32 v84, 0x7f800000, v85
	s_mov_b32 s0, exec_lo
                                        ; implicit-def: $vgpr95
	s_delay_alu instid0(VALU_DEP_1)
	v_cmpx_ne_u32_e32 0x7f800000, v84
	s_xor_b32 s0, exec_lo, s0
; %bb.10:                               ;   in Loop: Header=BB56_5 Depth=1
	v_bfe_u32 v84, v85, 16, 1
	s_delay_alu instid0(VALU_DEP_1)
	v_add3_u32 v95, v85, v84, 0x7fff
                                        ; implicit-def: $vgpr84_vgpr85
; %bb.11:                               ;   in Loop: Header=BB56_5 Depth=1
	s_and_not1_saveexec_b32 s0, s0
; %bb.12:                               ;   in Loop: Header=BB56_5 Depth=1
	v_and_b32_e32 v84, 0xffff, v85
	v_or_b32_e32 v95, 0x10000, v85
	s_delay_alu instid0(VALU_DEP_2) | instskip(NEXT) | instid1(VALU_DEP_2)
	v_cmp_eq_u32_e32 vcc_lo, 0, v84
	v_cndmask_b32_e32 v95, v95, v85, vcc_lo
; %bb.13:                               ;   in Loop: Header=BB56_5 Depth=1
	s_or_b32 exec_lo, exec_lo, s0
	s_delay_alu instid0(VALU_DEP_1)
	v_perm_b32 v84, v95, v94, 0x7060302
	ds_store_b32 v91, v84
	v_add_co_u32 v84, vcc_lo, v82, s4
	v_add_co_ci_u32_e32 v85, vcc_lo, s5, v83, vcc_lo
	global_load_b64 v[84:85], v[84:85], off
	s_waitcnt vmcnt(0)
	v_and_b32_e32 v94, 0x7f800000, v84
	s_delay_alu instid0(VALU_DEP_1) | instskip(SKIP_1) | instid1(SALU_CYCLE_1)
	v_cmp_ne_u32_e32 vcc_lo, 0x7f800000, v94
                                        ; implicit-def: $vgpr94
	s_and_saveexec_b32 s0, vcc_lo
	s_xor_b32 s0, exec_lo, s0
; %bb.14:                               ;   in Loop: Header=BB56_5 Depth=1
	v_bfe_u32 v94, v84, 16, 1
	s_delay_alu instid0(VALU_DEP_1)
	v_add3_u32 v94, v84, v94, 0x7fff
; %bb.15:                               ;   in Loop: Header=BB56_5 Depth=1
	s_and_not1_saveexec_b32 s0, s0
; %bb.16:                               ;   in Loop: Header=BB56_5 Depth=1
	v_and_b32_e32 v94, 0xffff, v84
	v_or_b32_e32 v95, 0x10000, v84
	s_delay_alu instid0(VALU_DEP_2) | instskip(NEXT) | instid1(VALU_DEP_2)
	v_cmp_eq_u32_e32 vcc_lo, 0, v94
	v_cndmask_b32_e32 v94, v95, v84, vcc_lo
; %bb.17:                               ;   in Loop: Header=BB56_5 Depth=1
	s_or_b32 exec_lo, exec_lo, s0
	v_and_b32_e32 v84, 0x7f800000, v85
	s_mov_b32 s0, exec_lo
                                        ; implicit-def: $vgpr95
	s_delay_alu instid0(VALU_DEP_1)
	v_cmpx_ne_u32_e32 0x7f800000, v84
	s_xor_b32 s0, exec_lo, s0
; %bb.18:                               ;   in Loop: Header=BB56_5 Depth=1
	v_bfe_u32 v84, v85, 16, 1
	s_delay_alu instid0(VALU_DEP_1)
	v_add3_u32 v95, v85, v84, 0x7fff
                                        ; implicit-def: $vgpr84_vgpr85
; %bb.19:                               ;   in Loop: Header=BB56_5 Depth=1
	s_and_not1_saveexec_b32 s0, s0
; %bb.20:                               ;   in Loop: Header=BB56_5 Depth=1
	v_and_b32_e32 v84, 0xffff, v85
	v_or_b32_e32 v95, 0x10000, v85
	s_delay_alu instid0(VALU_DEP_2) | instskip(NEXT) | instid1(VALU_DEP_2)
	v_cmp_eq_u32_e32 vcc_lo, 0, v84
	v_cndmask_b32_e32 v95, v95, v85, vcc_lo
; %bb.21:                               ;   in Loop: Header=BB56_5 Depth=1
	s_or_b32 exec_lo, exec_lo, s0
	s_delay_alu instid0(VALU_DEP_1) | instskip(SKIP_2) | instid1(VALU_DEP_1)
	v_perm_b32 v84, v95, v94, 0x7060302
	ds_store_b32 v91, v84 offset:144
	v_add_nc_u32_e32 v84, s13, v90
	v_ashrrev_i32_e32 v85, 31, v84
	s_delay_alu instid0(VALU_DEP_1) | instskip(NEXT) | instid1(VALU_DEP_1)
	v_lshlrev_b64 v[84:85], 3, v[84:85]
	v_add_co_u32 v84, vcc_lo, s9, v84
	s_delay_alu instid0(VALU_DEP_2) | instskip(SKIP_3) | instid1(VALU_DEP_1)
	v_add_co_ci_u32_e32 v85, vcc_lo, s10, v85, vcc_lo
	global_load_b64 v[84:85], v[84:85], off
	s_waitcnt vmcnt(0)
	v_and_b32_e32 v94, 0x7f800000, v84
	v_cmp_ne_u32_e32 vcc_lo, 0x7f800000, v94
                                        ; implicit-def: $vgpr94
	s_and_saveexec_b32 s0, vcc_lo
	s_delay_alu instid0(SALU_CYCLE_1)
	s_xor_b32 s0, exec_lo, s0
; %bb.22:                               ;   in Loop: Header=BB56_5 Depth=1
	v_bfe_u32 v94, v84, 16, 1
	s_delay_alu instid0(VALU_DEP_1)
	v_add3_u32 v94, v84, v94, 0x7fff
; %bb.23:                               ;   in Loop: Header=BB56_5 Depth=1
	s_and_not1_saveexec_b32 s0, s0
; %bb.24:                               ;   in Loop: Header=BB56_5 Depth=1
	v_and_b32_e32 v94, 0xffff, v84
	v_or_b32_e32 v95, 0x10000, v84
	s_delay_alu instid0(VALU_DEP_2) | instskip(NEXT) | instid1(VALU_DEP_2)
	v_cmp_eq_u32_e32 vcc_lo, 0, v94
	v_cndmask_b32_e32 v94, v95, v84, vcc_lo
; %bb.25:                               ;   in Loop: Header=BB56_5 Depth=1
	s_or_b32 exec_lo, exec_lo, s0
	v_and_b32_e32 v84, 0x7f800000, v85
	s_mov_b32 s0, exec_lo
                                        ; implicit-def: $vgpr95
	s_delay_alu instid0(VALU_DEP_1)
	v_cmpx_ne_u32_e32 0x7f800000, v84
	s_xor_b32 s0, exec_lo, s0
; %bb.26:                               ;   in Loop: Header=BB56_5 Depth=1
	v_bfe_u32 v84, v85, 16, 1
	s_delay_alu instid0(VALU_DEP_1)
	v_add3_u32 v95, v85, v84, 0x7fff
                                        ; implicit-def: $vgpr84_vgpr85
; %bb.27:                               ;   in Loop: Header=BB56_5 Depth=1
	s_and_not1_saveexec_b32 s0, s0
; %bb.28:                               ;   in Loop: Header=BB56_5 Depth=1
	v_and_b32_e32 v84, 0xffff, v85
	v_or_b32_e32 v95, 0x10000, v85
	s_delay_alu instid0(VALU_DEP_2) | instskip(NEXT) | instid1(VALU_DEP_2)
	v_cmp_eq_u32_e32 vcc_lo, 0, v84
	v_cndmask_b32_e32 v95, v95, v85, vcc_lo
; %bb.29:                               ;   in Loop: Header=BB56_5 Depth=1
	s_or_b32 exec_lo, exec_lo, s0
	s_delay_alu instid0(VALU_DEP_1) | instskip(SKIP_2) | instid1(VALU_DEP_1)
	v_perm_b32 v84, v95, v94, 0x7060302
	ds_store_b32 v91, v84 offset:288
	v_add_nc_u32_e32 v84, s23, v90
	v_ashrrev_i32_e32 v85, 31, v84
	s_delay_alu instid0(VALU_DEP_1) | instskip(NEXT) | instid1(VALU_DEP_1)
	v_lshlrev_b64 v[84:85], 3, v[84:85]
	v_add_co_u32 v84, vcc_lo, s9, v84
	s_delay_alu instid0(VALU_DEP_2) | instskip(SKIP_3) | instid1(VALU_DEP_1)
	v_add_co_ci_u32_e32 v85, vcc_lo, s10, v85, vcc_lo
	global_load_b64 v[84:85], v[84:85], off
	s_waitcnt vmcnt(0)
	v_and_b32_e32 v94, 0x7f800000, v84
	v_cmp_ne_u32_e32 vcc_lo, 0x7f800000, v94
                                        ; implicit-def: $vgpr94
	s_and_saveexec_b32 s0, vcc_lo
	s_delay_alu instid0(SALU_CYCLE_1)
	;; [unrolled: 53-line block ×9, first 2 shown]
	s_xor_b32 s0, exec_lo, s0
; %bb.86:                               ;   in Loop: Header=BB56_5 Depth=1
	v_bfe_u32 v94, v84, 16, 1
	s_delay_alu instid0(VALU_DEP_1)
	v_add3_u32 v94, v84, v94, 0x7fff
; %bb.87:                               ;   in Loop: Header=BB56_5 Depth=1
	s_and_not1_saveexec_b32 s0, s0
; %bb.88:                               ;   in Loop: Header=BB56_5 Depth=1
	v_and_b32_e32 v94, 0xffff, v84
	v_or_b32_e32 v95, 0x10000, v84
	s_delay_alu instid0(VALU_DEP_2) | instskip(NEXT) | instid1(VALU_DEP_2)
	v_cmp_eq_u32_e32 vcc_lo, 0, v94
	v_cndmask_b32_e32 v94, v95, v84, vcc_lo
; %bb.89:                               ;   in Loop: Header=BB56_5 Depth=1
	s_or_b32 exec_lo, exec_lo, s0
	v_and_b32_e32 v84, 0x7f800000, v85
	s_mov_b32 s0, exec_lo
                                        ; implicit-def: $vgpr95
	s_delay_alu instid0(VALU_DEP_1)
	v_cmpx_ne_u32_e32 0x7f800000, v84
	s_xor_b32 s0, exec_lo, s0
; %bb.90:                               ;   in Loop: Header=BB56_5 Depth=1
	v_bfe_u32 v84, v85, 16, 1
	s_delay_alu instid0(VALU_DEP_1)
	v_add3_u32 v95, v85, v84, 0x7fff
                                        ; implicit-def: $vgpr84_vgpr85
; %bb.91:                               ;   in Loop: Header=BB56_5 Depth=1
	s_and_not1_saveexec_b32 s0, s0
	s_cbranch_execz .LBB56_4
; %bb.92:                               ;   in Loop: Header=BB56_5 Depth=1
	v_and_b32_e32 v84, 0xffff, v85
	v_or_b32_e32 v95, 0x10000, v85
	s_delay_alu instid0(VALU_DEP_2) | instskip(NEXT) | instid1(VALU_DEP_2)
	v_cmp_eq_u32_e32 vcc_lo, 0, v84
	v_cndmask_b32_e32 v95, v95, v85, vcc_lo
	s_branch .LBB56_4
.LBB56_93:
	s_or_b32 exec_lo, exec_lo, s16
.LBB56_94:
	s_delay_alu instid0(SALU_CYCLE_1)
	s_or_b32 exec_lo, exec_lo, s19
	v_lshrrev_b32_e32 v16, 2, v87
	v_mad_u32_u24 v17, 0x110, v89, 0
	v_lshlrev_b32_e32 v18, 2, v88
	s_waitcnt lgkmcnt(0)
	s_barrier
	v_and_b32_e32 v16, 0xfc, v16
	buffer_gl0_inv
	s_mul_hi_i32 s1, s11, s15
	s_mul_i32 s0, s11, s15
	s_mul_i32 s2, s14, s7
	v_add3_u32 v17, v17, v16, v18
	v_lshl_add_u32 v16, v87, 2, 0
	s_lshl_b64 s[0:1], s[0:1], 2
	ds_store_2addr_b32 v17, v8, v9 offset1:2
	ds_store_2addr_b32 v17, v10, v11 offset0:4 offset1:6
	ds_store_2addr_b32 v17, v12, v13 offset0:8 offset1:10
	;; [unrolled: 1-line block ×6, first 2 shown]
	v_mad_u32_u24 v11, 0x110, v86, v16
	ds_store_2addr_b32 v17, v6, v7 offset0:28 offset1:30
	s_waitcnt lgkmcnt(0)
	s_barrier
	buffer_gl0_inv
	ds_load_2addr_b32 v[3:4], v11 offset1:32
	ds_load_2addr_b32 v[5:6], v11 offset0:136 offset1:168
	s_add_u32 s4, s20, s0
	s_addc_u32 s5, s21, s1
	s_ashr_i32 s3, s2, 31
	s_delay_alu instid0(SALU_CYCLE_1) | instskip(NEXT) | instid1(SALU_CYCLE_1)
	s_lshl_b64 s[0:1], s[2:3], 2
	s_add_u32 s0, s4, s0
	s_addc_u32 s1, s5, s1
	s_lshl_b32 s2, s18, 1
	s_waitcnt lgkmcnt(1)
	v_add_f32_e32 v3, 0, v3
	s_waitcnt lgkmcnt(0)
	v_dual_add_f32 v5, 0, v5 :: v_dual_add_nc_u32 v0, s12, v87
	s_delay_alu instid0(VALU_DEP_2) | instskip(NEXT) | instid1(VALU_DEP_2)
	v_dual_add_f32 v15, v3, v4 :: v_dual_add_nc_u32 v12, 0x400, v11
	v_mad_u64_u32 v[1:2], null, v86, s18, v[0:1]
	v_mov_b32_e32 v2, 0
	s_delay_alu instid0(VALU_DEP_1) | instskip(SKIP_1) | instid1(VALU_DEP_2)
	v_lshlrev_b64 v[9:10], 2, v[1:2]
	v_add_nc_u32_e32 v1, s2, v1
	v_add_co_u32 v9, vcc_lo, s0, v9
	s_delay_alu instid0(VALU_DEP_3)
	v_add_co_ci_u32_e32 v10, vcc_lo, s1, v10, vcc_lo
	global_store_b32 v[9:10], v15, off
	v_add_f32_e32 v15, v5, v6
	ds_load_2addr_b32 v[3:4], v12 offset0:152 offset1:184
	ds_load_2addr_b32 v[7:8], v12 offset0:16 offset1:48
	s_waitcnt lgkmcnt(1)
	v_add_f32_e32 v3, 0, v3
	v_add_nc_u32_e32 v13, 0x800, v11
	v_lshlrev_b64 v[11:12], 2, v[1:2]
	v_add_nc_u32_e32 v1, s2, v1
	s_waitcnt lgkmcnt(0)
	v_add_f32_e32 v7, 0, v7
	s_delay_alu instid0(VALU_DEP_3) | instskip(NEXT) | instid1(VALU_DEP_4)
	v_add_co_u32 v9, vcc_lo, s0, v11
	v_add_co_ci_u32_e32 v10, vcc_lo, s1, v12, vcc_lo
	v_add_f32_e32 v12, v3, v4
	ds_load_2addr_b32 v[13:14], v13 offset0:32 offset1:64
	v_lshlrev_b64 v[5:6], 2, v[1:2]
	v_add_nc_u32_e32 v1, s2, v1
	v_add_f32_e32 v11, v7, v8
	s_delay_alu instid0(VALU_DEP_2) | instskip(SKIP_3) | instid1(VALU_DEP_3)
	v_lshlrev_b64 v[7:8], 2, v[1:2]
	v_add_nc_u32_e32 v1, s2, v1
	v_add_co_u32 v5, vcc_lo, s0, v5
	v_add_co_ci_u32_e32 v6, vcc_lo, s1, v6, vcc_lo
	v_lshlrev_b64 v[3:4], 2, v[1:2]
	v_add_co_u32 v7, vcc_lo, s0, v7
	v_add_co_ci_u32_e32 v8, vcc_lo, s1, v8, vcc_lo
	s_mov_b32 s2, exec_lo
	s_delay_alu instid0(VALU_DEP_3) | instskip(SKIP_3) | instid1(VALU_DEP_2)
	v_add_co_u32 v3, vcc_lo, s0, v3
	s_waitcnt lgkmcnt(0)
	v_add_f32_e32 v13, 0, v13
	v_add_co_ci_u32_e32 v4, vcc_lo, s1, v4, vcc_lo
	v_add_f32_e32 v1, v13, v14
	s_clause 0x3
	global_store_b32 v[9:10], v15, off
	global_store_b32 v[5:6], v11, off
	;; [unrolled: 1-line block ×4, first 2 shown]
	v_cmpx_eq_u32_e32 0, v86
	s_cbranch_execz .LBB56_96
; %bb.95:
	v_add_nc_u32_e32 v1, 0x800, v16
	s_delay_alu instid0(VALU_DEP_1) | instskip(SKIP_3) | instid1(VALU_DEP_1)
	v_mad_u64_u32 v[5:6], null, s18, 10, v[0:1]
	v_mov_b32_e32 v6, v2
	ds_load_2addr_b32 v[3:4], v1 offset0:168 offset1:200
	v_lshlrev_b64 v[0:1], 2, v[5:6]
	v_add_co_u32 v0, vcc_lo, s0, v0
	s_delay_alu instid0(VALU_DEP_2) | instskip(SKIP_2) | instid1(VALU_DEP_1)
	v_add_co_ci_u32_e32 v1, vcc_lo, s1, v1, vcc_lo
	s_waitcnt lgkmcnt(0)
	v_add_f32_e32 v2, 0, v3
	v_add_f32_e32 v2, v2, v4
	global_store_b32 v[0:1], v2, off
.LBB56_96:
	s_nop 0
	s_sendmsg sendmsg(MSG_DEALLOC_VGPRS)
	s_endpgm
	.section	.rodata,"a",@progbits
	.p2align	6, 0x0
	.amdhsa_kernel _ZL9mul_mat_fI15__hip_bfloat162Li32ELi11ELi2ELb0EEvPKT_PKfPKiPfiiiiiiiiiiiiiiii
		.amdhsa_group_segment_fixed_size 0
		.amdhsa_private_segment_fixed_size 0
		.amdhsa_kernarg_size 96
		.amdhsa_user_sgpr_count 13
		.amdhsa_user_sgpr_dispatch_ptr 0
		.amdhsa_user_sgpr_queue_ptr 0
		.amdhsa_user_sgpr_kernarg_segment_ptr 1
		.amdhsa_user_sgpr_dispatch_id 0
		.amdhsa_user_sgpr_private_segment_size 0
		.amdhsa_wavefront_size32 1
		.amdhsa_uses_dynamic_stack 0
		.amdhsa_enable_private_segment 0
		.amdhsa_system_sgpr_workgroup_id_x 1
		.amdhsa_system_sgpr_workgroup_id_y 1
		.amdhsa_system_sgpr_workgroup_id_z 1
		.amdhsa_system_sgpr_workgroup_info 0
		.amdhsa_system_vgpr_workitem_id 1
		.amdhsa_next_free_vgpr 118
		.amdhsa_next_free_sgpr 60
		.amdhsa_reserve_vcc 1
		.amdhsa_float_round_mode_32 0
		.amdhsa_float_round_mode_16_64 0
		.amdhsa_float_denorm_mode_32 3
		.amdhsa_float_denorm_mode_16_64 3
		.amdhsa_dx10_clamp 1
		.amdhsa_ieee_mode 1
		.amdhsa_fp16_overflow 0
		.amdhsa_workgroup_processor_mode 1
		.amdhsa_memory_ordered 1
		.amdhsa_forward_progress 0
		.amdhsa_shared_vgpr_count 0
		.amdhsa_exception_fp_ieee_invalid_op 0
		.amdhsa_exception_fp_denorm_src 0
		.amdhsa_exception_fp_ieee_div_zero 0
		.amdhsa_exception_fp_ieee_overflow 0
		.amdhsa_exception_fp_ieee_underflow 0
		.amdhsa_exception_fp_ieee_inexact 0
		.amdhsa_exception_int_div_zero 0
	.end_amdhsa_kernel
	.section	.text._ZL9mul_mat_fI15__hip_bfloat162Li32ELi11ELi2ELb0EEvPKT_PKfPKiPfiiiiiiiiiiiiiiii,"axG",@progbits,_ZL9mul_mat_fI15__hip_bfloat162Li32ELi11ELi2ELb0EEvPKT_PKfPKiPfiiiiiiiiiiiiiiii,comdat
.Lfunc_end56:
	.size	_ZL9mul_mat_fI15__hip_bfloat162Li32ELi11ELi2ELb0EEvPKT_PKfPKiPfiiiiiiiiiiiiiiii, .Lfunc_end56-_ZL9mul_mat_fI15__hip_bfloat162Li32ELi11ELi2ELb0EEvPKT_PKfPKiPfiiiiiiiiiiiiiiii
                                        ; -- End function
	.section	.AMDGPU.csdata,"",@progbits
; Kernel info:
; codeLenInByte = 6128
; NumSgprs: 62
; NumVgprs: 118
; ScratchSize: 0
; MemoryBound: 0
; FloatMode: 240
; IeeeMode: 1
; LDSByteSize: 0 bytes/workgroup (compile time only)
; SGPRBlocks: 7
; VGPRBlocks: 14
; NumSGPRsForWavesPerEU: 62
; NumVGPRsForWavesPerEU: 118
; Occupancy: 12
; WaveLimiterHint : 0
; COMPUTE_PGM_RSRC2:SCRATCH_EN: 0
; COMPUTE_PGM_RSRC2:USER_SGPR: 13
; COMPUTE_PGM_RSRC2:TRAP_HANDLER: 0
; COMPUTE_PGM_RSRC2:TGID_X_EN: 1
; COMPUTE_PGM_RSRC2:TGID_Y_EN: 1
; COMPUTE_PGM_RSRC2:TGID_Z_EN: 1
; COMPUTE_PGM_RSRC2:TIDIG_COMP_CNT: 1
	.section	.text._ZL13mul_mat_f_idsI15__hip_bfloat162Li32ELi11ELi3EEvPKT_PKfPKiS7_S7_Pfiiiiiiiiiiiiii15HIP_vector_typeIjLj3EESA_,"axG",@progbits,_ZL13mul_mat_f_idsI15__hip_bfloat162Li32ELi11ELi3EEvPKT_PKfPKiS7_S7_Pfiiiiiiiiiiiiii15HIP_vector_typeIjLj3EESA_,comdat
	.globl	_ZL13mul_mat_f_idsI15__hip_bfloat162Li32ELi11ELi3EEvPKT_PKfPKiS7_S7_Pfiiiiiiiiiiiiii15HIP_vector_typeIjLj3EESA_ ; -- Begin function _ZL13mul_mat_f_idsI15__hip_bfloat162Li32ELi11ELi3EEvPKT_PKfPKiS7_S7_Pfiiiiiiiiiiiiii15HIP_vector_typeIjLj3EESA_
	.p2align	8
	.type	_ZL13mul_mat_f_idsI15__hip_bfloat162Li32ELi11ELi3EEvPKT_PKfPKiS7_S7_Pfiiiiiiiiiiiiii15HIP_vector_typeIjLj3EESA_,@function
_ZL13mul_mat_f_idsI15__hip_bfloat162Li32ELi11ELi3EEvPKT_PKfPKiS7_S7_Pfiiiiiiiiiiiiii15HIP_vector_typeIjLj3EESA_: ; @_ZL13mul_mat_f_idsI15__hip_bfloat162Li32ELi11ELi3EEvPKT_PKfPKiS7_S7_Pfiiiiiiiiiiiiii15HIP_vector_typeIjLj3EESA_
; %bb.0:
	s_load_b64 s[4:5], s[0:1], 0x20
	s_mov_b32 s2, s15
	s_ashr_i32 s15, s14, 31
	s_delay_alu instid0(SALU_CYCLE_1)
	s_lshl_b64 s[6:7], s[14:15], 2
	s_waitcnt lgkmcnt(0)
	s_add_u32 s4, s4, s6
	s_addc_u32 s5, s5, s7
	s_load_b64 s[30:31], s[4:5], 0x0
	s_waitcnt lgkmcnt(0)
	s_sub_i32 s33, s31, s30
	s_delay_alu instid0(SALU_CYCLE_1) | instskip(NEXT) | instid1(SALU_CYCLE_1)
	s_add_i32 s3, s33, 10
	s_mul_hi_i32 s3, s3, 0x2e8ba2e9
	s_delay_alu instid0(SALU_CYCLE_1) | instskip(SKIP_1) | instid1(SALU_CYCLE_1)
	s_lshr_b32 s4, s3, 31
	s_ashr_i32 s3, s3, 1
	s_add_i32 s3, s3, s4
	s_delay_alu instid0(SALU_CYCLE_1)
	s_cmp_ge_i32 s2, s3
	s_cbranch_scc1 .LBB57_141
; %bb.1:
	s_clause 0x4
	s_load_b128 s[8:11], s[0:1], 0x30
	s_load_b64 s[24:25], s[0:1], 0x40
	s_load_b128 s[4:7], s[0:1], 0x4c
	s_load_b128 s[16:19], s[0:1], 0x68
	s_load_b64 s[26:27], s[0:1], 0x78
	v_bfe_u32 v105, v0, 10, 10
	v_and_b32_e32 v106, 0x3ff, v0
	s_ashr_i32 s31, s30, 31
	s_waitcnt lgkmcnt(0)
	s_mov_b32 s7, exec_lo
                                        ; implicit-def: $sgpr3
	v_lshlrev_b32_e32 v107, 5, v105
	v_and_b32_e32 v108, 15, v106
	s_delay_alu instid0(VALU_DEP_2) | instskip(NEXT) | instid1(VALU_DEP_1)
	v_add_nc_u32_e32 v80, v107, v106
	v_cmpx_le_i32_e64 s8, v80
	s_xor_b32 s7, exec_lo, s7
; %bb.2:
	v_and_b32_e32 v108, 15, v106
	s_mov_b32 s3, 0
                                        ; implicit-def: $vgpr80
; %bb.3:
	s_or_saveexec_b32 s36, s7
	s_clause 0x1
	s_load_b64 s[34:35], s[0:1], 0x18
	s_load_b64 s[28:29], s[0:1], 0x28
	v_dual_mov_b32 v7, s3 :: v_dual_mov_b32 v6, s3
	v_dual_mov_b32 v5, s3 :: v_dual_mov_b32 v4, s3
	;; [unrolled: 1-line block ×8, first 2 shown]
	s_lshl_b32 s7, s13, 5
	s_mul_i32 s2, s2, 11
	s_xor_b32 exec_lo, exec_lo, s36
	s_cbranch_execz .LBB57_128
; %bb.4:
	s_clause 0x1
	s_load_b128 s[20:23], s[0:1], 0x0
	s_load_b64 s[12:13], s[0:1], 0x10
	s_mul_i32 s0, s7, s11
	s_mul_i32 s14, s14, s4
	s_ashr_i32 s1, s0, 31
	s_ashr_i32 s15, s14, 31
	s_lshl_b64 s[0:1], s[0:1], 2
	s_lshl_b64 s[14:15], s[14:15], 2
	v_dual_mov_b32 v8, 0 :: v_dual_lshlrev_b32 v3, 7, v105
	s_add_u32 s0, s14, s0
	s_addc_u32 s47, s15, s1
	v_mad_u32_u24 v0, 0x900, v105, 0
	v_dual_mov_b32 v110, 0 :: v_dual_lshlrev_b32 v1, 2, v106
	v_mul_u32_u24_e32 v2, 0x90, v108
	s_mov_b32 s41, 0
	s_mul_i32 s45, s11, 3
	s_delay_alu instid0(VALU_DEP_2)
	v_dual_mov_b32 v10, v110 :: v_dual_add_nc_u32 v109, v0, v1
	s_waitcnt lgkmcnt(0)
	s_add_u32 s1, s0, s20
	s_addc_u32 s4, s47, s21
	s_lshl_b64 s[14:15], s[30:31], 2
	v_add_co_u32 v3, s0, s0, v3
	s_add_u32 s14, s12, s14
	s_addc_u32 s15, s13, s15
	s_cmp_lt_i32 s2, s33
	v_add_co_ci_u32_e64 v4, null, s47, 0, s0
	s_cselect_b32 s37, -1, 0
	s_ashr_i32 s3, s2, 31
	v_add_co_u32 v1, vcc_lo, v3, v1
	s_lshl_b64 s[12:13], s[2:3], 2
	v_add_co_ci_u32_e32 v3, vcc_lo, 0, v4, vcc_lo
	s_add_u32 s12, s14, s12
	s_addc_u32 s13, s15, s13
	s_add_i32 s3, s2, 1
	v_add_co_u32 v81, vcc_lo, s20, v1
	s_cmp_lt_i32 s3, s33
	v_add_co_ci_u32_e32 v82, vcc_lo, s21, v3, vcc_lo
	s_cselect_b32 s3, -1, 0
	s_add_i32 s14, s2, 2
	v_dual_mov_b32 v12, v110 :: v_dual_add_nc_u32 v111, v0, v2
	s_cmp_lt_i32 s14, s33
	v_dual_mov_b32 v9, v110 :: v_dual_mov_b32 v0, 0
	s_cselect_b32 s38, -1, 0
	s_add_i32 s14, s2, 3
	v_mov_b32_e32 v11, v110
	s_cmp_lt_i32 s14, s33
	v_mov_b32_e32 v13, v110
	s_cselect_b32 s39, -1, 0
	s_add_i32 s14, s2, 4
	v_mov_b32_e32 v14, v110
	s_cmp_lt_i32 s14, s33
	v_mov_b32_e32 v15, v110
	;; [unrolled: 5-line block ×5, first 2 shown]
	s_cselect_b32 s44, -1, 0
	s_add_i32 s15, s2, 8
	v_mov_b32_e32 v7, v110
	s_cmp_lt_i32 s15, s33
	s_mov_b32 s14, s11
	s_cselect_b32 s46, -1, 0
	s_add_i32 s15, s2, 9
	s_mul_i32 s49, s11, 5
	s_cmp_lt_i32 s15, s33
	s_mul_i32 s50, s11, 6
	s_cselect_b32 s47, -1, 0
	s_add_i32 s0, s2, 10
	s_mul_i32 s51, s11, 7
	s_cmp_lt_i32 s0, s33
	s_mul_i32 s53, s11, 9
	s_cselect_b32 s20, -1, 0
	s_ashr_i32 s15, s11, 31
	s_lshl_b32 s21, s11, 1
	s_lshl_b32 s48, s11, 2
	s_lshl_b64 s[14:15], s[14:15], 2
	s_lshl_b32 s52, s11, 3
	s_mul_i32 s54, s11, 10
	s_mul_i32 s55, s11, 11
	;; [unrolled: 1-line block ×6, first 2 shown]
	s_lshl_b32 s60, s11, 4
	s_mul_i32 s61, s11, 17
	s_mul_i32 s62, s11, 18
	;; [unrolled: 1-line block ×15, first 2 shown]
	s_branch .LBB57_6
.LBB57_5:                               ;   in Loop: Header=BB57_6 Depth=1
	s_or_b32 exec_lo, exec_lo, s0
	s_delay_alu instid0(VALU_DEP_1)
	v_perm_b32 v83, v83, v85, 0x7060302
	v_add_nc_u32_e32 v84, 0x400, v109
	v_add_nc_u32_e32 v85, 0x600, v109
	;; [unrolled: 1-line block ×3, first 2 shown]
	v_add_co_u32 v81, s0, 0x180, v81
	ds_store_2addr_b32 v84, v83, v110 offset0:104 offset1:140
	ds_store_2addr_b32 v84, v110, v110 offset0:176 offset1:212
	;; [unrolled: 1-line block ×3, first 2 shown]
	ds_load_b128 v[83:86], v111
	ds_load_b128 v[87:90], v111 offset:16
	ds_load_b128 v[91:94], v111 offset:32
	;; [unrolled: 1-line block ×5, first 2 shown]
	v_cmp_le_i32_e32 vcc_lo, s8, v80
	v_add_co_ci_u32_e64 v82, s0, 0, v82, s0
	s_or_b32 s41, vcc_lo, s41
	s_waitcnt lgkmcnt(4)
	v_wmma_f32_16x16x16_bf16 v[8:15], v[56:63], v[83:90], v[8:15]
	ds_load_b128 v[56:59], v111 offset:96
	ds_load_b128 v[60:63], v111 offset:112
	v_wmma_f32_16x16x16_bf16 v[0:7], v[72:79], v[83:90], v[0:7]
	s_waitcnt lgkmcnt(4)
	v_wmma_f32_16x16x16_bf16 v[8:15], v[40:47], v[91:98], v[8:15]
	s_delay_alu instid0(VALU_DEP_2) | instskip(SKIP_1) | instid1(VALU_DEP_2)
	v_wmma_f32_16x16x16_bf16 v[0:7], v[64:71], v[91:98], v[0:7]
	s_waitcnt lgkmcnt(2)
	v_wmma_f32_16x16x16_bf16 v[8:15], v[24:31], v[112:119], v[8:15]
	s_delay_alu instid0(VALU_DEP_2) | instskip(SKIP_1) | instid1(VALU_DEP_2)
	v_wmma_f32_16x16x16_bf16 v[0:7], v[48:55], v[112:119], v[0:7]
	s_waitcnt lgkmcnt(0)
	v_wmma_f32_16x16x16_bf16 v[8:15], v[16:23], v[56:63], v[8:15]
	s_delay_alu instid0(VALU_DEP_2)
	v_wmma_f32_16x16x16_bf16 v[0:7], v[32:39], v[56:63], v[0:7]
	s_and_not1_b32 exec_lo, exec_lo, s41
	s_cbranch_execz .LBB57_127
.LBB57_6:                               ; =>This Inner Loop Header: Depth=1
	v_dual_mov_b32 v103, 0 :: v_dual_add_nc_u32 v16, s21, v80
	v_add_nc_u32_e32 v22, s48, v80
	v_add_nc_u32_e32 v18, s45, v80
	v_add_co_u32 v20, vcc_lo, v81, s14
	s_delay_alu instid0(VALU_DEP_4)
	v_ashrrev_i32_e32 v17, 31, v16
	v_add_co_ci_u32_e32 v21, vcc_lo, s15, v82, vcc_lo
	v_ashrrev_i32_e32 v23, 31, v22
	v_ashrrev_i32_e32 v19, 31, v18
	v_add_nc_u32_e32 v24, s49, v80
	v_lshlrev_b64 v[16:17], 2, v[16:17]
	s_clause 0x1
	global_load_b32 v38, v[81:82], off
	global_load_b32 v39, v[20:21], off
	v_lshlrev_b64 v[20:21], 2, v[22:23]
	v_add_nc_u32_e32 v22, s50, v80
	v_lshlrev_b64 v[18:19], 2, v[18:19]
	v_ashrrev_i32_e32 v25, 31, v24
	v_add_nc_u32_e32 v26, s51, v80
	v_add_co_u32 v16, vcc_lo, s1, v16
	v_ashrrev_i32_e32 v23, 31, v22
	v_add_co_ci_u32_e32 v17, vcc_lo, s4, v17, vcc_lo
	v_add_nc_u32_e32 v28, s52, v80
	v_add_co_u32 v18, vcc_lo, s1, v18
	v_lshlrev_b64 v[24:25], 2, v[24:25]
	v_ashrrev_i32_e32 v27, 31, v26
	v_add_co_ci_u32_e32 v19, vcc_lo, s4, v19, vcc_lo
	v_add_nc_u32_e32 v30, s53, v80
	v_add_co_u32 v20, vcc_lo, s1, v20
	v_lshlrev_b64 v[22:23], 2, v[22:23]
	v_ashrrev_i32_e32 v29, 31, v28
	v_add_co_ci_u32_e32 v21, vcc_lo, s4, v21, vcc_lo
	v_add_co_u32 v24, vcc_lo, s1, v24
	v_lshlrev_b64 v[26:27], 2, v[26:27]
	v_ashrrev_i32_e32 v31, 31, v30
	v_add_co_ci_u32_e32 v25, vcc_lo, s4, v25, vcc_lo
	v_add_co_u32 v22, vcc_lo, s1, v22
	v_lshlrev_b64 v[28:29], 2, v[28:29]
	v_add_co_ci_u32_e32 v23, vcc_lo, s4, v23, vcc_lo
	v_add_nc_u32_e32 v32, s54, v80
	v_add_co_u32 v26, vcc_lo, s1, v26
	v_lshlrev_b64 v[30:31], 2, v[30:31]
	v_add_co_ci_u32_e32 v27, vcc_lo, s4, v27, vcc_lo
	v_add_nc_u32_e32 v34, s55, v80
	v_add_co_u32 v28, vcc_lo, s1, v28
	v_ashrrev_i32_e32 v33, 31, v32
	v_add_co_ci_u32_e32 v29, vcc_lo, s4, v29, vcc_lo
	v_add_nc_u32_e32 v36, s56, v80
	v_add_co_u32 v30, vcc_lo, s1, v30
	v_ashrrev_i32_e32 v35, 31, v34
	v_add_co_ci_u32_e32 v31, vcc_lo, s4, v31, vcc_lo
	s_clause 0x7
	global_load_b32 v40, v[16:17], off
	global_load_b32 v41, v[18:19], off
	global_load_b32 v42, v[20:21], off
	global_load_b32 v43, v[24:25], off
	global_load_b32 v44, v[22:23], off
	global_load_b32 v45, v[26:27], off
	global_load_b32 v46, v[28:29], off
	global_load_b32 v47, v[30:31], off
	v_add_nc_u32_e32 v18, s57, v80
	v_lshlrev_b64 v[32:33], 2, v[32:33]
	v_ashrrev_i32_e32 v37, 31, v36
	v_add_nc_u32_e32 v24, s58, v80
	v_lshlrev_b64 v[16:17], 2, v[34:35]
	v_ashrrev_i32_e32 v19, 31, v18
	v_add_nc_u32_e32 v26, s59, v80
	v_add_co_u32 v20, vcc_lo, s1, v32
	v_lshlrev_b64 v[22:23], 2, v[36:37]
	v_ashrrev_i32_e32 v25, 31, v24
	v_add_co_ci_u32_e32 v21, vcc_lo, s4, v33, vcc_lo
	v_add_nc_u32_e32 v28, s60, v80
	v_add_co_u32 v16, vcc_lo, s1, v16
	v_lshlrev_b64 v[18:19], 2, v[18:19]
	v_ashrrev_i32_e32 v27, 31, v26
	v_add_co_ci_u32_e32 v17, vcc_lo, s4, v17, vcc_lo
	v_add_nc_u32_e32 v30, s61, v80
	v_add_co_u32 v22, vcc_lo, s1, v22
	v_lshlrev_b64 v[24:25], 2, v[24:25]
	v_ashrrev_i32_e32 v29, 31, v28
	v_add_co_ci_u32_e32 v23, vcc_lo, s4, v23, vcc_lo
	v_add_co_u32 v18, vcc_lo, s1, v18
	v_lshlrev_b64 v[26:27], 2, v[26:27]
	v_ashrrev_i32_e32 v31, 31, v30
	v_add_co_ci_u32_e32 v19, vcc_lo, s4, v19, vcc_lo
	v_add_co_u32 v24, vcc_lo, s1, v24
	v_lshlrev_b64 v[28:29], 2, v[28:29]
	v_add_co_ci_u32_e32 v25, vcc_lo, s4, v25, vcc_lo
	v_add_nc_u32_e32 v32, s62, v80
	v_add_co_u32 v26, vcc_lo, s1, v26
	v_lshlrev_b64 v[30:31], 2, v[30:31]
	v_add_co_ci_u32_e32 v27, vcc_lo, s4, v27, vcc_lo
	v_add_nc_u32_e32 v34, s63, v80
	v_add_co_u32 v28, vcc_lo, s1, v28
	v_ashrrev_i32_e32 v33, 31, v32
	v_add_co_ci_u32_e32 v29, vcc_lo, s4, v29, vcc_lo
	v_add_nc_u32_e32 v36, s64, v80
	v_add_co_u32 v30, vcc_lo, s1, v30
	v_ashrrev_i32_e32 v35, 31, v34
	v_add_co_ci_u32_e32 v31, vcc_lo, s4, v31, vcc_lo
	s_clause 0x7
	global_load_b32 v48, v[20:21], off
	global_load_b32 v49, v[16:17], off
	global_load_b32 v50, v[22:23], off
	global_load_b32 v51, v[18:19], off
	global_load_b32 v52, v[24:25], off
	global_load_b32 v53, v[26:27], off
	global_load_b32 v54, v[28:29], off
	global_load_b32 v55, v[30:31], off
	v_add_nc_u32_e32 v18, s65, v80
	v_lshlrev_b64 v[32:33], 2, v[32:33]
	v_ashrrev_i32_e32 v37, 31, v36
	v_add_nc_u32_e32 v24, s66, v80
	v_lshlrev_b64 v[16:17], 2, v[34:35]
	v_ashrrev_i32_e32 v19, 31, v18
	v_add_nc_u32_e32 v26, s67, v80
	v_add_co_u32 v20, vcc_lo, s1, v32
	v_lshlrev_b64 v[22:23], 2, v[36:37]
	;; [unrolled: 49-line block ×3, first 2 shown]
	v_ashrrev_i32_e32 v25, 31, v24
	v_add_co_ci_u32_e32 v21, vcc_lo, s4, v33, vcc_lo
	v_add_co_u32 v16, vcc_lo, s1, v16
	v_lshlrev_b64 v[18:19], 2, v[18:19]
	v_ashrrev_i32_e32 v27, 31, v26
	v_add_co_ci_u32_e32 v17, vcc_lo, s4, v17, vcc_lo
	v_add_co_u32 v22, vcc_lo, s1, v22
	v_lshlrev_b64 v[24:25], 2, v[24:25]
	v_add_co_ci_u32_e32 v23, vcc_lo, s4, v23, vcc_lo
	v_add_co_u32 v18, vcc_lo, s1, v18
	v_lshlrev_b64 v[26:27], 2, v[26:27]
	v_add_co_ci_u32_e32 v19, vcc_lo, s4, v19, vcc_lo
	v_add_co_u32 v24, vcc_lo, s1, v24
	v_add_co_ci_u32_e32 v25, vcc_lo, s4, v25, vcc_lo
	s_delay_alu instid0(VALU_DEP_4)
	v_add_co_u32 v26, vcc_lo, s1, v26
	v_add_co_ci_u32_e32 v27, vcc_lo, s4, v27, vcc_lo
	s_clause 0x5
	global_load_b32 v32, v[20:21], off
	global_load_b32 v33, v[16:17], off
	;; [unrolled: 1-line block ×6, first 2 shown]
	v_mov_b32_e32 v104, 0
	s_and_not1_b32 vcc_lo, exec_lo, s37
	s_waitcnt vmcnt(31)
	ds_store_b32 v109, v38
	s_waitcnt vmcnt(30)
	ds_store_b32 v109, v39 offset:144
	s_waitcnt vmcnt(29)
	ds_store_b32 v109, v40 offset:288
	;; [unrolled: 2-line block ×15, first 2 shown]
	ds_load_b128 v[56:59], v111
	ds_load_b128 v[60:63], v111 offset:16
	ds_load_b128 v[40:43], v111 offset:32
	;; [unrolled: 1-line block ×7, first 2 shown]
	s_waitcnt vmcnt(15)
	ds_store_b32 v109, v54
	s_waitcnt vmcnt(14)
	ds_store_b32 v109, v55 offset:144
	s_waitcnt vmcnt(13)
	ds_store_b32 v109, v64 offset:288
	;; [unrolled: 2-line block ×15, first 2 shown]
	ds_load_b128 v[72:75], v111
	ds_load_b128 v[76:79], v111 offset:16
	ds_load_b128 v[64:67], v111 offset:32
	;; [unrolled: 1-line block ×7, first 2 shown]
	s_cbranch_vccnz .LBB57_9
; %bb.7:                                ;   in Loop: Header=BB57_6 Depth=1
	s_load_b32 s0, s[12:13], 0x0
	v_dual_mov_b32 v104, 0 :: v_dual_mov_b32 v103, 0
	s_waitcnt lgkmcnt(0)
	s_mul_hi_u32 s75, s0, s16
	s_delay_alu instid0(SALU_CYCLE_1) | instskip(NEXT) | instid1(SALU_CYCLE_1)
	s_add_i32 s75, s0, s75
	s_lshr_b32 s75, s75, s17
	s_delay_alu instid0(SALU_CYCLE_1)
	s_cmp_ge_i32 s75, s9
	s_cbranch_scc1 .LBB57_9
; %bb.8:                                ;   in Loop: Header=BB57_6 Depth=1
	v_mad_u64_u32 v[83:84], null, s75, s24, v[80:81]
	s_mul_i32 s75, s75, s18
	s_delay_alu instid0(SALU_CYCLE_1) | instskip(NEXT) | instid1(SALU_CYCLE_1)
	s_sub_i32 s0, s0, s75
	s_mul_i32 s0, s0, s5
	s_delay_alu instid0(VALU_DEP_1) | instid1(SALU_CYCLE_1)
	v_lshl_add_u32 v83, v83, 1, s0
	s_delay_alu instid0(VALU_DEP_1) | instskip(NEXT) | instid1(VALU_DEP_1)
	v_ashrrev_i32_e32 v84, 31, v83
	v_lshlrev_b64 v[83:84], 2, v[83:84]
	s_delay_alu instid0(VALU_DEP_1) | instskip(NEXT) | instid1(VALU_DEP_2)
	v_add_co_u32 v83, vcc_lo, s22, v83
	v_add_co_ci_u32_e32 v84, vcc_lo, s23, v84, vcc_lo
	global_load_b64 v[103:104], v[83:84], off
.LBB57_9:                               ;   in Loop: Header=BB57_6 Depth=1
	v_dual_mov_b32 v97, 0 :: v_dual_mov_b32 v102, 0
	v_mov_b32_e32 v101, 0
	s_and_not1_b32 vcc_lo, exec_lo, s3
	s_cbranch_vccnz .LBB57_12
; %bb.10:                               ;   in Loop: Header=BB57_6 Depth=1
	s_load_b32 s0, s[12:13], 0x4
	v_dual_mov_b32 v102, 0 :: v_dual_mov_b32 v101, 0
	s_waitcnt lgkmcnt(0)
	s_mul_hi_u32 s75, s0, s16
	s_delay_alu instid0(SALU_CYCLE_1) | instskip(NEXT) | instid1(SALU_CYCLE_1)
	s_add_i32 s75, s0, s75
	s_lshr_b32 s75, s75, s17
	s_delay_alu instid0(SALU_CYCLE_1)
	s_cmp_ge_i32 s75, s9
	s_cbranch_scc1 .LBB57_12
; %bb.11:                               ;   in Loop: Header=BB57_6 Depth=1
	v_mad_u64_u32 v[83:84], null, s75, s24, v[80:81]
	s_mul_i32 s75, s75, s18
	s_delay_alu instid0(SALU_CYCLE_1) | instskip(NEXT) | instid1(SALU_CYCLE_1)
	s_sub_i32 s0, s0, s75
	s_mul_i32 s0, s0, s5
	s_delay_alu instid0(VALU_DEP_1) | instid1(SALU_CYCLE_1)
	v_lshl_add_u32 v83, v83, 1, s0
	s_delay_alu instid0(VALU_DEP_1) | instskip(NEXT) | instid1(VALU_DEP_1)
	v_ashrrev_i32_e32 v84, 31, v83
	v_lshlrev_b64 v[83:84], 2, v[83:84]
	s_delay_alu instid0(VALU_DEP_1) | instskip(NEXT) | instid1(VALU_DEP_2)
	v_add_co_u32 v83, vcc_lo, s22, v83
	v_add_co_ci_u32_e32 v84, vcc_lo, s23, v84, vcc_lo
	global_load_b64 v[101:102], v[83:84], off
.LBB57_12:                              ;   in Loop: Header=BB57_6 Depth=1
	v_mov_b32_e32 v98, 0
	s_and_not1_b32 vcc_lo, exec_lo, s38
	s_cbranch_vccnz .LBB57_15
; %bb.13:                               ;   in Loop: Header=BB57_6 Depth=1
	s_load_b32 s0, s[12:13], 0x8
	v_dual_mov_b32 v98, 0 :: v_dual_mov_b32 v97, 0
	s_waitcnt lgkmcnt(0)
	s_mul_hi_u32 s75, s0, s16
	s_delay_alu instid0(SALU_CYCLE_1) | instskip(NEXT) | instid1(SALU_CYCLE_1)
	s_add_i32 s75, s0, s75
	s_lshr_b32 s75, s75, s17
	s_delay_alu instid0(SALU_CYCLE_1)
	s_cmp_ge_i32 s75, s9
	s_cbranch_scc1 .LBB57_15
; %bb.14:                               ;   in Loop: Header=BB57_6 Depth=1
	v_mad_u64_u32 v[83:84], null, s75, s24, v[80:81]
	s_mul_i32 s75, s75, s18
	s_delay_alu instid0(SALU_CYCLE_1) | instskip(NEXT) | instid1(SALU_CYCLE_1)
	s_sub_i32 s0, s0, s75
	s_mul_i32 s0, s0, s5
	s_delay_alu instid0(VALU_DEP_1) | instid1(SALU_CYCLE_1)
	v_lshl_add_u32 v83, v83, 1, s0
	s_delay_alu instid0(VALU_DEP_1) | instskip(NEXT) | instid1(VALU_DEP_1)
	v_ashrrev_i32_e32 v84, 31, v83
	v_lshlrev_b64 v[83:84], 2, v[83:84]
	s_delay_alu instid0(VALU_DEP_1) | instskip(NEXT) | instid1(VALU_DEP_2)
	v_add_co_u32 v83, vcc_lo, s22, v83
	v_add_co_ci_u32_e32 v84, vcc_lo, s23, v84, vcc_lo
	global_load_b64 v[97:98], v[83:84], off
.LBB57_15:                              ;   in Loop: Header=BB57_6 Depth=1
	v_dual_mov_b32 v93, 0 :: v_dual_mov_b32 v100, 0
	v_mov_b32_e32 v99, 0
	s_and_not1_b32 vcc_lo, exec_lo, s39
	s_cbranch_vccnz .LBB57_18
; %bb.16:                               ;   in Loop: Header=BB57_6 Depth=1
	s_load_b32 s0, s[12:13], 0xc
	v_dual_mov_b32 v100, 0 :: v_dual_mov_b32 v99, 0
	s_waitcnt lgkmcnt(0)
	s_mul_hi_u32 s75, s0, s16
	s_delay_alu instid0(SALU_CYCLE_1) | instskip(NEXT) | instid1(SALU_CYCLE_1)
	s_add_i32 s75, s0, s75
	s_lshr_b32 s75, s75, s17
	s_delay_alu instid0(SALU_CYCLE_1)
	s_cmp_ge_i32 s75, s9
	s_cbranch_scc1 .LBB57_18
; %bb.17:                               ;   in Loop: Header=BB57_6 Depth=1
	v_mad_u64_u32 v[83:84], null, s75, s24, v[80:81]
	s_mul_i32 s75, s75, s18
	s_delay_alu instid0(SALU_CYCLE_1) | instskip(NEXT) | instid1(SALU_CYCLE_1)
	s_sub_i32 s0, s0, s75
	s_mul_i32 s0, s0, s5
	s_delay_alu instid0(VALU_DEP_1) | instid1(SALU_CYCLE_1)
	v_lshl_add_u32 v83, v83, 1, s0
	s_delay_alu instid0(VALU_DEP_1) | instskip(NEXT) | instid1(VALU_DEP_1)
	v_ashrrev_i32_e32 v84, 31, v83
	v_lshlrev_b64 v[83:84], 2, v[83:84]
	s_delay_alu instid0(VALU_DEP_1) | instskip(NEXT) | instid1(VALU_DEP_2)
	v_add_co_u32 v83, vcc_lo, s22, v83
	v_add_co_ci_u32_e32 v84, vcc_lo, s23, v84, vcc_lo
	global_load_b64 v[99:100], v[83:84], off
.LBB57_18:                              ;   in Loop: Header=BB57_6 Depth=1
	v_mov_b32_e32 v94, 0
	s_and_not1_b32 vcc_lo, exec_lo, s40
	s_cbranch_vccnz .LBB57_21
; %bb.19:                               ;   in Loop: Header=BB57_6 Depth=1
	s_load_b32 s0, s[12:13], 0x10
	v_dual_mov_b32 v94, 0 :: v_dual_mov_b32 v93, 0
	s_waitcnt lgkmcnt(0)
	s_mul_hi_u32 s75, s0, s16
	s_delay_alu instid0(SALU_CYCLE_1) | instskip(NEXT) | instid1(SALU_CYCLE_1)
	s_add_i32 s75, s0, s75
	s_lshr_b32 s75, s75, s17
	s_delay_alu instid0(SALU_CYCLE_1)
	s_cmp_ge_i32 s75, s9
	s_cbranch_scc1 .LBB57_21
; %bb.20:                               ;   in Loop: Header=BB57_6 Depth=1
	v_mad_u64_u32 v[83:84], null, s75, s24, v[80:81]
	s_mul_i32 s75, s75, s18
	s_delay_alu instid0(SALU_CYCLE_1) | instskip(NEXT) | instid1(SALU_CYCLE_1)
	s_sub_i32 s0, s0, s75
	s_mul_i32 s0, s0, s5
	s_delay_alu instid0(VALU_DEP_1) | instid1(SALU_CYCLE_1)
	v_lshl_add_u32 v83, v83, 1, s0
	s_delay_alu instid0(VALU_DEP_1) | instskip(NEXT) | instid1(VALU_DEP_1)
	v_ashrrev_i32_e32 v84, 31, v83
	v_lshlrev_b64 v[83:84], 2, v[83:84]
	s_delay_alu instid0(VALU_DEP_1) | instskip(NEXT) | instid1(VALU_DEP_2)
	v_add_co_u32 v83, vcc_lo, s22, v83
	v_add_co_ci_u32_e32 v84, vcc_lo, s23, v84, vcc_lo
	global_load_b64 v[93:94], v[83:84], off
.LBB57_21:                              ;   in Loop: Header=BB57_6 Depth=1
	;; [unrolled: 61-line block ×5, first 2 shown]
	s_waitcnt vmcnt(0)
	v_and_b32_e32 v112, 0x7f800000, v103
	s_delay_alu instid0(VALU_DEP_1) | instskip(SKIP_1) | instid1(SALU_CYCLE_1)
	v_cmp_ne_u32_e32 vcc_lo, 0x7f800000, v112
                                        ; implicit-def: $vgpr112
	s_and_saveexec_b32 s0, vcc_lo
	s_xor_b32 s0, exec_lo, s0
; %bb.40:                               ;   in Loop: Header=BB57_6 Depth=1
	v_bfe_u32 v112, v103, 16, 1
	s_delay_alu instid0(VALU_DEP_1)
	v_add3_u32 v112, v103, v112, 0x7fff
; %bb.41:                               ;   in Loop: Header=BB57_6 Depth=1
	s_and_not1_saveexec_b32 s0, s0
; %bb.42:                               ;   in Loop: Header=BB57_6 Depth=1
	v_and_b32_e32 v112, 0xffff, v103
	v_or_b32_e32 v113, 0x10000, v103
	s_delay_alu instid0(VALU_DEP_2) | instskip(NEXT) | instid1(VALU_DEP_2)
	v_cmp_eq_u32_e32 vcc_lo, 0, v112
	v_cndmask_b32_e32 v112, v113, v103, vcc_lo
; %bb.43:                               ;   in Loop: Header=BB57_6 Depth=1
	s_or_b32 exec_lo, exec_lo, s0
	v_and_b32_e32 v103, 0x7f800000, v104
	s_delay_alu instid0(VALU_DEP_1) | instskip(SKIP_1) | instid1(SALU_CYCLE_1)
	v_cmp_ne_u32_e32 vcc_lo, 0x7f800000, v103
                                        ; implicit-def: $vgpr103
	s_and_saveexec_b32 s0, vcc_lo
	s_xor_b32 s0, exec_lo, s0
; %bb.44:                               ;   in Loop: Header=BB57_6 Depth=1
	v_bfe_u32 v103, v104, 16, 1
	s_delay_alu instid0(VALU_DEP_1)
	v_add3_u32 v103, v104, v103, 0x7fff
                                        ; implicit-def: $vgpr104
; %bb.45:                               ;   in Loop: Header=BB57_6 Depth=1
	s_and_not1_saveexec_b32 s0, s0
; %bb.46:                               ;   in Loop: Header=BB57_6 Depth=1
	v_and_b32_e32 v103, 0xffff, v104
	v_or_b32_e32 v113, 0x10000, v104
	s_delay_alu instid0(VALU_DEP_2) | instskip(NEXT) | instid1(VALU_DEP_2)
	v_cmp_eq_u32_e32 vcc_lo, 0, v103
	v_cndmask_b32_e32 v103, v113, v104, vcc_lo
; %bb.47:                               ;   in Loop: Header=BB57_6 Depth=1
	s_or_b32 exec_lo, exec_lo, s0
	v_and_b32_e32 v104, 0x7f800000, v101
	s_delay_alu instid0(VALU_DEP_2)
	v_perm_b32 v103, v103, v112, 0x7060302
	s_mov_b32 s0, exec_lo
	ds_store_b32 v109, v103
                                        ; implicit-def: $vgpr103
	v_cmpx_ne_u32_e32 0x7f800000, v104
	s_xor_b32 s0, exec_lo, s0
; %bb.48:                               ;   in Loop: Header=BB57_6 Depth=1
	v_bfe_u32 v103, v101, 16, 1
	s_delay_alu instid0(VALU_DEP_1)
	v_add3_u32 v103, v101, v103, 0x7fff
; %bb.49:                               ;   in Loop: Header=BB57_6 Depth=1
	s_and_not1_saveexec_b32 s0, s0
; %bb.50:                               ;   in Loop: Header=BB57_6 Depth=1
	v_and_b32_e32 v103, 0xffff, v101
	v_or_b32_e32 v104, 0x10000, v101
	s_delay_alu instid0(VALU_DEP_2) | instskip(NEXT) | instid1(VALU_DEP_2)
	v_cmp_eq_u32_e32 vcc_lo, 0, v103
	v_cndmask_b32_e32 v103, v104, v101, vcc_lo
; %bb.51:                               ;   in Loop: Header=BB57_6 Depth=1
	s_or_b32 exec_lo, exec_lo, s0
	v_and_b32_e32 v101, 0x7f800000, v102
	s_delay_alu instid0(VALU_DEP_1) | instskip(SKIP_1) | instid1(SALU_CYCLE_1)
	v_cmp_ne_u32_e32 vcc_lo, 0x7f800000, v101
                                        ; implicit-def: $vgpr101
	s_and_saveexec_b32 s0, vcc_lo
	s_xor_b32 s0, exec_lo, s0
; %bb.52:                               ;   in Loop: Header=BB57_6 Depth=1
	v_bfe_u32 v101, v102, 16, 1
	s_delay_alu instid0(VALU_DEP_1)
	v_add3_u32 v101, v102, v101, 0x7fff
                                        ; implicit-def: $vgpr102
; %bb.53:                               ;   in Loop: Header=BB57_6 Depth=1
	s_and_not1_saveexec_b32 s0, s0
; %bb.54:                               ;   in Loop: Header=BB57_6 Depth=1
	v_and_b32_e32 v101, 0xffff, v102
	v_or_b32_e32 v104, 0x10000, v102
	s_delay_alu instid0(VALU_DEP_2) | instskip(NEXT) | instid1(VALU_DEP_2)
	v_cmp_eq_u32_e32 vcc_lo, 0, v101
	v_cndmask_b32_e32 v101, v104, v102, vcc_lo
; %bb.55:                               ;   in Loop: Header=BB57_6 Depth=1
	s_or_b32 exec_lo, exec_lo, s0
	v_and_b32_e32 v102, 0x7f800000, v97
	s_delay_alu instid0(VALU_DEP_2)
	v_perm_b32 v101, v101, v103, 0x7060302
	s_mov_b32 s0, exec_lo
	ds_store_b32 v109, v101 offset:144
                                        ; implicit-def: $vgpr101
	v_cmpx_ne_u32_e32 0x7f800000, v102
	s_xor_b32 s0, exec_lo, s0
; %bb.56:                               ;   in Loop: Header=BB57_6 Depth=1
	v_bfe_u32 v101, v97, 16, 1
	s_delay_alu instid0(VALU_DEP_1)
	v_add3_u32 v101, v97, v101, 0x7fff
; %bb.57:                               ;   in Loop: Header=BB57_6 Depth=1
	s_and_not1_saveexec_b32 s0, s0
; %bb.58:                               ;   in Loop: Header=BB57_6 Depth=1
	v_and_b32_e32 v101, 0xffff, v97
	v_or_b32_e32 v102, 0x10000, v97
	s_delay_alu instid0(VALU_DEP_2) | instskip(NEXT) | instid1(VALU_DEP_2)
	v_cmp_eq_u32_e32 vcc_lo, 0, v101
	v_cndmask_b32_e32 v101, v102, v97, vcc_lo
; %bb.59:                               ;   in Loop: Header=BB57_6 Depth=1
	s_or_b32 exec_lo, exec_lo, s0
	v_and_b32_e32 v97, 0x7f800000, v98
	s_delay_alu instid0(VALU_DEP_1) | instskip(SKIP_1) | instid1(SALU_CYCLE_1)
	v_cmp_ne_u32_e32 vcc_lo, 0x7f800000, v97
                                        ; implicit-def: $vgpr97
	s_and_saveexec_b32 s0, vcc_lo
	s_xor_b32 s0, exec_lo, s0
; %bb.60:                               ;   in Loop: Header=BB57_6 Depth=1
	v_bfe_u32 v97, v98, 16, 1
	s_delay_alu instid0(VALU_DEP_1)
	v_add3_u32 v97, v98, v97, 0x7fff
                                        ; implicit-def: $vgpr98
; %bb.61:                               ;   in Loop: Header=BB57_6 Depth=1
	s_and_not1_saveexec_b32 s0, s0
; %bb.62:                               ;   in Loop: Header=BB57_6 Depth=1
	v_and_b32_e32 v97, 0xffff, v98
	v_or_b32_e32 v102, 0x10000, v98
	s_delay_alu instid0(VALU_DEP_2) | instskip(NEXT) | instid1(VALU_DEP_2)
	v_cmp_eq_u32_e32 vcc_lo, 0, v97
	v_cndmask_b32_e32 v97, v102, v98, vcc_lo
; %bb.63:                               ;   in Loop: Header=BB57_6 Depth=1
	s_or_b32 exec_lo, exec_lo, s0
	v_and_b32_e32 v98, 0x7f800000, v99
	s_delay_alu instid0(VALU_DEP_2)
	v_perm_b32 v97, v97, v101, 0x7060302
	s_mov_b32 s0, exec_lo
	ds_store_b32 v109, v97 offset:288
                                        ; implicit-def: $vgpr97
	v_cmpx_ne_u32_e32 0x7f800000, v98
	s_xor_b32 s0, exec_lo, s0
; %bb.64:                               ;   in Loop: Header=BB57_6 Depth=1
	v_bfe_u32 v97, v99, 16, 1
	s_delay_alu instid0(VALU_DEP_1)
	v_add3_u32 v97, v99, v97, 0x7fff
; %bb.65:                               ;   in Loop: Header=BB57_6 Depth=1
	s_and_not1_saveexec_b32 s0, s0
; %bb.66:                               ;   in Loop: Header=BB57_6 Depth=1
	v_and_b32_e32 v97, 0xffff, v99
	v_or_b32_e32 v98, 0x10000, v99
	s_delay_alu instid0(VALU_DEP_2) | instskip(NEXT) | instid1(VALU_DEP_2)
	v_cmp_eq_u32_e32 vcc_lo, 0, v97
	v_cndmask_b32_e32 v97, v98, v99, vcc_lo
; %bb.67:                               ;   in Loop: Header=BB57_6 Depth=1
	s_or_b32 exec_lo, exec_lo, s0
	v_and_b32_e32 v98, 0x7f800000, v100
	s_delay_alu instid0(VALU_DEP_1) | instskip(SKIP_1) | instid1(SALU_CYCLE_1)
	v_cmp_ne_u32_e32 vcc_lo, 0x7f800000, v98
                                        ; implicit-def: $vgpr98
	s_and_saveexec_b32 s0, vcc_lo
	s_xor_b32 s0, exec_lo, s0
; %bb.68:                               ;   in Loop: Header=BB57_6 Depth=1
	v_bfe_u32 v98, v100, 16, 1
	s_delay_alu instid0(VALU_DEP_1)
	v_add3_u32 v98, v100, v98, 0x7fff
                                        ; implicit-def: $vgpr100
; %bb.69:                               ;   in Loop: Header=BB57_6 Depth=1
	s_and_not1_saveexec_b32 s0, s0
; %bb.70:                               ;   in Loop: Header=BB57_6 Depth=1
	v_and_b32_e32 v98, 0xffff, v100
	v_or_b32_e32 v99, 0x10000, v100
	s_delay_alu instid0(VALU_DEP_2) | instskip(NEXT) | instid1(VALU_DEP_2)
	v_cmp_eq_u32_e32 vcc_lo, 0, v98
	v_cndmask_b32_e32 v98, v99, v100, vcc_lo
; %bb.71:                               ;   in Loop: Header=BB57_6 Depth=1
	s_or_b32 exec_lo, exec_lo, s0
	v_and_b32_e32 v99, 0x7f800000, v93
	s_delay_alu instid0(VALU_DEP_2)
	v_perm_b32 v97, v98, v97, 0x7060302
	s_mov_b32 s0, exec_lo
	ds_store_b32 v109, v97 offset:432
                                        ; implicit-def: $vgpr97
	v_cmpx_ne_u32_e32 0x7f800000, v99
	s_xor_b32 s0, exec_lo, s0
; %bb.72:                               ;   in Loop: Header=BB57_6 Depth=1
	v_bfe_u32 v97, v93, 16, 1
	s_delay_alu instid0(VALU_DEP_1)
	v_add3_u32 v97, v93, v97, 0x7fff
; %bb.73:                               ;   in Loop: Header=BB57_6 Depth=1
	s_and_not1_saveexec_b32 s0, s0
; %bb.74:                               ;   in Loop: Header=BB57_6 Depth=1
	v_and_b32_e32 v97, 0xffff, v93
	v_or_b32_e32 v98, 0x10000, v93
	s_delay_alu instid0(VALU_DEP_2) | instskip(NEXT) | instid1(VALU_DEP_2)
	v_cmp_eq_u32_e32 vcc_lo, 0, v97
	v_cndmask_b32_e32 v97, v98, v93, vcc_lo
; %bb.75:                               ;   in Loop: Header=BB57_6 Depth=1
	s_or_b32 exec_lo, exec_lo, s0
	v_and_b32_e32 v93, 0x7f800000, v94
	s_delay_alu instid0(VALU_DEP_1) | instskip(SKIP_1) | instid1(SALU_CYCLE_1)
	v_cmp_ne_u32_e32 vcc_lo, 0x7f800000, v93
                                        ; implicit-def: $vgpr93
	s_and_saveexec_b32 s0, vcc_lo
	s_xor_b32 s0, exec_lo, s0
; %bb.76:                               ;   in Loop: Header=BB57_6 Depth=1
	v_bfe_u32 v93, v94, 16, 1
	s_delay_alu instid0(VALU_DEP_1)
	v_add3_u32 v93, v94, v93, 0x7fff
                                        ; implicit-def: $vgpr94
; %bb.77:                               ;   in Loop: Header=BB57_6 Depth=1
	s_and_not1_saveexec_b32 s0, s0
; %bb.78:                               ;   in Loop: Header=BB57_6 Depth=1
	v_and_b32_e32 v93, 0xffff, v94
	v_or_b32_e32 v98, 0x10000, v94
	s_delay_alu instid0(VALU_DEP_2) | instskip(NEXT) | instid1(VALU_DEP_2)
	v_cmp_eq_u32_e32 vcc_lo, 0, v93
	v_cndmask_b32_e32 v93, v98, v94, vcc_lo
; %bb.79:                               ;   in Loop: Header=BB57_6 Depth=1
	s_or_b32 exec_lo, exec_lo, s0
	v_and_b32_e32 v94, 0x7f800000, v95
	s_delay_alu instid0(VALU_DEP_2)
	v_perm_b32 v93, v93, v97, 0x7060302
	s_mov_b32 s0, exec_lo
	ds_store_b32 v109, v93 offset:576
                                        ; implicit-def: $vgpr93
	v_cmpx_ne_u32_e32 0x7f800000, v94
	s_xor_b32 s0, exec_lo, s0
; %bb.80:                               ;   in Loop: Header=BB57_6 Depth=1
	v_bfe_u32 v93, v95, 16, 1
	s_delay_alu instid0(VALU_DEP_1)
	v_add3_u32 v93, v95, v93, 0x7fff
; %bb.81:                               ;   in Loop: Header=BB57_6 Depth=1
	s_and_not1_saveexec_b32 s0, s0
; %bb.82:                               ;   in Loop: Header=BB57_6 Depth=1
	v_and_b32_e32 v93, 0xffff, v95
	v_or_b32_e32 v94, 0x10000, v95
	s_delay_alu instid0(VALU_DEP_2) | instskip(NEXT) | instid1(VALU_DEP_2)
	v_cmp_eq_u32_e32 vcc_lo, 0, v93
	v_cndmask_b32_e32 v93, v94, v95, vcc_lo
; %bb.83:                               ;   in Loop: Header=BB57_6 Depth=1
	s_or_b32 exec_lo, exec_lo, s0
	v_and_b32_e32 v94, 0x7f800000, v96
	s_delay_alu instid0(VALU_DEP_1) | instskip(SKIP_1) | instid1(SALU_CYCLE_1)
	v_cmp_ne_u32_e32 vcc_lo, 0x7f800000, v94
                                        ; implicit-def: $vgpr94
	s_and_saveexec_b32 s0, vcc_lo
	s_xor_b32 s0, exec_lo, s0
; %bb.84:                               ;   in Loop: Header=BB57_6 Depth=1
	v_bfe_u32 v94, v96, 16, 1
	s_delay_alu instid0(VALU_DEP_1)
	v_add3_u32 v94, v96, v94, 0x7fff
                                        ; implicit-def: $vgpr96
; %bb.85:                               ;   in Loop: Header=BB57_6 Depth=1
	s_and_not1_saveexec_b32 s0, s0
; %bb.86:                               ;   in Loop: Header=BB57_6 Depth=1
	v_and_b32_e32 v94, 0xffff, v96
	v_or_b32_e32 v95, 0x10000, v96
	s_delay_alu instid0(VALU_DEP_2) | instskip(NEXT) | instid1(VALU_DEP_2)
	v_cmp_eq_u32_e32 vcc_lo, 0, v94
	v_cndmask_b32_e32 v94, v95, v96, vcc_lo
; %bb.87:                               ;   in Loop: Header=BB57_6 Depth=1
	s_or_b32 exec_lo, exec_lo, s0
	v_and_b32_e32 v95, 0x7f800000, v89
	s_delay_alu instid0(VALU_DEP_2)
	v_perm_b32 v93, v94, v93, 0x7060302
	s_mov_b32 s0, exec_lo
	ds_store_b32 v109, v93 offset:720
                                        ; implicit-def: $vgpr93
	v_cmpx_ne_u32_e32 0x7f800000, v95
	s_xor_b32 s0, exec_lo, s0
; %bb.88:                               ;   in Loop: Header=BB57_6 Depth=1
	v_bfe_u32 v93, v89, 16, 1
	s_delay_alu instid0(VALU_DEP_1)
	v_add3_u32 v93, v89, v93, 0x7fff
; %bb.89:                               ;   in Loop: Header=BB57_6 Depth=1
	s_and_not1_saveexec_b32 s0, s0
; %bb.90:                               ;   in Loop: Header=BB57_6 Depth=1
	v_and_b32_e32 v93, 0xffff, v89
	v_or_b32_e32 v94, 0x10000, v89
	s_delay_alu instid0(VALU_DEP_2) | instskip(NEXT) | instid1(VALU_DEP_2)
	v_cmp_eq_u32_e32 vcc_lo, 0, v93
	v_cndmask_b32_e32 v93, v94, v89, vcc_lo
; %bb.91:                               ;   in Loop: Header=BB57_6 Depth=1
	s_or_b32 exec_lo, exec_lo, s0
	v_and_b32_e32 v89, 0x7f800000, v90
	s_delay_alu instid0(VALU_DEP_1) | instskip(SKIP_1) | instid1(SALU_CYCLE_1)
	v_cmp_ne_u32_e32 vcc_lo, 0x7f800000, v89
                                        ; implicit-def: $vgpr89
	s_and_saveexec_b32 s0, vcc_lo
	s_xor_b32 s0, exec_lo, s0
; %bb.92:                               ;   in Loop: Header=BB57_6 Depth=1
	v_bfe_u32 v89, v90, 16, 1
	s_delay_alu instid0(VALU_DEP_1)
	v_add3_u32 v89, v90, v89, 0x7fff
                                        ; implicit-def: $vgpr90
; %bb.93:                               ;   in Loop: Header=BB57_6 Depth=1
	s_and_not1_saveexec_b32 s0, s0
; %bb.94:                               ;   in Loop: Header=BB57_6 Depth=1
	v_and_b32_e32 v89, 0xffff, v90
	v_or_b32_e32 v94, 0x10000, v90
	s_delay_alu instid0(VALU_DEP_2) | instskip(NEXT) | instid1(VALU_DEP_2)
	v_cmp_eq_u32_e32 vcc_lo, 0, v89
	v_cndmask_b32_e32 v89, v94, v90, vcc_lo
; %bb.95:                               ;   in Loop: Header=BB57_6 Depth=1
	s_or_b32 exec_lo, exec_lo, s0
	v_and_b32_e32 v90, 0x7f800000, v91
	s_delay_alu instid0(VALU_DEP_2)
	v_perm_b32 v89, v89, v93, 0x7060302
	s_mov_b32 s0, exec_lo
	ds_store_b32 v109, v89 offset:864
                                        ; implicit-def: $vgpr89
	v_cmpx_ne_u32_e32 0x7f800000, v90
	s_xor_b32 s0, exec_lo, s0
; %bb.96:                               ;   in Loop: Header=BB57_6 Depth=1
	v_bfe_u32 v89, v91, 16, 1
	s_delay_alu instid0(VALU_DEP_1)
	v_add3_u32 v89, v91, v89, 0x7fff
; %bb.97:                               ;   in Loop: Header=BB57_6 Depth=1
	s_and_not1_saveexec_b32 s0, s0
; %bb.98:                               ;   in Loop: Header=BB57_6 Depth=1
	v_and_b32_e32 v89, 0xffff, v91
	v_or_b32_e32 v90, 0x10000, v91
	s_delay_alu instid0(VALU_DEP_2) | instskip(NEXT) | instid1(VALU_DEP_2)
	v_cmp_eq_u32_e32 vcc_lo, 0, v89
	v_cndmask_b32_e32 v89, v90, v91, vcc_lo
; %bb.99:                               ;   in Loop: Header=BB57_6 Depth=1
	s_or_b32 exec_lo, exec_lo, s0
	v_and_b32_e32 v90, 0x7f800000, v92
	s_delay_alu instid0(VALU_DEP_1) | instskip(SKIP_1) | instid1(SALU_CYCLE_1)
	v_cmp_ne_u32_e32 vcc_lo, 0x7f800000, v90
                                        ; implicit-def: $vgpr90
	s_and_saveexec_b32 s0, vcc_lo
	s_xor_b32 s0, exec_lo, s0
; %bb.100:                              ;   in Loop: Header=BB57_6 Depth=1
	v_bfe_u32 v90, v92, 16, 1
	s_delay_alu instid0(VALU_DEP_1)
	v_add3_u32 v90, v92, v90, 0x7fff
                                        ; implicit-def: $vgpr92
; %bb.101:                              ;   in Loop: Header=BB57_6 Depth=1
	s_and_not1_saveexec_b32 s0, s0
; %bb.102:                              ;   in Loop: Header=BB57_6 Depth=1
	v_and_b32_e32 v90, 0xffff, v92
	v_or_b32_e32 v91, 0x10000, v92
	s_delay_alu instid0(VALU_DEP_2) | instskip(NEXT) | instid1(VALU_DEP_2)
	v_cmp_eq_u32_e32 vcc_lo, 0, v90
	v_cndmask_b32_e32 v90, v91, v92, vcc_lo
; %bb.103:                              ;   in Loop: Header=BB57_6 Depth=1
	s_or_b32 exec_lo, exec_lo, s0
	v_and_b32_e32 v91, 0x7f800000, v85
	s_delay_alu instid0(VALU_DEP_2)
	v_perm_b32 v89, v90, v89, 0x7060302
	s_mov_b32 s0, exec_lo
	ds_store_b32 v109, v89 offset:1008
                                        ; implicit-def: $vgpr89
	v_cmpx_ne_u32_e32 0x7f800000, v91
	s_xor_b32 s0, exec_lo, s0
; %bb.104:                              ;   in Loop: Header=BB57_6 Depth=1
	v_bfe_u32 v89, v85, 16, 1
	s_delay_alu instid0(VALU_DEP_1)
	v_add3_u32 v89, v85, v89, 0x7fff
; %bb.105:                              ;   in Loop: Header=BB57_6 Depth=1
	s_and_not1_saveexec_b32 s0, s0
; %bb.106:                              ;   in Loop: Header=BB57_6 Depth=1
	v_and_b32_e32 v89, 0xffff, v85
	v_or_b32_e32 v90, 0x10000, v85
	s_delay_alu instid0(VALU_DEP_2) | instskip(NEXT) | instid1(VALU_DEP_2)
	v_cmp_eq_u32_e32 vcc_lo, 0, v89
	v_cndmask_b32_e32 v89, v90, v85, vcc_lo
; %bb.107:                              ;   in Loop: Header=BB57_6 Depth=1
	s_or_b32 exec_lo, exec_lo, s0
	v_and_b32_e32 v85, 0x7f800000, v86
	s_delay_alu instid0(VALU_DEP_1) | instskip(SKIP_1) | instid1(SALU_CYCLE_1)
	v_cmp_ne_u32_e32 vcc_lo, 0x7f800000, v85
                                        ; implicit-def: $vgpr85
	s_and_saveexec_b32 s0, vcc_lo
	s_xor_b32 s0, exec_lo, s0
; %bb.108:                              ;   in Loop: Header=BB57_6 Depth=1
	v_bfe_u32 v85, v86, 16, 1
	s_delay_alu instid0(VALU_DEP_1)
	v_add3_u32 v85, v86, v85, 0x7fff
                                        ; implicit-def: $vgpr86
; %bb.109:                              ;   in Loop: Header=BB57_6 Depth=1
	s_and_not1_saveexec_b32 s0, s0
; %bb.110:                              ;   in Loop: Header=BB57_6 Depth=1
	v_and_b32_e32 v85, 0xffff, v86
	v_or_b32_e32 v90, 0x10000, v86
	s_delay_alu instid0(VALU_DEP_2) | instskip(NEXT) | instid1(VALU_DEP_2)
	v_cmp_eq_u32_e32 vcc_lo, 0, v85
	v_cndmask_b32_e32 v85, v90, v86, vcc_lo
; %bb.111:                              ;   in Loop: Header=BB57_6 Depth=1
	s_or_b32 exec_lo, exec_lo, s0
	v_and_b32_e32 v86, 0x7f800000, v87
	s_delay_alu instid0(VALU_DEP_2)
	v_perm_b32 v85, v85, v89, 0x7060302
	s_mov_b32 s0, exec_lo
	ds_store_b32 v109, v85 offset:1152
                                        ; implicit-def: $vgpr85
	v_cmpx_ne_u32_e32 0x7f800000, v86
	s_xor_b32 s0, exec_lo, s0
; %bb.112:                              ;   in Loop: Header=BB57_6 Depth=1
	v_bfe_u32 v85, v87, 16, 1
	s_delay_alu instid0(VALU_DEP_1)
	v_add3_u32 v85, v87, v85, 0x7fff
; %bb.113:                              ;   in Loop: Header=BB57_6 Depth=1
	s_and_not1_saveexec_b32 s0, s0
; %bb.114:                              ;   in Loop: Header=BB57_6 Depth=1
	v_and_b32_e32 v85, 0xffff, v87
	v_or_b32_e32 v86, 0x10000, v87
	s_delay_alu instid0(VALU_DEP_2) | instskip(NEXT) | instid1(VALU_DEP_2)
	v_cmp_eq_u32_e32 vcc_lo, 0, v85
	v_cndmask_b32_e32 v85, v86, v87, vcc_lo
; %bb.115:                              ;   in Loop: Header=BB57_6 Depth=1
	s_or_b32 exec_lo, exec_lo, s0
	v_and_b32_e32 v86, 0x7f800000, v88
	s_delay_alu instid0(VALU_DEP_1) | instskip(SKIP_1) | instid1(SALU_CYCLE_1)
	v_cmp_ne_u32_e32 vcc_lo, 0x7f800000, v86
                                        ; implicit-def: $vgpr86
	s_and_saveexec_b32 s0, vcc_lo
	s_xor_b32 s0, exec_lo, s0
; %bb.116:                              ;   in Loop: Header=BB57_6 Depth=1
	v_bfe_u32 v86, v88, 16, 1
	s_delay_alu instid0(VALU_DEP_1)
	v_add3_u32 v86, v88, v86, 0x7fff
                                        ; implicit-def: $vgpr88
; %bb.117:                              ;   in Loop: Header=BB57_6 Depth=1
	s_and_not1_saveexec_b32 s0, s0
; %bb.118:                              ;   in Loop: Header=BB57_6 Depth=1
	v_and_b32_e32 v86, 0xffff, v88
	v_or_b32_e32 v87, 0x10000, v88
	s_delay_alu instid0(VALU_DEP_2) | instskip(NEXT) | instid1(VALU_DEP_2)
	v_cmp_eq_u32_e32 vcc_lo, 0, v86
	v_cndmask_b32_e32 v86, v87, v88, vcc_lo
; %bb.119:                              ;   in Loop: Header=BB57_6 Depth=1
	s_or_b32 exec_lo, exec_lo, s0
	v_and_b32_e32 v87, 0x7f800000, v83
	s_delay_alu instid0(VALU_DEP_2)
	v_perm_b32 v85, v86, v85, 0x7060302
	s_mov_b32 s0, exec_lo
	ds_store_b32 v109, v85 offset:1296
                                        ; implicit-def: $vgpr85
	v_cmpx_ne_u32_e32 0x7f800000, v87
	s_xor_b32 s0, exec_lo, s0
; %bb.120:                              ;   in Loop: Header=BB57_6 Depth=1
	v_bfe_u32 v85, v83, 16, 1
	s_delay_alu instid0(VALU_DEP_1)
	v_add3_u32 v85, v83, v85, 0x7fff
; %bb.121:                              ;   in Loop: Header=BB57_6 Depth=1
	s_and_not1_saveexec_b32 s0, s0
; %bb.122:                              ;   in Loop: Header=BB57_6 Depth=1
	v_and_b32_e32 v85, 0xffff, v83
	v_or_b32_e32 v86, 0x10000, v83
	s_delay_alu instid0(VALU_DEP_2) | instskip(NEXT) | instid1(VALU_DEP_2)
	v_cmp_eq_u32_e32 vcc_lo, 0, v85
	v_cndmask_b32_e32 v85, v86, v83, vcc_lo
; %bb.123:                              ;   in Loop: Header=BB57_6 Depth=1
	s_or_b32 exec_lo, exec_lo, s0
	v_and_b32_e32 v83, 0x7f800000, v84
	s_delay_alu instid0(VALU_DEP_1) | instskip(SKIP_1) | instid1(SALU_CYCLE_1)
	v_cmp_ne_u32_e32 vcc_lo, 0x7f800000, v83
                                        ; implicit-def: $vgpr83
	s_and_saveexec_b32 s0, vcc_lo
	s_xor_b32 s0, exec_lo, s0
; %bb.124:                              ;   in Loop: Header=BB57_6 Depth=1
	v_bfe_u32 v83, v84, 16, 1
	s_delay_alu instid0(VALU_DEP_1)
	v_add3_u32 v83, v84, v83, 0x7fff
                                        ; implicit-def: $vgpr84
; %bb.125:                              ;   in Loop: Header=BB57_6 Depth=1
	s_and_not1_saveexec_b32 s0, s0
	s_cbranch_execz .LBB57_5
; %bb.126:                              ;   in Loop: Header=BB57_6 Depth=1
	v_and_b32_e32 v83, 0xffff, v84
	v_or_b32_e32 v86, 0x10000, v84
	s_delay_alu instid0(VALU_DEP_2) | instskip(NEXT) | instid1(VALU_DEP_2)
	v_cmp_eq_u32_e32 vcc_lo, 0, v83
	v_cndmask_b32_e32 v83, v86, v84, vcc_lo
	s_branch .LBB57_5
.LBB57_127:
	s_or_b32 exec_lo, exec_lo, s41
.LBB57_128:
	s_delay_alu instid0(SALU_CYCLE_1)
	s_or_b32 exec_lo, exec_lo, s36
	v_lshrrev_b32_e32 v16, 2, v106
	v_mad_u32_u24 v17, 0x190, v108, 0
	v_lshlrev_b32_e32 v18, 2, v107
	s_waitcnt lgkmcnt(0)
	s_barrier
	v_and_b32_e32 v16, 0xfc, v16
	buffer_gl0_inv
	s_lshl_b64 s[4:5], s[30:31], 2
	v_cmp_gt_u32_e64 s0, 11, v105
	s_add_u32 s1, s34, s4
	v_add3_u32 v16, v17, v16, v18
	s_addc_u32 s3, s35, s5
	s_cmp_gt_i32 s10, 0
	ds_store_2addr_b32 v16, v8, v9 offset1:2
	ds_store_2addr_b32 v16, v10, v11 offset0:4 offset1:6
	ds_store_2addr_b32 v16, v12, v13 offset0:8 offset1:10
	;; [unrolled: 1-line block ×6, first 2 shown]
	v_add_nc_u32_e32 v0, s2, v105
	s_cselect_b32 s4, -1, 0
	v_lshl_add_u32 v4, v106, 2, 0
	v_add_nc_u32_e32 v3, s7, v106
	v_mul_u32_u24_e32 v5, 0x190, v105
	v_cmp_gt_i32_e32 vcc_lo, s33, v0
	ds_store_2addr_b32 v16, v6, v7 offset0:28 offset1:30
	s_waitcnt lgkmcnt(0)
	s_barrier
	buffer_gl0_inv
	s_and_b32 s5, s4, vcc_lo
	s_delay_alu instid0(SALU_CYCLE_1) | instskip(NEXT) | instid1(SALU_CYCLE_1)
	s_and_b32 s5, s0, s5
	s_and_saveexec_b32 s0, s5
	s_cbranch_execz .LBB57_131
; %bb.129:
	v_ashrrev_i32_e32 v1, 31, v0
	s_delay_alu instid0(VALU_DEP_1) | instskip(NEXT) | instid1(VALU_DEP_1)
	v_lshlrev_b64 v[1:2], 2, v[0:1]
	v_add_co_u32 v1, vcc_lo, s1, v1
	s_delay_alu instid0(VALU_DEP_2) | instskip(SKIP_3) | instid1(VALU_DEP_1)
	v_add_co_ci_u32_e32 v2, vcc_lo, s3, v2, vcc_lo
	global_load_b32 v1, v[1:2], off
	s_waitcnt vmcnt(0)
	v_mul_hi_u32 v2, v1, s19
	v_add_nc_u32_e32 v2, v1, v2
	s_delay_alu instid0(VALU_DEP_1) | instskip(NEXT) | instid1(VALU_DEP_1)
	v_lshrrev_b32_e32 v2, s26, v2
	v_cmp_gt_i32_e32 vcc_lo, s9, v2
	s_and_b32 exec_lo, exec_lo, vcc_lo
	s_cbranch_execz .LBB57_131
; %bb.130:
	v_add_nc_u32_e32 v8, v4, v5
	v_mul_lo_u32 v9, v2, s27
	ds_load_2addr_b32 v[6:7], v8 offset1:32
	ds_load_b32 v8, v8 offset:256
	v_sub_nc_u32_e32 v1, v1, v9
	v_mul_lo_u32 v9, v2, s25
	v_mov_b32_e32 v2, 0
	s_delay_alu instid0(VALU_DEP_3) | instskip(NEXT) | instid1(VALU_DEP_1)
	v_mul_lo_u32 v1, v1, s6
	v_add3_u32 v1, v3, v9, v1
	s_waitcnt lgkmcnt(1)
	v_add_f32_e32 v6, 0, v6
	s_delay_alu instid0(VALU_DEP_2) | instskip(NEXT) | instid1(VALU_DEP_2)
	v_lshlrev_b64 v[1:2], 2, v[1:2]
	v_add_f32_e32 v6, v6, v7
	s_delay_alu instid0(VALU_DEP_2) | instskip(SKIP_1) | instid1(VALU_DEP_2)
	v_add_co_u32 v1, vcc_lo, s28, v1
	s_waitcnt lgkmcnt(0)
	v_add_f32_e32 v6, v6, v8
	s_delay_alu instid0(VALU_DEP_4)
	v_add_co_ci_u32_e32 v2, vcc_lo, s29, v2, vcc_lo
	global_store_b32 v[1:2], v6, off
.LBB57_131:
	s_or_b32 exec_lo, exec_lo, s0
	v_add_nc_u32_e32 v1, 3, v0
	v_cmp_gt_u32_e64 s0, 8, v105
	s_delay_alu instid0(VALU_DEP_2)
	v_cmp_gt_i32_e32 vcc_lo, s33, v1
	s_and_b32 s5, s4, vcc_lo
	s_delay_alu instid0(VALU_DEP_2) | instid1(SALU_CYCLE_1)
	s_and_b32 s5, s0, s5
	s_delay_alu instid0(SALU_CYCLE_1)
	s_and_saveexec_b32 s0, s5
	s_cbranch_execz .LBB57_134
; %bb.132:
	s_ashr_i32 s5, s2, 31
	v_add_co_u32 v1, s7, v105, s2
	s_delay_alu instid0(VALU_DEP_1) | instskip(NEXT) | instid1(VALU_DEP_1)
	v_add_co_ci_u32_e64 v2, null, 0, s5, s7
	v_lshlrev_b64 v[1:2], 2, v[1:2]
	s_delay_alu instid0(VALU_DEP_1) | instskip(NEXT) | instid1(VALU_DEP_2)
	v_add_co_u32 v1, vcc_lo, s1, v1
	v_add_co_ci_u32_e32 v2, vcc_lo, s3, v2, vcc_lo
	global_load_b32 v1, v[1:2], off offset:12
	s_waitcnt vmcnt(0)
	v_mul_hi_u32 v2, v1, s19
	s_delay_alu instid0(VALU_DEP_1) | instskip(NEXT) | instid1(VALU_DEP_1)
	v_add_nc_u32_e32 v2, v1, v2
	v_lshrrev_b32_e32 v6, s26, v2
	v_mov_b32_e32 v2, 0
	s_delay_alu instid0(VALU_DEP_2)
	v_cmp_gt_i32_e32 vcc_lo, s9, v6
	s_and_b32 exec_lo, exec_lo, vcc_lo
	s_cbranch_execz .LBB57_134
; %bb.133:
	v_add_nc_u32_e32 v9, v5, v4
	v_mul_lo_u32 v10, v6, s27
	v_mul_lo_u32 v6, v6, s25
	s_delay_alu instid0(VALU_DEP_3) | instskip(SKIP_4) | instid1(VALU_DEP_1)
	v_add_nc_u32_e32 v7, 0x400, v9
	ds_load_b32 v9, v9 offset:1456
	v_sub_nc_u32_e32 v1, v1, v10
	ds_load_2addr_b32 v[7:8], v7 offset0:44 offset1:76
	v_mul_lo_u32 v1, v1, s6
	v_add3_u32 v1, v3, v6, v1
	s_delay_alu instid0(VALU_DEP_1) | instskip(SKIP_2) | instid1(VALU_DEP_2)
	v_lshlrev_b64 v[1:2], 2, v[1:2]
	s_waitcnt lgkmcnt(0)
	v_add_f32_e32 v7, 0, v7
	v_add_co_u32 v1, vcc_lo, s28, v1
	s_delay_alu instid0(VALU_DEP_2) | instskip(NEXT) | instid1(VALU_DEP_4)
	v_add_f32_e32 v6, v7, v8
	v_add_co_ci_u32_e32 v2, vcc_lo, s29, v2, vcc_lo
	s_delay_alu instid0(VALU_DEP_2)
	v_add_f32_e32 v6, v6, v9
	global_store_b32 v[1:2], v6, off
.LBB57_134:
	s_or_b32 exec_lo, exec_lo, s0
	v_add_nc_u32_e32 v1, 6, v0
	v_cmp_gt_u32_e64 s0, 5, v105
	s_delay_alu instid0(VALU_DEP_2)
	v_cmp_gt_i32_e32 vcc_lo, s33, v1
	s_and_b32 s5, s4, vcc_lo
	s_delay_alu instid0(VALU_DEP_2) | instid1(SALU_CYCLE_1)
	s_and_b32 s5, s0, s5
	s_delay_alu instid0(SALU_CYCLE_1)
	s_and_saveexec_b32 s0, s5
	s_cbranch_execz .LBB57_137
; %bb.135:
	s_ashr_i32 s5, s2, 31
	v_add_co_u32 v1, s7, v105, s2
	s_delay_alu instid0(VALU_DEP_1) | instskip(NEXT) | instid1(VALU_DEP_1)
	v_add_co_ci_u32_e64 v2, null, 0, s5, s7
	v_lshlrev_b64 v[1:2], 2, v[1:2]
	s_delay_alu instid0(VALU_DEP_1) | instskip(NEXT) | instid1(VALU_DEP_2)
	v_add_co_u32 v1, vcc_lo, s1, v1
	v_add_co_ci_u32_e32 v2, vcc_lo, s3, v2, vcc_lo
	global_load_b32 v1, v[1:2], off offset:24
	s_waitcnt vmcnt(0)
	v_mul_hi_u32 v2, v1, s19
	s_delay_alu instid0(VALU_DEP_1) | instskip(NEXT) | instid1(VALU_DEP_1)
	v_add_nc_u32_e32 v2, v1, v2
	v_lshrrev_b32_e32 v6, s26, v2
	v_mov_b32_e32 v2, 0
	s_delay_alu instid0(VALU_DEP_2)
	v_cmp_gt_i32_e32 vcc_lo, s9, v6
	s_and_b32 exec_lo, exec_lo, vcc_lo
	s_cbranch_execz .LBB57_137
; %bb.136:
	v_add_nc_u32_e32 v9, v4, v5
	v_mul_lo_u32 v10, v6, s27
	v_mul_lo_u32 v6, v6, s25
	s_delay_alu instid0(VALU_DEP_3) | instskip(NEXT) | instid1(VALU_DEP_3)
	v_add_nc_u32_e32 v7, 0x800, v9
	v_sub_nc_u32_e32 v1, v1, v10
	ds_load_2addr_b32 v[7:8], v7 offset0:88 offset1:120
	v_mul_lo_u32 v1, v1, s6
	s_delay_alu instid0(VALU_DEP_1) | instskip(NEXT) | instid1(VALU_DEP_1)
	v_add3_u32 v1, v3, v6, v1
	v_lshlrev_b64 v[1:2], 2, v[1:2]
	s_waitcnt lgkmcnt(0)
	v_add_f32_e32 v7, 0, v7
	s_delay_alu instid0(VALU_DEP_2) | instskip(NEXT) | instid1(VALU_DEP_2)
	v_add_co_u32 v1, vcc_lo, s28, v1
	v_add_f32_e32 v6, v7, v8
	ds_load_b32 v9, v9 offset:2656
	v_add_co_ci_u32_e32 v2, vcc_lo, s29, v2, vcc_lo
	s_waitcnt lgkmcnt(0)
	v_add_f32_e32 v6, v6, v9
	global_store_b32 v[1:2], v6, off
.LBB57_137:
	s_or_b32 exec_lo, exec_lo, s0
	s_delay_alu instid0(SALU_CYCLE_1)
	s_mov_b32 s0, exec_lo
	v_cmpx_gt_u32_e32 2, v105
	s_cbranch_execz .LBB57_141
; %bb.138:
	v_add_nc_u32_e32 v0, 9, v0
	s_delay_alu instid0(VALU_DEP_1) | instskip(SKIP_1) | instid1(SALU_CYCLE_1)
	v_cmp_gt_i32_e32 vcc_lo, s33, v0
	s_and_b32 s0, s4, vcc_lo
	s_and_b32 exec_lo, exec_lo, s0
	s_cbranch_execz .LBB57_141
; %bb.139:
	s_ashr_i32 s0, s2, 31
	v_add_co_u32 v0, s2, v105, s2
	s_delay_alu instid0(VALU_DEP_1) | instskip(NEXT) | instid1(VALU_DEP_1)
	v_add_co_ci_u32_e64 v1, null, 0, s0, s2
	v_lshlrev_b64 v[0:1], 2, v[0:1]
	s_delay_alu instid0(VALU_DEP_1) | instskip(NEXT) | instid1(VALU_DEP_2)
	v_add_co_u32 v0, vcc_lo, s1, v0
	v_add_co_ci_u32_e32 v1, vcc_lo, s3, v1, vcc_lo
	global_load_b32 v0, v[0:1], off offset:36
	s_waitcnt vmcnt(0)
	v_mul_hi_u32 v1, v0, s19
	s_delay_alu instid0(VALU_DEP_1) | instskip(NEXT) | instid1(VALU_DEP_1)
	v_add_nc_u32_e32 v1, v0, v1
	v_lshrrev_b32_e32 v2, s26, v1
	v_mov_b32_e32 v1, 0
	s_delay_alu instid0(VALU_DEP_2)
	v_cmp_gt_i32_e32 vcc_lo, s9, v2
	s_and_b32 exec_lo, exec_lo, vcc_lo
	s_cbranch_execz .LBB57_141
; %bb.140:
	v_add_nc_u32_e32 v6, v4, v5
	v_mul_lo_u32 v7, v2, s27
	v_mul_lo_u32 v2, v2, s25
	s_delay_alu instid0(VALU_DEP_3) | instskip(SKIP_4) | instid1(VALU_DEP_1)
	v_add_nc_u32_e32 v4, 0xc00, v6
	ds_load_b32 v6, v6 offset:3856
	v_sub_nc_u32_e32 v0, v0, v7
	ds_load_2addr_b32 v[4:5], v4 offset0:132 offset1:164
	v_mul_lo_u32 v0, v0, s6
	v_add3_u32 v0, v3, v2, v0
	s_delay_alu instid0(VALU_DEP_1) | instskip(SKIP_2) | instid1(VALU_DEP_2)
	v_lshlrev_b64 v[0:1], 2, v[0:1]
	s_waitcnt lgkmcnt(0)
	v_add_f32_e32 v4, 0, v4
	v_add_co_u32 v0, vcc_lo, s28, v0
	s_delay_alu instid0(VALU_DEP_2) | instskip(NEXT) | instid1(VALU_DEP_4)
	v_add_f32_e32 v2, v4, v5
	v_add_co_ci_u32_e32 v1, vcc_lo, s29, v1, vcc_lo
	s_delay_alu instid0(VALU_DEP_2)
	v_add_f32_e32 v2, v2, v6
	global_store_b32 v[0:1], v2, off
.LBB57_141:
	s_nop 0
	s_sendmsg sendmsg(MSG_DEALLOC_VGPRS)
	s_endpgm
	.section	.rodata,"a",@progbits
	.p2align	6, 0x0
	.amdhsa_kernel _ZL13mul_mat_f_idsI15__hip_bfloat162Li32ELi11ELi3EEvPKT_PKfPKiS7_S7_Pfiiiiiiiiiiiiii15HIP_vector_typeIjLj3EESA_
		.amdhsa_group_segment_fixed_size 0
		.amdhsa_private_segment_fixed_size 0
		.amdhsa_kernarg_size 128
		.amdhsa_user_sgpr_count 13
		.amdhsa_user_sgpr_dispatch_ptr 0
		.amdhsa_user_sgpr_queue_ptr 0
		.amdhsa_user_sgpr_kernarg_segment_ptr 1
		.amdhsa_user_sgpr_dispatch_id 0
		.amdhsa_user_sgpr_private_segment_size 0
		.amdhsa_wavefront_size32 1
		.amdhsa_uses_dynamic_stack 0
		.amdhsa_enable_private_segment 0
		.amdhsa_system_sgpr_workgroup_id_x 1
		.amdhsa_system_sgpr_workgroup_id_y 1
		.amdhsa_system_sgpr_workgroup_id_z 1
		.amdhsa_system_sgpr_workgroup_info 0
		.amdhsa_system_vgpr_workitem_id 1
		.amdhsa_next_free_vgpr 120
		.amdhsa_next_free_sgpr 76
		.amdhsa_reserve_vcc 1
		.amdhsa_float_round_mode_32 0
		.amdhsa_float_round_mode_16_64 0
		.amdhsa_float_denorm_mode_32 3
		.amdhsa_float_denorm_mode_16_64 3
		.amdhsa_dx10_clamp 1
		.amdhsa_ieee_mode 1
		.amdhsa_fp16_overflow 0
		.amdhsa_workgroup_processor_mode 1
		.amdhsa_memory_ordered 1
		.amdhsa_forward_progress 0
		.amdhsa_shared_vgpr_count 0
		.amdhsa_exception_fp_ieee_invalid_op 0
		.amdhsa_exception_fp_denorm_src 0
		.amdhsa_exception_fp_ieee_div_zero 0
		.amdhsa_exception_fp_ieee_overflow 0
		.amdhsa_exception_fp_ieee_underflow 0
		.amdhsa_exception_fp_ieee_inexact 0
		.amdhsa_exception_int_div_zero 0
	.end_amdhsa_kernel
	.section	.text._ZL13mul_mat_f_idsI15__hip_bfloat162Li32ELi11ELi3EEvPKT_PKfPKiS7_S7_Pfiiiiiiiiiiiiii15HIP_vector_typeIjLj3EESA_,"axG",@progbits,_ZL13mul_mat_f_idsI15__hip_bfloat162Li32ELi11ELi3EEvPKT_PKfPKiS7_S7_Pfiiiiiiiiiiiiii15HIP_vector_typeIjLj3EESA_,comdat
.Lfunc_end57:
	.size	_ZL13mul_mat_f_idsI15__hip_bfloat162Li32ELi11ELi3EEvPKT_PKfPKiS7_S7_Pfiiiiiiiiiiiiii15HIP_vector_typeIjLj3EESA_, .Lfunc_end57-_ZL13mul_mat_f_idsI15__hip_bfloat162Li32ELi11ELi3EEvPKT_PKfPKiS7_S7_Pfiiiiiiiiiiiiii15HIP_vector_typeIjLj3EESA_
                                        ; -- End function
	.section	.AMDGPU.csdata,"",@progbits
; Kernel info:
; codeLenInByte = 7652
; NumSgprs: 78
; NumVgprs: 120
; ScratchSize: 0
; MemoryBound: 0
; FloatMode: 240
; IeeeMode: 1
; LDSByteSize: 0 bytes/workgroup (compile time only)
; SGPRBlocks: 9
; VGPRBlocks: 14
; NumSGPRsForWavesPerEU: 78
; NumVGPRsForWavesPerEU: 120
; Occupancy: 12
; WaveLimiterHint : 1
; COMPUTE_PGM_RSRC2:SCRATCH_EN: 0
; COMPUTE_PGM_RSRC2:USER_SGPR: 13
; COMPUTE_PGM_RSRC2:TRAP_HANDLER: 0
; COMPUTE_PGM_RSRC2:TGID_X_EN: 1
; COMPUTE_PGM_RSRC2:TGID_Y_EN: 1
; COMPUTE_PGM_RSRC2:TGID_Z_EN: 1
; COMPUTE_PGM_RSRC2:TIDIG_COMP_CNT: 1
	.section	.text._ZL9mul_mat_fI15__hip_bfloat162Li32ELi11ELi3ELb1EEvPKT_PKfPKiPfiiiiiiiiiiiiiiii,"axG",@progbits,_ZL9mul_mat_fI15__hip_bfloat162Li32ELi11ELi3ELb1EEvPKT_PKfPKiPfiiiiiiiiiiiiiiii,comdat
	.globl	_ZL9mul_mat_fI15__hip_bfloat162Li32ELi11ELi3ELb1EEvPKT_PKfPKiPfiiiiiiiiiiiiiiii ; -- Begin function _ZL9mul_mat_fI15__hip_bfloat162Li32ELi11ELi3ELb1EEvPKT_PKfPKiPfiiiiiiiiiiiiiiii
	.p2align	8
	.type	_ZL9mul_mat_fI15__hip_bfloat162Li32ELi11ELi3ELb1EEvPKT_PKfPKiPfiiiiiiiiiiiiiiii,@function
_ZL9mul_mat_fI15__hip_bfloat162Li32ELi11ELi3ELb1EEvPKT_PKfPKiPfiiiiiiiiiiiiiiii: ; @_ZL9mul_mat_fI15__hip_bfloat162Li32ELi11ELi3ELb1EEvPKT_PKfPKiPfiiiiiiiiiiiiiiii
; %bb.0:
	s_clause 0x1
	s_load_b256 s[16:23], s[0:1], 0x20
	s_load_b128 s[8:11], s[0:1], 0x44
	v_and_b32_e32 v80, 0x3ff, v0
	v_bfe_u32 v87, v0, 10, 10
	s_delay_alu instid0(VALU_DEP_2) | instskip(NEXT) | instid1(VALU_DEP_2)
	v_cmp_eq_u32_e32 vcc_lo, 0, v80
	v_lshl_add_u32 v86, v87, 2, 0x100
	s_waitcnt lgkmcnt(0)
	s_add_i32 s2, s17, 10
	s_delay_alu instid0(SALU_CYCLE_1) | instskip(NEXT) | instid1(SALU_CYCLE_1)
	s_mul_hi_i32 s2, s2, 0x2e8ba2e9
	s_lshr_b32 s3, s2, 31
	s_ashr_i32 s2, s2, 1
	s_delay_alu instid0(SALU_CYCLE_1)
	s_add_i32 s2, s2, s3
	s_load_b32 s3, s[0:1], 0x64
	v_cvt_f32_u32_e32 v1, s2
	s_add_u32 s28, s0, 0x60
	s_addc_u32 s29, s1, 0
	s_sub_i32 s5, 0, s2
	s_delay_alu instid0(VALU_DEP_1) | instskip(SKIP_2) | instid1(VALU_DEP_1)
	v_rcp_iflag_f32_e32 v1, v1
	s_waitcnt_depctr 0xfff
	v_mul_f32_e32 v1, 0x4f7ffffe, v1
	v_cvt_u32_f32_e32 v1, v1
	s_delay_alu instid0(VALU_DEP_1) | instskip(NEXT) | instid1(VALU_DEP_1)
	v_readfirstlane_b32 s4, v1
	s_mul_i32 s5, s5, s4
	s_delay_alu instid0(SALU_CYCLE_1) | instskip(NEXT) | instid1(SALU_CYCLE_1)
	s_mul_hi_u32 s5, s4, s5
	s_add_i32 s4, s4, s5
	s_waitcnt lgkmcnt(0)
	s_mul_hi_u32 s4, s3, s4
	s_delay_alu instid0(SALU_CYCLE_1) | instskip(NEXT) | instid1(SALU_CYCLE_1)
	s_mul_i32 s5, s4, s2
	s_sub_i32 s3, s3, s5
	s_add_i32 s5, s4, 1
	s_sub_i32 s6, s3, s2
	s_cmp_ge_u32 s3, s2
	s_cselect_b32 s4, s5, s4
	s_cselect_b32 s3, s6, s3
	s_add_i32 s5, s4, 1
	s_cmp_ge_u32 s3, s2
	s_cselect_b32 s2, s5, s4
	s_load_b64 s[4:5], s[0:1], 0x10
	v_cvt_f32_u32_e32 v1, s2
	s_abs_i32 s33, s11
	s_sub_i32 s6, 0, s2
	v_cvt_f32_u32_e32 v2, s33
	s_delay_alu instid0(VALU_DEP_2) | instskip(NEXT) | instid1(VALU_DEP_1)
	v_rcp_iflag_f32_e32 v1, v1
	v_rcp_iflag_f32_e32 v2, v2
	s_waitcnt_depctr 0xfff
	v_dual_mul_f32 v1, 0x4f7ffffe, v1 :: v_dual_mul_f32 v2, 0x4f7ffffe, v2
	s_delay_alu instid0(VALU_DEP_1) | instskip(NEXT) | instid1(VALU_DEP_1)
	v_cvt_u32_f32_e32 v1, v1
	v_readfirstlane_b32 s3, v1
	s_delay_alu instid0(VALU_DEP_3) | instskip(NEXT) | instid1(VALU_DEP_2)
	v_cvt_u32_f32_e32 v1, v2
	s_mul_i32 s6, s6, s3
	s_delay_alu instid0(VALU_DEP_1) | instskip(SKIP_1) | instid1(SALU_CYCLE_1)
	v_readfirstlane_b32 s30, v1
	s_mul_hi_u32 s6, s3, s6
	s_add_i32 s3, s3, s6
	s_delay_alu instid0(SALU_CYCLE_1)
	s_mul_hi_u32 s3, s14, s3
	s_and_saveexec_b32 s6, vcc_lo
	s_cbranch_execz .LBB58_2
; %bb.1:
	v_mov_b32_e32 v1, -1
	ds_store_b32 v86, v1
.LBB58_2:
	s_or_b32 exec_lo, exec_lo, s6
	s_mul_i32 s6, s3, s2
	s_add_i32 s7, s3, 1
	s_sub_i32 s6, s14, s6
	v_mov_b32_e32 v3, 0
	s_sub_i32 s12, s6, s2
	s_cmp_ge_u32 s6, s2
	s_cselect_b32 s3, s7, s3
	s_cselect_b32 s6, s12, s6
	s_add_i32 s7, s3, 1
	s_cmp_ge_u32 s6, s2
	v_cmp_gt_i32_e64 s6, s18, v80
	s_cselect_b32 s3, s7, s3
	s_delay_alu instid0(SALU_CYCLE_1)
	s_mul_i32 s12, s3, 11
	s_mul_i32 s3, s3, s2
	v_add_nc_u32_e32 v1, s12, v87
	s_mul_hi_i32 s25, s12, s23
	s_mul_i32 s24, s12, s23
	s_sub_i32 s34, s14, s3
	s_lshl_b64 s[24:25], s[24:25], 2
	v_cmp_gt_i32_e64 s2, s17, v1
	s_waitcnt lgkmcnt(0)
	s_add_u32 s14, s4, s24
	s_addc_u32 s31, s5, s25
	s_delay_alu instid0(VALU_DEP_1)
	s_and_saveexec_b32 s5, s2
	s_cbranch_execz .LBB58_10
; %bb.3:
	v_mov_b32_e32 v3, 0
	s_and_saveexec_b32 s7, s6
	s_cbranch_execz .LBB58_9
; %bb.4:
	v_mul_lo_u32 v1, v87, s23
	v_dual_mov_b32 v3, 0 :: v_dual_mov_b32 v6, v80
	s_lshl_b32 s25, s22, 5
	s_mov_b32 s24, 0
	s_delay_alu instid0(VALU_DEP_2) | instskip(NEXT) | instid1(VALU_DEP_1)
	v_ashrrev_i32_e32 v2, 31, v1
	v_lshlrev_b64 v[4:5], 2, v[1:2]
	v_mul_lo_u32 v1, v80, s22
	s_delay_alu instid0(VALU_DEP_2) | instskip(NEXT) | instid1(VALU_DEP_1)
	v_add_co_u32 v4, s3, s14, v4
	v_add_co_ci_u32_e64 v5, s3, s31, v5, s3
	s_set_inst_prefetch_distance 0x1
	s_branch .LBB58_6
	.p2align	6
.LBB58_5:                               ;   in Loop: Header=BB58_6 Depth=1
	s_or_b32 exec_lo, exec_lo, s26
	v_add_nc_u32_e32 v6, 32, v6
	s_xor_b32 s3, s3, -1
	v_add_nc_u32_e32 v1, s25, v1
	s_delay_alu instid0(VALU_DEP_2) | instskip(NEXT) | instid1(VALU_DEP_1)
	v_cmp_le_i32_e64 s4, s18, v6
	s_or_b32 s3, s3, s4
	s_delay_alu instid0(SALU_CYCLE_1) | instskip(NEXT) | instid1(SALU_CYCLE_1)
	s_and_b32 s3, exec_lo, s3
	s_or_b32 s24, s3, s24
	s_delay_alu instid0(SALU_CYCLE_1)
	s_and_not1_b32 exec_lo, exec_lo, s24
	s_cbranch_execz .LBB58_8
.LBB58_6:                               ; =>This Inner Loop Header: Depth=1
	s_delay_alu instid0(VALU_DEP_3) | instskip(SKIP_1) | instid1(VALU_DEP_1)
	v_ashrrev_i32_e32 v2, 31, v1
	s_mov_b32 s26, exec_lo
	v_lshlrev_b64 v[7:8], 2, v[1:2]
	s_delay_alu instid0(VALU_DEP_1) | instskip(NEXT) | instid1(VALU_DEP_1)
	v_add_co_u32 v7, s3, v4, v7
	v_add_co_ci_u32_e64 v8, s3, v5, v8, s3
	global_load_b32 v2, v[7:8], off
	s_waitcnt vmcnt(0)
	v_cmp_ne_u32_e64 s3, s34, v2
	v_cmpx_eq_u32_e64 s34, v2
	s_cbranch_execz .LBB58_5
; %bb.7:                                ;   in Loop: Header=BB58_6 Depth=1
	v_mov_b32_e32 v3, 1
	ds_store_b32 v86, v6
	s_branch .LBB58_5
.LBB58_8:
	s_set_inst_prefetch_distance 0x2
	s_or_b32 exec_lo, exec_lo, s24
.LBB58_9:
	s_delay_alu instid0(SALU_CYCLE_1)
	s_or_b32 exec_lo, exec_lo, s7
.LBB58_10:
	s_delay_alu instid0(SALU_CYCLE_1)
	s_or_b32 exec_lo, exec_lo, s5
	s_and_saveexec_b32 s3, vcc_lo
	s_cbranch_execz .LBB58_12
; %bb.11:
	v_mov_b32_e32 v1, -1
	ds_store_b32 v86, v1 offset:12
.LBB58_12:
	s_or_b32 exec_lo, exec_lo, s3
	v_add_nc_u32_e32 v88, 3, v87
	s_delay_alu instid0(VALU_DEP_1) | instskip(NEXT) | instid1(VALU_DEP_1)
	v_add_nc_u32_e32 v1, s12, v88
	v_cmp_gt_i32_e64 s3, s17, v1
	s_delay_alu instid0(VALU_DEP_1)
	s_and_saveexec_b32 s7, s3
	s_cbranch_execz .LBB58_20
; %bb.13:
	s_and_saveexec_b32 s24, s6
	s_cbranch_execz .LBB58_19
; %bb.14:
	v_mul_lo_u32 v1, v88, s23
	v_mov_b32_e32 v6, v80
	s_lshl_b32 s26, s22, 5
	s_mov_b32 s25, 0
	s_delay_alu instid0(VALU_DEP_2) | instskip(NEXT) | instid1(VALU_DEP_1)
	v_ashrrev_i32_e32 v2, 31, v1
	v_lshlrev_b64 v[4:5], 2, v[1:2]
	v_mul_lo_u32 v1, v80, s22
	s_delay_alu instid0(VALU_DEP_2) | instskip(NEXT) | instid1(VALU_DEP_1)
	v_add_co_u32 v4, s4, s14, v4
	v_add_co_ci_u32_e64 v5, s4, s31, v5, s4
	s_set_inst_prefetch_distance 0x1
	s_branch .LBB58_16
	.p2align	6
.LBB58_15:                              ;   in Loop: Header=BB58_16 Depth=1
	s_or_b32 exec_lo, exec_lo, s27
	v_add_nc_u32_e32 v6, 32, v6
	s_xor_b32 s4, s4, -1
	v_add_nc_u32_e32 v1, s26, v1
	s_delay_alu instid0(VALU_DEP_2) | instskip(NEXT) | instid1(VALU_DEP_1)
	v_cmp_le_i32_e64 s5, s18, v6
	s_or_b32 s4, s4, s5
	s_delay_alu instid0(SALU_CYCLE_1) | instskip(NEXT) | instid1(SALU_CYCLE_1)
	s_and_b32 s4, exec_lo, s4
	s_or_b32 s25, s4, s25
	s_delay_alu instid0(SALU_CYCLE_1)
	s_and_not1_b32 exec_lo, exec_lo, s25
	s_cbranch_execz .LBB58_18
.LBB58_16:                              ; =>This Inner Loop Header: Depth=1
	s_delay_alu instid0(VALU_DEP_3) | instskip(SKIP_1) | instid1(VALU_DEP_1)
	v_ashrrev_i32_e32 v2, 31, v1
	s_mov_b32 s27, exec_lo
	v_lshlrev_b64 v[7:8], 2, v[1:2]
	s_delay_alu instid0(VALU_DEP_1) | instskip(NEXT) | instid1(VALU_DEP_1)
	v_add_co_u32 v7, s4, v4, v7
	v_add_co_ci_u32_e64 v8, s4, v5, v8, s4
	global_load_b32 v2, v[7:8], off
	s_waitcnt vmcnt(0)
	v_cmp_ne_u32_e64 s4, s34, v2
	v_cmpx_eq_u32_e64 s34, v2
	s_cbranch_execz .LBB58_15
; %bb.17:                               ;   in Loop: Header=BB58_16 Depth=1
	v_mov_b32_e32 v3, 1
	ds_store_b32 v86, v6 offset:12
	s_branch .LBB58_15
.LBB58_18:
	s_set_inst_prefetch_distance 0x2
	s_or_b32 exec_lo, exec_lo, s25
.LBB58_19:
	s_delay_alu instid0(SALU_CYCLE_1)
	s_or_b32 exec_lo, exec_lo, s24
.LBB58_20:
	s_delay_alu instid0(SALU_CYCLE_1)
	s_or_b32 exec_lo, exec_lo, s7
	s_sub_i32 s24, 0, s33
	s_and_saveexec_b32 s4, vcc_lo
	s_cbranch_execz .LBB58_22
; %bb.21:
	v_mov_b32_e32 v1, -1
	ds_store_b32 v86, v1 offset:24
.LBB58_22:
	s_or_b32 exec_lo, exec_lo, s4
	v_add_nc_u32_e32 v89, 6, v87
	s_mul_i32 s24, s24, s30
	s_delay_alu instid0(VALU_DEP_1) | instskip(NEXT) | instid1(VALU_DEP_1)
	v_add_nc_u32_e32 v1, s12, v89
	v_cmp_gt_i32_e64 s4, s17, v1
	s_delay_alu instid0(VALU_DEP_1)
	s_and_saveexec_b32 s25, s4
	s_cbranch_execz .LBB58_30
; %bb.23:
	s_and_saveexec_b32 s26, s6
	s_cbranch_execz .LBB58_29
; %bb.24:
	v_mul_lo_u32 v1, v89, s23
	v_mov_b32_e32 v6, v80
	s_lshl_b32 s35, s22, 5
	s_mov_b32 s27, 0
	s_delay_alu instid0(VALU_DEP_2) | instskip(NEXT) | instid1(VALU_DEP_1)
	v_ashrrev_i32_e32 v2, 31, v1
	v_lshlrev_b64 v[4:5], 2, v[1:2]
	v_mul_lo_u32 v1, v80, s22
	s_delay_alu instid0(VALU_DEP_2) | instskip(NEXT) | instid1(VALU_DEP_1)
	v_add_co_u32 v4, s5, s14, v4
	v_add_co_ci_u32_e64 v5, s5, s31, v5, s5
	s_set_inst_prefetch_distance 0x1
	s_branch .LBB58_26
	.p2align	6
.LBB58_25:                              ;   in Loop: Header=BB58_26 Depth=1
	s_or_b32 exec_lo, exec_lo, s36
	v_add_nc_u32_e32 v6, 32, v6
	s_xor_b32 s5, s5, -1
	v_add_nc_u32_e32 v1, s35, v1
	s_delay_alu instid0(VALU_DEP_2) | instskip(NEXT) | instid1(VALU_DEP_1)
	v_cmp_le_i32_e64 s7, s18, v6
	s_or_b32 s5, s5, s7
	s_delay_alu instid0(SALU_CYCLE_1) | instskip(NEXT) | instid1(SALU_CYCLE_1)
	s_and_b32 s5, exec_lo, s5
	s_or_b32 s27, s5, s27
	s_delay_alu instid0(SALU_CYCLE_1)
	s_and_not1_b32 exec_lo, exec_lo, s27
	s_cbranch_execz .LBB58_28
.LBB58_26:                              ; =>This Inner Loop Header: Depth=1
	s_delay_alu instid0(VALU_DEP_3) | instskip(SKIP_1) | instid1(VALU_DEP_1)
	v_ashrrev_i32_e32 v2, 31, v1
	s_mov_b32 s36, exec_lo
	v_lshlrev_b64 v[7:8], 2, v[1:2]
	s_delay_alu instid0(VALU_DEP_1) | instskip(NEXT) | instid1(VALU_DEP_1)
	v_add_co_u32 v7, s5, v4, v7
	v_add_co_ci_u32_e64 v8, s5, v5, v8, s5
	global_load_b32 v2, v[7:8], off
	s_waitcnt vmcnt(0)
	v_cmp_ne_u32_e64 s5, s34, v2
	v_cmpx_eq_u32_e64 s34, v2
	s_cbranch_execz .LBB58_25
; %bb.27:                               ;   in Loop: Header=BB58_26 Depth=1
	v_mov_b32_e32 v3, 1
	ds_store_b32 v86, v6 offset:24
	s_branch .LBB58_25
.LBB58_28:
	s_set_inst_prefetch_distance 0x2
	s_or_b32 exec_lo, exec_lo, s27
.LBB58_29:
	s_delay_alu instid0(SALU_CYCLE_1)
	s_or_b32 exec_lo, exec_lo, s26
.LBB58_30:
	s_delay_alu instid0(SALU_CYCLE_1)
	s_or_b32 exec_lo, exec_lo, s25
	s_mul_hi_u32 s7, s30, s24
	s_and_saveexec_b32 s5, vcc_lo
	s_cbranch_execz .LBB58_32
; %bb.31:
	v_mov_b32_e32 v1, -1
	ds_store_b32 v86, v1 offset:36
.LBB58_32:
	s_or_b32 exec_lo, exec_lo, s5
	s_load_b128 s[24:27], s[0:1], 0x54
	v_add_nc_u32_e32 v90, 9, v87
	s_waitcnt lgkmcnt(0)
	s_abs_i32 s27, s15
	s_add_i32 s35, s30, s7
	s_delay_alu instid0(VALU_DEP_1) | instskip(NEXT) | instid1(VALU_DEP_1)
	v_add_nc_u32_e32 v1, s12, v90
	v_cmp_gt_i32_e64 s5, s17, v1
	s_delay_alu instid0(VALU_DEP_1)
	s_and_saveexec_b32 s7, s5
	s_cbranch_execz .LBB58_40
; %bb.33:
	s_and_saveexec_b32 s30, s6
	s_cbranch_execz .LBB58_39
; %bb.34:
	v_mul_lo_u32 v1, v90, s23
	v_mov_b32_e32 v6, v80
	s_delay_alu instid0(VALU_DEP_2) | instskip(NEXT) | instid1(VALU_DEP_1)
	v_ashrrev_i32_e32 v2, 31, v1
	v_lshlrev_b64 v[4:5], 2, v[1:2]
	v_mul_lo_u32 v1, v80, s22
	s_lshl_b32 s22, s22, 5
	s_delay_alu instid0(VALU_DEP_2) | instskip(NEXT) | instid1(VALU_DEP_3)
	v_add_co_u32 v4, vcc_lo, s14, v4
	v_add_co_ci_u32_e32 v5, vcc_lo, s31, v5, vcc_lo
	s_mov_b32 s14, 0
	s_set_inst_prefetch_distance 0x1
	s_branch .LBB58_36
	.p2align	6
.LBB58_35:                              ;   in Loop: Header=BB58_36 Depth=1
	s_or_b32 exec_lo, exec_lo, s23
	v_add_nc_u32_e32 v6, 32, v6
	s_xor_b32 s23, vcc_lo, -1
	v_add_nc_u32_e32 v1, s22, v1
	s_delay_alu instid0(VALU_DEP_2) | instskip(NEXT) | instid1(VALU_DEP_1)
	v_cmp_le_i32_e64 s6, s18, v6
	s_or_b32 s6, s23, s6
	s_delay_alu instid0(SALU_CYCLE_1) | instskip(NEXT) | instid1(SALU_CYCLE_1)
	s_and_b32 s6, exec_lo, s6
	s_or_b32 s14, s6, s14
	s_delay_alu instid0(SALU_CYCLE_1)
	s_and_not1_b32 exec_lo, exec_lo, s14
	s_cbranch_execz .LBB58_38
.LBB58_36:                              ; =>This Inner Loop Header: Depth=1
	s_delay_alu instid0(VALU_DEP_3) | instskip(SKIP_1) | instid1(VALU_DEP_1)
	v_ashrrev_i32_e32 v2, 31, v1
	s_mov_b32 s23, exec_lo
	v_lshlrev_b64 v[7:8], 2, v[1:2]
	s_delay_alu instid0(VALU_DEP_1) | instskip(NEXT) | instid1(VALU_DEP_2)
	v_add_co_u32 v7, vcc_lo, v4, v7
	v_add_co_ci_u32_e32 v8, vcc_lo, v5, v8, vcc_lo
	global_load_b32 v2, v[7:8], off
	s_waitcnt vmcnt(0)
	v_cmp_ne_u32_e32 vcc_lo, s34, v2
	v_cmpx_eq_u32_e64 s34, v2
	s_cbranch_execz .LBB58_35
; %bb.37:                               ;   in Loop: Header=BB58_36 Depth=1
	v_mov_b32_e32 v3, 1
	ds_store_b32 v86, v6 offset:36
	s_branch .LBB58_35
.LBB58_38:
	s_set_inst_prefetch_distance 0x2
	s_or_b32 exec_lo, exec_lo, s14
.LBB58_39:
	s_delay_alu instid0(SALU_CYCLE_1)
	s_or_b32 exec_lo, exec_lo, s30
.LBB58_40:
	s_delay_alu instid0(SALU_CYCLE_1)
	s_or_b32 exec_lo, exec_lo, s7
	v_cmp_ne_u32_e32 vcc_lo, 0, v3
	s_load_b64 s[22:23], s[28:29], 0xc
	s_clause 0x1
	s_load_b128 s[28:31], s[0:1], 0x0
	s_load_b64 s[6:7], s[0:1], 0x18
	v_cndmask_b32_e64 v1, 0, 1, vcc_lo
	s_delay_alu instid0(VALU_DEP_1) | instskip(NEXT) | instid1(VALU_DEP_1)
	v_or_b32_dpp v1, v1, v1 row_shl:1 row_mask:0xf bank_mask:0xf bound_ctrl:1
	v_or_b32_dpp v1, v1, v1 row_shl:2 row_mask:0xf bank_mask:0xf bound_ctrl:1
	s_delay_alu instid0(VALU_DEP_1)
	v_or_b32_dpp v1, v1, v1 row_shl:4 row_mask:0xf bank_mask:0xf bound_ctrl:1
	s_waitcnt lgkmcnt(0)
	s_lshr_b32 s14, s22, 16
	s_and_b32 s0, s22, 0xffff
	s_and_b32 s18, s23, 0xffff
	s_mul_i32 s1, s14, s0
	v_or_b32_dpp v1, v1, v1 row_shl:8 row_mask:0xf bank_mask:0xf bound_ctrl:1
	s_bfe_i32 s1, s1, 0x180000
	s_delay_alu instid0(SALU_CYCLE_1) | instskip(NEXT) | instid1(SALU_CYCLE_1)
	s_mul_i32 s1, s1, s18
	s_add_i32 s1, s1, 31
	s_delay_alu instid0(VALU_DEP_1) | instskip(SKIP_1) | instid1(SALU_CYCLE_1)
	v_mov_b32_dpp v1, v1 row_share:0 row_mask:0xf bank_mask:0xf bound_ctrl:1
	s_and_not1_b32 s1, s1, 31
	s_cmp_lg_u32 s1, 32
	s_mul_hi_u32 s1, s27, s35
	s_delay_alu instid0(VALU_DEP_1) | instskip(NEXT) | instid1(VALU_DEP_1)
	v_permlanex16_b32 v2, v1, 0, 0 op_sel:[0,1]
	v_or_b32_e32 v2, v2, v1
	s_cbranch_scc0 .LBB58_49
; %bb.41:
	v_bfe_u32 v0, v0, 20, 10
	s_delay_alu instid0(VALU_DEP_1) | instskip(NEXT) | instid1(VALU_DEP_1)
	v_mad_u32_u24 v3, v0, s14, v87
	v_mad_u64_u32 v[0:1], null, v3, s0, v[80:81]
	v_mbcnt_lo_u32_b32 v1, -1, 0
	s_mov_b32 s0, exec_lo
	s_delay_alu instid0(VALU_DEP_2) | instskip(NEXT) | instid1(VALU_DEP_1)
	v_lshrrev_b32_e32 v3, 5, v0
	v_or_b32_e32 v3, v1, v3
	s_delay_alu instid0(VALU_DEP_1)
	v_cmpx_eq_u32_e32 0, v3
	s_cbranch_execz .LBB58_43
; %bb.42:
	v_mov_b32_e32 v3, 0
	ds_store_b32 v3, v2
.LBB58_43:
	s_or_b32 exec_lo, exec_lo, s0
	v_cmp_eq_u32_e32 vcc_lo, 0, v1
	v_cmp_lt_u32_e64 s0, 31, v0
	s_mov_b32 s14, 0
	s_waitcnt lgkmcnt(0)
	s_barrier
	buffer_gl0_inv
	s_and_b32 s18, s0, vcc_lo
	s_delay_alu instid0(SALU_CYCLE_1)
	s_and_saveexec_b32 s0, s18
	s_cbranch_execz .LBB58_48
; %bb.44:
	s_mov_b32 s18, exec_lo
.LBB58_45:                              ; =>This Inner Loop Header: Depth=1
	s_delay_alu instid0(SALU_CYCLE_1) | instskip(NEXT) | instid1(SALU_CYCLE_1)
	s_ctz_i32_b32 s22, s18
	v_readlane_b32 s23, v2, s22
	s_lshl_b32 s22, 1, s22
	s_delay_alu instid0(SALU_CYCLE_1) | instskip(NEXT) | instid1(VALU_DEP_1)
	s_and_not1_b32 s18, s18, s22
	s_or_b32 s14, s14, s23
	s_cmp_lg_u32 s18, 0
	s_cbranch_scc1 .LBB58_45
; %bb.46:
	v_mbcnt_lo_u32_b32 v0, exec_lo, 0
	s_mov_b32 s18, exec_lo
	s_delay_alu instid0(VALU_DEP_1)
	v_cmpx_eq_u32_e32 0, v0
	s_xor_b32 s18, exec_lo, s18
	s_cbranch_execz .LBB58_48
; %bb.47:
	v_dual_mov_b32 v0, 0 :: v_dual_mov_b32 v1, s14
	ds_or_b32 v0, v1
.LBB58_48:
	s_or_b32 exec_lo, exec_lo, s0
	v_mov_b32_e32 v0, 0
	s_waitcnt lgkmcnt(0)
	s_barrier
	buffer_gl0_inv
	ds_load_b32 v2, v0
	s_waitcnt lgkmcnt(0)
	s_barrier
	buffer_gl0_inv
.LBB58_49:
	s_ashr_i32 s0, s15, 31
	s_ashr_i32 s18, s11, 31
	s_mov_b32 s11, exec_lo
	v_cmpx_ne_u32_e32 0, v2
	s_cbranch_execz .LBB58_192
; %bb.50:
	v_lshlrev_b32_e32 v91, 5, v87
	v_and_b32_e32 v92, 15, v80
	s_mov_b32 s14, exec_lo
                                        ; implicit-def: $sgpr11
	s_delay_alu instid0(VALU_DEP_2) | instskip(NEXT) | instid1(VALU_DEP_1)
	v_add_nc_u32_e32 v93, v91, v80
	v_cmpx_le_i32_e64 s16, v93
	s_xor_b32 s14, exec_lo, s14
; %bb.51:
	v_and_b32_e32 v92, 15, v80
	s_mov_b32 s11, 0
                                        ; implicit-def: $vgpr93
; %bb.52:
	s_or_saveexec_b32 s14, s14
	v_dual_mov_b32 v15, s11 :: v_dual_mov_b32 v14, s11
	v_dual_mov_b32 v13, s11 :: v_dual_mov_b32 v12, s11
	;; [unrolled: 1-line block ×8, first 2 shown]
	s_lshl_b32 s11, s13, 5
	s_xor_b32 exec_lo, exec_lo, s14
	s_cbranch_execz .LBB58_177
; %bb.53:
	s_mul_i32 s13, s1, s33
	s_xor_b32 s18, s0, s18
	s_sub_i32 s0, s27, s13
	s_add_i32 s13, s1, 1
	s_sub_i32 s22, s0, s33
	s_cmp_ge_u32 s0, s33
	s_mul_hi_i32 s37, s25, s15
	s_cselect_b32 s1, s13, s1
	s_cselect_b32 s0, s22, s0
	s_add_i32 s13, s1, 1
	s_cmp_ge_u32 s0, s33
	s_mul_i32 s22, s11, s19
	s_cselect_b32 s0, s13, s1
	s_mul_i32 s36, s25, s15
	s_xor_b32 s1, s0, s18
	s_mul_i32 s0, s34, s8
	s_sub_i32 s1, s1, s18
	v_dual_mov_b32 v95, 0 :: v_dual_lshlrev_b32 v2, 1, v80
	s_mul_hi_i32 s35, s1, s24
	s_mul_i32 s34, s1, s24
	s_ashr_i32 s1, s0, 31
	s_lshl_b64 s[42:43], s[34:35], 2
	v_lshl_add_u32 v81, v87, 6, v2
	s_add_u32 s8, s28, s42
	s_addc_u32 s13, s29, s43
	s_lshl_b64 s[44:45], s[0:1], 2
	s_mul_hi_i32 s1, s20, s12
	s_add_u32 s8, s8, s44
	s_addc_u32 s13, s13, s45
	s_ashr_i32 s23, s22, 31
	s_mul_i32 s0, s20, s12
	s_lshl_b64 s[46:47], s[22:23], 2
	v_dual_mov_b32 v97, 0x100 :: v_dual_lshlrev_b32 v2, 2, v93
	s_add_u32 s8, s8, s46
	s_addc_u32 s13, s13, s47
	s_lshl_b64 s[22:23], s[36:37], 2
	s_lshl_b64 s[0:1], s[0:1], 3
	s_add_u32 s18, s30, s22
	s_addc_u32 s22, s31, s23
	s_add_u32 s18, s18, s0
	s_addc_u32 s22, s22, s1
	s_cmp_lt_i32 s12, s17
	s_movk_i32 s1, 0x900
	s_cselect_b32 s23, -1, 0
	s_add_i32 s0, s12, 1
	v_mad_u32_u24 v1, v87, s1, 0x100
	s_cmp_lt_i32 s0, s17
	v_mul_u32_u24_e32 v0, 0x90, v92
	s_cselect_b32 s24, -1, 0
	s_add_i32 s0, s12, 2
	v_lshl_add_u32 v94, v80, 2, v1
	s_cmp_lt_i32 s0, s17
	v_dual_mov_b32 v1, v95 :: v_dual_add_nc_u32 v96, v1, v0
	s_cselect_b32 s25, -1, 0
	s_add_i32 s0, s12, 3
	s_lshl_b32 s27, s20, 2
	s_cmp_lt_i32 s0, s17
	v_dual_mov_b32 v0, 0 :: v_dual_mov_b32 v3, v95
	s_cselect_b32 s30, -1, 0
	s_add_i32 s0, s12, 4
	v_mov_b32_e32 v4, v95
	s_cmp_lt_i32 s0, s17
	v_dual_mov_b32 v5, v95 :: v_dual_mov_b32 v8, 0
	s_cselect_b32 s31, -1, 0
	s_add_i32 s0, s12, 5
	s_lshl_b32 s33, s20, 3
	s_cmp_lt_i32 s0, s17
	v_mov_b32_e32 v6, v95
	s_cselect_b32 s34, -1, 0
	s_add_i32 s0, s12, 6
	v_mov_b32_e32 v7, v95
	s_cmp_lt_i32 s0, s17
	v_mov_b32_e32 v9, v95
	s_cselect_b32 s35, -1, 0
	s_add_i32 s0, s12, 7
	v_mov_b32_e32 v10, v95
	;; [unrolled: 5-line block ×3, first 2 shown]
	s_cmp_lt_i32 s0, s17
	v_mov_b32_e32 v13, v95
	s_cselect_b32 s39, -1, 0
	s_add_i32 s0, s12, 9
	s_lshl_b32 s40, s20, 4
	s_cmp_lt_i32 s0, s17
	v_mov_b32_e32 v14, v95
	s_cselect_b32 s41, -1, 0
	s_add_i32 s0, s12, 10
	v_mov_b32_e32 v15, v95
	s_cmp_lt_i32 s0, s17
	s_mov_b32 s0, s19
	s_cselect_b32 s17, -1, 0
	s_ashr_i32 s1, s19, 31
	s_mul_i32 s37, s20, 6
	s_lshl_b64 s[0:1], s[0:1], 2
	s_add_u32 s42, s42, s46
	s_addc_u32 s43, s43, s47
	s_add_u32 s42, s42, s44
	s_addc_u32 s43, s43, s45
	;; [unrolled: 2-line block ×3, first 2 shown]
	v_add_co_u32 v82, s28, s28, v2
	s_delay_alu instid0(VALU_DEP_1)
	v_add_co_ci_u32_e64 v83, null, s29, 0, s28
	v_mov_b32_e32 v2, v95
	s_mul_i32 s38, s20, 10
	s_mul_i32 s28, s20, 20
	;; [unrolled: 1-line block ×5, first 2 shown]
	s_lshl_b32 s20, s20, 1
	s_lshl_b32 s44, s19, 1
	s_mul_i32 s45, s19, 3
	s_lshl_b32 s46, s19, 2
	s_mul_i32 s47, s19, 5
	s_mul_i32 s48, s19, 6
	;; [unrolled: 1-line block ×3, first 2 shown]
	s_lshl_b32 s50, s19, 3
	s_mul_i32 s51, s19, 9
	s_mul_i32 s52, s19, 10
	;; [unrolled: 1-line block ×7, first 2 shown]
	s_lshl_b32 s58, s19, 4
	s_mul_i32 s59, s19, 17
	s_mul_i32 s60, s19, 18
	;; [unrolled: 1-line block ×15, first 2 shown]
	s_mov_b32 s19, 0
	s_branch .LBB58_55
.LBB58_54:                              ;   in Loop: Header=BB58_55 Depth=1
	s_or_b32 exec_lo, exec_lo, s74
	s_delay_alu instid0(VALU_DEP_1)
	v_perm_b32 v84, v84, v98, 0x7060302
	v_add_nc_u32_e32 v85, 0x400, v94
	v_add_nc_u32_e32 v93, 0x60, v93
	v_add_co_u32 v82, vcc_lo, 0x180, v82
	ds_store_2addr_b32 v85, v84, v95 offset0:120 offset1:156
	ds_store_2addr_b32 v85, v95, v95 offset0:192 offset1:228
	v_add_nc_u32_e32 v84, 0x800, v94
	v_add_co_ci_u32_e32 v83, vcc_lo, 0, v83, vcc_lo
	v_cmp_le_i32_e32 vcc_lo, s16, v93
	v_add_nc_u32_e32 v81, 0xc0, v81
	ds_store_2addr_b32 v84, v95, v95 offset0:8 offset1:44
	ds_load_b128 v[98:101], v96 offset:64
	ds_load_b128 v[102:105], v96 offset:80
	;; [unrolled: 1-line block ×4, first 2 shown]
	s_or_b32 s19, vcc_lo, s19
	s_waitcnt lgkmcnt(2)
	v_wmma_f32_16x16x16_bf16 v[8:15], v[56:63], v[98:105], v[8:15]
	v_wmma_f32_16x16x16_bf16 v[0:7], v[72:79], v[98:105], v[0:7]
	s_waitcnt lgkmcnt(0)
	s_delay_alu instid0(VALU_DEP_2)
	v_wmma_f32_16x16x16_bf16 v[8:15], v[48:55], v[106:113], v[8:15]
	ds_load_b128 v[48:51], v96 offset:128
	ds_load_b128 v[52:55], v96 offset:144
	v_wmma_f32_16x16x16_bf16 v[0:7], v[64:71], v[106:113], v[0:7]
	s_waitcnt lgkmcnt(0)
	v_wmma_f32_16x16x16_bf16 v[8:15], v[32:39], v[48:55], v[8:15]
	ds_load_b128 v[32:35], v96 offset:160
	ds_load_b128 v[36:39], v96 offset:176
	v_wmma_f32_16x16x16_bf16 v[0:7], v[40:47], v[48:55], v[0:7]
	s_waitcnt lgkmcnt(0)
	v_wmma_f32_16x16x16_bf16 v[8:15], v[16:23], v[32:39], v[8:15]
	s_delay_alu instid0(VALU_DEP_2)
	v_wmma_f32_16x16x16_bf16 v[0:7], v[24:31], v[32:39], v[0:7]
	s_and_not1_b32 exec_lo, exec_lo, s19
	s_cbranch_execz .LBB58_176
.LBB58_55:                              ; =>This Inner Loop Header: Depth=1
	v_dual_mov_b32 v85, 0 :: v_dual_add_nc_u32 v16, s44, v93
	v_add_nc_u32_e32 v22, s46, v93
	v_add_nc_u32_e32 v18, s45, v93
	v_add_co_u32 v20, vcc_lo, v82, s0
	s_delay_alu instid0(VALU_DEP_4)
	v_ashrrev_i32_e32 v17, 31, v16
	v_add_co_ci_u32_e32 v21, vcc_lo, s1, v83, vcc_lo
	v_ashrrev_i32_e32 v23, 31, v22
	v_ashrrev_i32_e32 v19, 31, v18
	v_add_nc_u32_e32 v24, s47, v93
	v_lshlrev_b64 v[16:17], 2, v[16:17]
	s_clause 0x1
	global_load_b32 v38, v[82:83], off
	global_load_b32 v39, v[20:21], off
	v_lshlrev_b64 v[20:21], 2, v[22:23]
	v_add_nc_u32_e32 v22, s48, v93
	v_lshlrev_b64 v[18:19], 2, v[18:19]
	v_ashrrev_i32_e32 v25, 31, v24
	v_add_nc_u32_e32 v26, s49, v93
	v_add_co_u32 v16, vcc_lo, s8, v16
	v_ashrrev_i32_e32 v23, 31, v22
	v_add_co_ci_u32_e32 v17, vcc_lo, s13, v17, vcc_lo
	v_add_nc_u32_e32 v28, s50, v93
	v_add_co_u32 v18, vcc_lo, s8, v18
	v_lshlrev_b64 v[24:25], 2, v[24:25]
	v_ashrrev_i32_e32 v27, 31, v26
	v_add_co_ci_u32_e32 v19, vcc_lo, s13, v19, vcc_lo
	v_add_nc_u32_e32 v30, s51, v93
	v_add_co_u32 v20, vcc_lo, s8, v20
	v_lshlrev_b64 v[22:23], 2, v[22:23]
	v_ashrrev_i32_e32 v29, 31, v28
	v_add_co_ci_u32_e32 v21, vcc_lo, s13, v21, vcc_lo
	v_add_co_u32 v24, vcc_lo, s8, v24
	v_lshlrev_b64 v[26:27], 2, v[26:27]
	v_ashrrev_i32_e32 v31, 31, v30
	v_add_co_ci_u32_e32 v25, vcc_lo, s13, v25, vcc_lo
	v_add_co_u32 v22, vcc_lo, s8, v22
	v_lshlrev_b64 v[28:29], 2, v[28:29]
	v_add_co_ci_u32_e32 v23, vcc_lo, s13, v23, vcc_lo
	v_add_nc_u32_e32 v32, s52, v93
	v_add_co_u32 v26, vcc_lo, s8, v26
	v_lshlrev_b64 v[30:31], 2, v[30:31]
	v_add_co_ci_u32_e32 v27, vcc_lo, s13, v27, vcc_lo
	v_add_nc_u32_e32 v34, s53, v93
	v_add_co_u32 v28, vcc_lo, s8, v28
	v_ashrrev_i32_e32 v33, 31, v32
	v_add_co_ci_u32_e32 v29, vcc_lo, s13, v29, vcc_lo
	v_add_nc_u32_e32 v36, s54, v93
	v_add_co_u32 v30, vcc_lo, s8, v30
	v_ashrrev_i32_e32 v35, 31, v34
	v_add_co_ci_u32_e32 v31, vcc_lo, s13, v31, vcc_lo
	s_clause 0x7
	global_load_b32 v40, v[16:17], off
	global_load_b32 v41, v[18:19], off
	global_load_b32 v42, v[20:21], off
	global_load_b32 v43, v[24:25], off
	global_load_b32 v44, v[22:23], off
	global_load_b32 v45, v[26:27], off
	global_load_b32 v46, v[28:29], off
	global_load_b32 v47, v[30:31], off
	v_add_nc_u32_e32 v18, s55, v93
	v_lshlrev_b64 v[32:33], 2, v[32:33]
	v_ashrrev_i32_e32 v37, 31, v36
	v_add_nc_u32_e32 v24, s56, v93
	v_lshlrev_b64 v[16:17], 2, v[34:35]
	v_ashrrev_i32_e32 v19, 31, v18
	v_add_nc_u32_e32 v26, s57, v93
	v_add_co_u32 v20, vcc_lo, s8, v32
	v_lshlrev_b64 v[22:23], 2, v[36:37]
	v_ashrrev_i32_e32 v25, 31, v24
	v_add_co_ci_u32_e32 v21, vcc_lo, s13, v33, vcc_lo
	v_add_nc_u32_e32 v28, s58, v93
	v_add_co_u32 v16, vcc_lo, s8, v16
	v_lshlrev_b64 v[18:19], 2, v[18:19]
	v_ashrrev_i32_e32 v27, 31, v26
	v_add_co_ci_u32_e32 v17, vcc_lo, s13, v17, vcc_lo
	v_add_nc_u32_e32 v30, s59, v93
	v_add_co_u32 v22, vcc_lo, s8, v22
	v_lshlrev_b64 v[24:25], 2, v[24:25]
	v_ashrrev_i32_e32 v29, 31, v28
	v_add_co_ci_u32_e32 v23, vcc_lo, s13, v23, vcc_lo
	v_add_co_u32 v18, vcc_lo, s8, v18
	v_lshlrev_b64 v[26:27], 2, v[26:27]
	v_ashrrev_i32_e32 v31, 31, v30
	v_add_co_ci_u32_e32 v19, vcc_lo, s13, v19, vcc_lo
	v_add_co_u32 v24, vcc_lo, s8, v24
	v_lshlrev_b64 v[28:29], 2, v[28:29]
	v_add_co_ci_u32_e32 v25, vcc_lo, s13, v25, vcc_lo
	v_add_nc_u32_e32 v32, s60, v93
	v_add_co_u32 v26, vcc_lo, s8, v26
	v_lshlrev_b64 v[30:31], 2, v[30:31]
	v_add_co_ci_u32_e32 v27, vcc_lo, s13, v27, vcc_lo
	v_add_nc_u32_e32 v34, s61, v93
	v_add_co_u32 v28, vcc_lo, s8, v28
	v_ashrrev_i32_e32 v33, 31, v32
	v_add_co_ci_u32_e32 v29, vcc_lo, s13, v29, vcc_lo
	v_add_nc_u32_e32 v36, s62, v93
	v_add_co_u32 v30, vcc_lo, s8, v30
	v_ashrrev_i32_e32 v35, 31, v34
	v_add_co_ci_u32_e32 v31, vcc_lo, s13, v31, vcc_lo
	s_clause 0x7
	global_load_b32 v48, v[20:21], off
	global_load_b32 v49, v[16:17], off
	global_load_b32 v50, v[22:23], off
	global_load_b32 v51, v[18:19], off
	global_load_b32 v52, v[24:25], off
	global_load_b32 v53, v[26:27], off
	global_load_b32 v64, v[28:29], off
	global_load_b32 v65, v[30:31], off
	v_add_nc_u32_e32 v18, s63, v93
	v_lshlrev_b64 v[32:33], 2, v[32:33]
	v_ashrrev_i32_e32 v37, 31, v36
	v_add_nc_u32_e32 v24, s64, v93
	v_lshlrev_b64 v[16:17], 2, v[34:35]
	v_ashrrev_i32_e32 v19, 31, v18
	v_add_nc_u32_e32 v26, s65, v93
	v_add_co_u32 v20, vcc_lo, s8, v32
	v_lshlrev_b64 v[22:23], 2, v[36:37]
	;; [unrolled: 49-line block ×3, first 2 shown]
	v_ashrrev_i32_e32 v25, 31, v24
	v_add_co_ci_u32_e32 v21, vcc_lo, s13, v33, vcc_lo
	v_add_co_u32 v16, vcc_lo, s8, v16
	v_lshlrev_b64 v[18:19], 2, v[18:19]
	v_ashrrev_i32_e32 v27, 31, v26
	v_add_co_ci_u32_e32 v17, vcc_lo, s13, v17, vcc_lo
	v_add_co_u32 v22, vcc_lo, s8, v22
	v_lshlrev_b64 v[24:25], 2, v[24:25]
	v_add_co_ci_u32_e32 v23, vcc_lo, s13, v23, vcc_lo
	v_add_co_u32 v18, vcc_lo, s8, v18
	v_lshlrev_b64 v[26:27], 2, v[26:27]
	v_add_co_ci_u32_e32 v19, vcc_lo, s13, v19, vcc_lo
	v_add_co_u32 v24, vcc_lo, s8, v24
	v_add_co_ci_u32_e32 v25, vcc_lo, s13, v25, vcc_lo
	s_delay_alu instid0(VALU_DEP_4)
	v_add_co_u32 v26, vcc_lo, s8, v26
	v_add_co_ci_u32_e32 v27, vcc_lo, s13, v27, vcc_lo
	s_clause 0x5
	global_load_b32 v30, v[20:21], off
	global_load_b32 v31, v[16:17], off
	;; [unrolled: 1-line block ×6, first 2 shown]
	v_mov_b32_e32 v84, 0
	s_and_not1_b32 vcc_lo, exec_lo, s23
	s_waitcnt vmcnt(31)
	ds_store_b32 v94, v38 offset:64
	s_waitcnt vmcnt(30)
	ds_store_b32 v94, v39 offset:208
	;; [unrolled: 2-line block ×16, first 2 shown]
	ds_load_b128 v[56:59], v96 offset:64
	ds_load_b128 v[60:63], v96 offset:80
	;; [unrolled: 1-line block ×8, first 2 shown]
	s_waitcnt vmcnt(15)
	ds_store_b32 v94, v64 offset:64
	s_waitcnt vmcnt(14)
	ds_store_b32 v94, v65 offset:208
	;; [unrolled: 2-line block ×16, first 2 shown]
	ds_load_b128 v[72:75], v96 offset:64
	ds_load_b128 v[76:79], v96 offset:80
	;; [unrolled: 1-line block ×8, first 2 shown]
	s_cbranch_vccnz .LBB58_58
; %bb.56:                               ;   in Loop: Header=BB58_55 Depth=1
	ds_load_b32 v98, v97
	v_dual_mov_b32 v84, 0 :: v_dual_mov_b32 v85, 0
	s_waitcnt lgkmcnt(0)
	v_cmp_gt_i32_e32 vcc_lo, 0, v98
	s_cbranch_vccnz .LBB58_58
; %bb.57:                               ;   in Loop: Header=BB58_55 Depth=1
	v_mad_u64_u32 v[84:85], null, v98, s9, v[81:82]
	s_delay_alu instid0(VALU_DEP_1) | instskip(NEXT) | instid1(VALU_DEP_1)
	v_ashrrev_i32_e32 v85, 31, v84
	v_lshlrev_b64 v[84:85], 2, v[84:85]
	s_delay_alu instid0(VALU_DEP_1) | instskip(NEXT) | instid1(VALU_DEP_2)
	v_add_co_u32 v84, vcc_lo, s18, v84
	v_add_co_ci_u32_e32 v85, vcc_lo, s22, v85, vcc_lo
	global_load_b64 v[84:85], v[84:85], off
.LBB58_58:                              ;   in Loop: Header=BB58_55 Depth=1
	s_waitcnt vmcnt(0)
	v_and_b32_e32 v98, 0x7f800000, v84
	s_delay_alu instid0(VALU_DEP_1) | instskip(SKIP_1) | instid1(SALU_CYCLE_1)
	v_cmp_ne_u32_e32 vcc_lo, 0x7f800000, v98
                                        ; implicit-def: $vgpr98
	s_and_saveexec_b32 s74, vcc_lo
	s_xor_b32 s74, exec_lo, s74
; %bb.59:                               ;   in Loop: Header=BB58_55 Depth=1
	v_bfe_u32 v98, v84, 16, 1
	s_delay_alu instid0(VALU_DEP_1)
	v_add3_u32 v98, v84, v98, 0x7fff
; %bb.60:                               ;   in Loop: Header=BB58_55 Depth=1
	s_and_not1_saveexec_b32 s74, s74
; %bb.61:                               ;   in Loop: Header=BB58_55 Depth=1
	v_and_b32_e32 v98, 0xffff, v84
	v_or_b32_e32 v99, 0x10000, v84
	s_delay_alu instid0(VALU_DEP_2) | instskip(NEXT) | instid1(VALU_DEP_2)
	v_cmp_eq_u32_e32 vcc_lo, 0, v98
	v_cndmask_b32_e32 v98, v99, v84, vcc_lo
; %bb.62:                               ;   in Loop: Header=BB58_55 Depth=1
	s_or_b32 exec_lo, exec_lo, s74
	v_and_b32_e32 v84, 0x7f800000, v85
	s_delay_alu instid0(VALU_DEP_1) | instskip(SKIP_1) | instid1(SALU_CYCLE_1)
	v_cmp_ne_u32_e32 vcc_lo, 0x7f800000, v84
                                        ; implicit-def: $vgpr84
	s_and_saveexec_b32 s74, vcc_lo
	s_xor_b32 s74, exec_lo, s74
; %bb.63:                               ;   in Loop: Header=BB58_55 Depth=1
	v_bfe_u32 v84, v85, 16, 1
	s_delay_alu instid0(VALU_DEP_1)
	v_add3_u32 v84, v85, v84, 0x7fff
                                        ; implicit-def: $vgpr85
; %bb.64:                               ;   in Loop: Header=BB58_55 Depth=1
	s_and_not1_saveexec_b32 s74, s74
; %bb.65:                               ;   in Loop: Header=BB58_55 Depth=1
	v_and_b32_e32 v84, 0xffff, v85
	v_or_b32_e32 v99, 0x10000, v85
	s_delay_alu instid0(VALU_DEP_2) | instskip(NEXT) | instid1(VALU_DEP_2)
	v_cmp_eq_u32_e32 vcc_lo, 0, v84
	v_cndmask_b32_e32 v84, v99, v85, vcc_lo
; %bb.66:                               ;   in Loop: Header=BB58_55 Depth=1
	s_or_b32 exec_lo, exec_lo, s74
	s_delay_alu instid0(VALU_DEP_1)
	v_perm_b32 v98, v84, v98, 0x7060302
	v_dual_mov_b32 v85, 0 :: v_dual_mov_b32 v84, 0
	s_and_not1_b32 vcc_lo, exec_lo, s24
	ds_store_b32 v94, v98 offset:64
	s_cbranch_vccnz .LBB58_69
; %bb.67:                               ;   in Loop: Header=BB58_55 Depth=1
	ds_load_b32 v98, v97 offset:4
	v_dual_mov_b32 v84, 0 :: v_dual_mov_b32 v85, 0
	s_waitcnt lgkmcnt(0)
	v_cmp_gt_i32_e32 vcc_lo, 0, v98
	s_cbranch_vccnz .LBB58_69
; %bb.68:                               ;   in Loop: Header=BB58_55 Depth=1
	v_mul_lo_u32 v84, v98, s9
	s_delay_alu instid0(VALU_DEP_1) | instskip(NEXT) | instid1(VALU_DEP_1)
	v_add3_u32 v84, v84, s20, v81
	v_ashrrev_i32_e32 v85, 31, v84
	s_delay_alu instid0(VALU_DEP_1) | instskip(NEXT) | instid1(VALU_DEP_1)
	v_lshlrev_b64 v[84:85], 2, v[84:85]
	v_add_co_u32 v84, vcc_lo, s18, v84
	s_delay_alu instid0(VALU_DEP_2)
	v_add_co_ci_u32_e32 v85, vcc_lo, s22, v85, vcc_lo
	global_load_b64 v[84:85], v[84:85], off
.LBB58_69:                              ;   in Loop: Header=BB58_55 Depth=1
	s_waitcnt vmcnt(0)
	v_and_b32_e32 v98, 0x7f800000, v84
	s_delay_alu instid0(VALU_DEP_1) | instskip(SKIP_1) | instid1(SALU_CYCLE_1)
	v_cmp_ne_u32_e32 vcc_lo, 0x7f800000, v98
                                        ; implicit-def: $vgpr98
	s_and_saveexec_b32 s74, vcc_lo
	s_xor_b32 s74, exec_lo, s74
; %bb.70:                               ;   in Loop: Header=BB58_55 Depth=1
	v_bfe_u32 v98, v84, 16, 1
	s_delay_alu instid0(VALU_DEP_1)
	v_add3_u32 v98, v84, v98, 0x7fff
; %bb.71:                               ;   in Loop: Header=BB58_55 Depth=1
	s_and_not1_saveexec_b32 s74, s74
; %bb.72:                               ;   in Loop: Header=BB58_55 Depth=1
	v_and_b32_e32 v98, 0xffff, v84
	v_or_b32_e32 v99, 0x10000, v84
	s_delay_alu instid0(VALU_DEP_2) | instskip(NEXT) | instid1(VALU_DEP_2)
	v_cmp_eq_u32_e32 vcc_lo, 0, v98
	v_cndmask_b32_e32 v98, v99, v84, vcc_lo
; %bb.73:                               ;   in Loop: Header=BB58_55 Depth=1
	s_or_b32 exec_lo, exec_lo, s74
	v_and_b32_e32 v84, 0x7f800000, v85
	s_delay_alu instid0(VALU_DEP_1) | instskip(SKIP_1) | instid1(SALU_CYCLE_1)
	v_cmp_ne_u32_e32 vcc_lo, 0x7f800000, v84
                                        ; implicit-def: $vgpr84
	s_and_saveexec_b32 s74, vcc_lo
	s_xor_b32 s74, exec_lo, s74
; %bb.74:                               ;   in Loop: Header=BB58_55 Depth=1
	v_bfe_u32 v84, v85, 16, 1
	s_delay_alu instid0(VALU_DEP_1)
	v_add3_u32 v84, v85, v84, 0x7fff
                                        ; implicit-def: $vgpr85
; %bb.75:                               ;   in Loop: Header=BB58_55 Depth=1
	s_and_not1_saveexec_b32 s74, s74
; %bb.76:                               ;   in Loop: Header=BB58_55 Depth=1
	v_and_b32_e32 v84, 0xffff, v85
	v_or_b32_e32 v99, 0x10000, v85
	s_delay_alu instid0(VALU_DEP_2) | instskip(NEXT) | instid1(VALU_DEP_2)
	v_cmp_eq_u32_e32 vcc_lo, 0, v84
	v_cndmask_b32_e32 v84, v99, v85, vcc_lo
; %bb.77:                               ;   in Loop: Header=BB58_55 Depth=1
	s_or_b32 exec_lo, exec_lo, s74
	s_delay_alu instid0(VALU_DEP_1)
	v_perm_b32 v98, v84, v98, 0x7060302
	v_dual_mov_b32 v85, 0 :: v_dual_mov_b32 v84, 0
	s_and_not1_b32 vcc_lo, exec_lo, s25
	ds_store_b32 v94, v98 offset:208
	s_cbranch_vccnz .LBB58_80
; %bb.78:                               ;   in Loop: Header=BB58_55 Depth=1
	ds_load_b32 v98, v97 offset:8
	v_dual_mov_b32 v84, 0 :: v_dual_mov_b32 v85, 0
	s_waitcnt lgkmcnt(0)
	v_cmp_gt_i32_e32 vcc_lo, 0, v98
	s_cbranch_vccnz .LBB58_80
; %bb.79:                               ;   in Loop: Header=BB58_55 Depth=1
	v_mul_lo_u32 v84, v98, s9
	s_delay_alu instid0(VALU_DEP_1) | instskip(NEXT) | instid1(VALU_DEP_1)
	v_add3_u32 v84, v84, s27, v81
	v_ashrrev_i32_e32 v85, 31, v84
	s_delay_alu instid0(VALU_DEP_1) | instskip(NEXT) | instid1(VALU_DEP_1)
	v_lshlrev_b64 v[84:85], 2, v[84:85]
	v_add_co_u32 v84, vcc_lo, s18, v84
	s_delay_alu instid0(VALU_DEP_2)
	v_add_co_ci_u32_e32 v85, vcc_lo, s22, v85, vcc_lo
	global_load_b64 v[84:85], v[84:85], off
.LBB58_80:                              ;   in Loop: Header=BB58_55 Depth=1
	s_waitcnt vmcnt(0)
	v_and_b32_e32 v98, 0x7f800000, v84
	s_delay_alu instid0(VALU_DEP_1) | instskip(SKIP_1) | instid1(SALU_CYCLE_1)
	v_cmp_ne_u32_e32 vcc_lo, 0x7f800000, v98
                                        ; implicit-def: $vgpr98
	s_and_saveexec_b32 s74, vcc_lo
	s_xor_b32 s74, exec_lo, s74
; %bb.81:                               ;   in Loop: Header=BB58_55 Depth=1
	v_bfe_u32 v98, v84, 16, 1
	s_delay_alu instid0(VALU_DEP_1)
	v_add3_u32 v98, v84, v98, 0x7fff
; %bb.82:                               ;   in Loop: Header=BB58_55 Depth=1
	s_and_not1_saveexec_b32 s74, s74
; %bb.83:                               ;   in Loop: Header=BB58_55 Depth=1
	v_and_b32_e32 v98, 0xffff, v84
	v_or_b32_e32 v99, 0x10000, v84
	s_delay_alu instid0(VALU_DEP_2) | instskip(NEXT) | instid1(VALU_DEP_2)
	v_cmp_eq_u32_e32 vcc_lo, 0, v98
	v_cndmask_b32_e32 v98, v99, v84, vcc_lo
; %bb.84:                               ;   in Loop: Header=BB58_55 Depth=1
	s_or_b32 exec_lo, exec_lo, s74
	v_and_b32_e32 v84, 0x7f800000, v85
	s_delay_alu instid0(VALU_DEP_1) | instskip(SKIP_1) | instid1(SALU_CYCLE_1)
	v_cmp_ne_u32_e32 vcc_lo, 0x7f800000, v84
                                        ; implicit-def: $vgpr84
	s_and_saveexec_b32 s74, vcc_lo
	s_xor_b32 s74, exec_lo, s74
; %bb.85:                               ;   in Loop: Header=BB58_55 Depth=1
	v_bfe_u32 v84, v85, 16, 1
	s_delay_alu instid0(VALU_DEP_1)
	v_add3_u32 v84, v85, v84, 0x7fff
                                        ; implicit-def: $vgpr85
; %bb.86:                               ;   in Loop: Header=BB58_55 Depth=1
	s_and_not1_saveexec_b32 s74, s74
; %bb.87:                               ;   in Loop: Header=BB58_55 Depth=1
	v_and_b32_e32 v84, 0xffff, v85
	v_or_b32_e32 v99, 0x10000, v85
	s_delay_alu instid0(VALU_DEP_2) | instskip(NEXT) | instid1(VALU_DEP_2)
	v_cmp_eq_u32_e32 vcc_lo, 0, v84
	v_cndmask_b32_e32 v84, v99, v85, vcc_lo
; %bb.88:                               ;   in Loop: Header=BB58_55 Depth=1
	s_or_b32 exec_lo, exec_lo, s74
	s_delay_alu instid0(VALU_DEP_1)
	v_perm_b32 v98, v84, v98, 0x7060302
	v_dual_mov_b32 v85, 0 :: v_dual_mov_b32 v84, 0
	s_and_not1_b32 vcc_lo, exec_lo, s30
	ds_store_b32 v94, v98 offset:352
	s_cbranch_vccnz .LBB58_91
; %bb.89:                               ;   in Loop: Header=BB58_55 Depth=1
	ds_load_b32 v98, v97 offset:12
	v_dual_mov_b32 v84, 0 :: v_dual_mov_b32 v85, 0
	s_waitcnt lgkmcnt(0)
	v_cmp_gt_i32_e32 vcc_lo, 0, v98
	s_cbranch_vccnz .LBB58_91
; %bb.90:                               ;   in Loop: Header=BB58_55 Depth=1
	v_mul_lo_u32 v84, v98, s9
	s_delay_alu instid0(VALU_DEP_1) | instskip(NEXT) | instid1(VALU_DEP_1)
	v_add3_u32 v84, v84, s37, v81
	v_ashrrev_i32_e32 v85, 31, v84
	s_delay_alu instid0(VALU_DEP_1) | instskip(NEXT) | instid1(VALU_DEP_1)
	v_lshlrev_b64 v[84:85], 2, v[84:85]
	v_add_co_u32 v84, vcc_lo, s18, v84
	s_delay_alu instid0(VALU_DEP_2)
	v_add_co_ci_u32_e32 v85, vcc_lo, s22, v85, vcc_lo
	global_load_b64 v[84:85], v[84:85], off
.LBB58_91:                              ;   in Loop: Header=BB58_55 Depth=1
	s_waitcnt vmcnt(0)
	v_and_b32_e32 v98, 0x7f800000, v84
	s_delay_alu instid0(VALU_DEP_1) | instskip(SKIP_1) | instid1(SALU_CYCLE_1)
	v_cmp_ne_u32_e32 vcc_lo, 0x7f800000, v98
                                        ; implicit-def: $vgpr98
	s_and_saveexec_b32 s74, vcc_lo
	s_xor_b32 s74, exec_lo, s74
; %bb.92:                               ;   in Loop: Header=BB58_55 Depth=1
	v_bfe_u32 v98, v84, 16, 1
	s_delay_alu instid0(VALU_DEP_1)
	v_add3_u32 v98, v84, v98, 0x7fff
; %bb.93:                               ;   in Loop: Header=BB58_55 Depth=1
	s_and_not1_saveexec_b32 s74, s74
; %bb.94:                               ;   in Loop: Header=BB58_55 Depth=1
	v_and_b32_e32 v98, 0xffff, v84
	v_or_b32_e32 v99, 0x10000, v84
	s_delay_alu instid0(VALU_DEP_2) | instskip(NEXT) | instid1(VALU_DEP_2)
	v_cmp_eq_u32_e32 vcc_lo, 0, v98
	v_cndmask_b32_e32 v98, v99, v84, vcc_lo
; %bb.95:                               ;   in Loop: Header=BB58_55 Depth=1
	s_or_b32 exec_lo, exec_lo, s74
	v_and_b32_e32 v84, 0x7f800000, v85
	s_delay_alu instid0(VALU_DEP_1) | instskip(SKIP_1) | instid1(SALU_CYCLE_1)
	v_cmp_ne_u32_e32 vcc_lo, 0x7f800000, v84
                                        ; implicit-def: $vgpr84
	s_and_saveexec_b32 s74, vcc_lo
	s_xor_b32 s74, exec_lo, s74
; %bb.96:                               ;   in Loop: Header=BB58_55 Depth=1
	v_bfe_u32 v84, v85, 16, 1
	s_delay_alu instid0(VALU_DEP_1)
	v_add3_u32 v84, v85, v84, 0x7fff
                                        ; implicit-def: $vgpr85
; %bb.97:                               ;   in Loop: Header=BB58_55 Depth=1
	s_and_not1_saveexec_b32 s74, s74
; %bb.98:                               ;   in Loop: Header=BB58_55 Depth=1
	v_and_b32_e32 v84, 0xffff, v85
	v_or_b32_e32 v99, 0x10000, v85
	s_delay_alu instid0(VALU_DEP_2) | instskip(NEXT) | instid1(VALU_DEP_2)
	v_cmp_eq_u32_e32 vcc_lo, 0, v84
	v_cndmask_b32_e32 v84, v99, v85, vcc_lo
; %bb.99:                               ;   in Loop: Header=BB58_55 Depth=1
	s_or_b32 exec_lo, exec_lo, s74
	s_delay_alu instid0(VALU_DEP_1)
	v_perm_b32 v98, v84, v98, 0x7060302
	v_dual_mov_b32 v85, 0 :: v_dual_mov_b32 v84, 0
	s_and_not1_b32 vcc_lo, exec_lo, s31
	ds_store_b32 v94, v98 offset:496
	s_cbranch_vccnz .LBB58_102
; %bb.100:                              ;   in Loop: Header=BB58_55 Depth=1
	ds_load_b32 v98, v97 offset:16
	v_dual_mov_b32 v84, 0 :: v_dual_mov_b32 v85, 0
	s_waitcnt lgkmcnt(0)
	v_cmp_gt_i32_e32 vcc_lo, 0, v98
	s_cbranch_vccnz .LBB58_102
; %bb.101:                              ;   in Loop: Header=BB58_55 Depth=1
	v_mul_lo_u32 v84, v98, s9
	s_delay_alu instid0(VALU_DEP_1) | instskip(NEXT) | instid1(VALU_DEP_1)
	v_add3_u32 v84, v84, s33, v81
	v_ashrrev_i32_e32 v85, 31, v84
	s_delay_alu instid0(VALU_DEP_1) | instskip(NEXT) | instid1(VALU_DEP_1)
	v_lshlrev_b64 v[84:85], 2, v[84:85]
	v_add_co_u32 v84, vcc_lo, s18, v84
	s_delay_alu instid0(VALU_DEP_2)
	v_add_co_ci_u32_e32 v85, vcc_lo, s22, v85, vcc_lo
	global_load_b64 v[84:85], v[84:85], off
.LBB58_102:                             ;   in Loop: Header=BB58_55 Depth=1
	s_waitcnt vmcnt(0)
	v_and_b32_e32 v98, 0x7f800000, v84
	s_delay_alu instid0(VALU_DEP_1) | instskip(SKIP_1) | instid1(SALU_CYCLE_1)
	v_cmp_ne_u32_e32 vcc_lo, 0x7f800000, v98
                                        ; implicit-def: $vgpr98
	s_and_saveexec_b32 s74, vcc_lo
	s_xor_b32 s74, exec_lo, s74
; %bb.103:                              ;   in Loop: Header=BB58_55 Depth=1
	v_bfe_u32 v98, v84, 16, 1
	s_delay_alu instid0(VALU_DEP_1)
	v_add3_u32 v98, v84, v98, 0x7fff
; %bb.104:                              ;   in Loop: Header=BB58_55 Depth=1
	s_and_not1_saveexec_b32 s74, s74
; %bb.105:                              ;   in Loop: Header=BB58_55 Depth=1
	v_and_b32_e32 v98, 0xffff, v84
	v_or_b32_e32 v99, 0x10000, v84
	s_delay_alu instid0(VALU_DEP_2) | instskip(NEXT) | instid1(VALU_DEP_2)
	v_cmp_eq_u32_e32 vcc_lo, 0, v98
	v_cndmask_b32_e32 v98, v99, v84, vcc_lo
; %bb.106:                              ;   in Loop: Header=BB58_55 Depth=1
	s_or_b32 exec_lo, exec_lo, s74
	v_and_b32_e32 v84, 0x7f800000, v85
	s_delay_alu instid0(VALU_DEP_1) | instskip(SKIP_1) | instid1(SALU_CYCLE_1)
	v_cmp_ne_u32_e32 vcc_lo, 0x7f800000, v84
                                        ; implicit-def: $vgpr84
	s_and_saveexec_b32 s74, vcc_lo
	s_xor_b32 s74, exec_lo, s74
; %bb.107:                              ;   in Loop: Header=BB58_55 Depth=1
	v_bfe_u32 v84, v85, 16, 1
	s_delay_alu instid0(VALU_DEP_1)
	v_add3_u32 v84, v85, v84, 0x7fff
                                        ; implicit-def: $vgpr85
; %bb.108:                              ;   in Loop: Header=BB58_55 Depth=1
	s_and_not1_saveexec_b32 s74, s74
; %bb.109:                              ;   in Loop: Header=BB58_55 Depth=1
	v_and_b32_e32 v84, 0xffff, v85
	v_or_b32_e32 v99, 0x10000, v85
	s_delay_alu instid0(VALU_DEP_2) | instskip(NEXT) | instid1(VALU_DEP_2)
	v_cmp_eq_u32_e32 vcc_lo, 0, v84
	v_cndmask_b32_e32 v84, v99, v85, vcc_lo
; %bb.110:                              ;   in Loop: Header=BB58_55 Depth=1
	s_or_b32 exec_lo, exec_lo, s74
	s_delay_alu instid0(VALU_DEP_1)
	v_perm_b32 v98, v84, v98, 0x7060302
	v_dual_mov_b32 v85, 0 :: v_dual_mov_b32 v84, 0
	s_and_not1_b32 vcc_lo, exec_lo, s34
	ds_store_b32 v94, v98 offset:640
	s_cbranch_vccnz .LBB58_113
; %bb.111:                              ;   in Loop: Header=BB58_55 Depth=1
	ds_load_b32 v98, v97 offset:20
	v_dual_mov_b32 v84, 0 :: v_dual_mov_b32 v85, 0
	s_waitcnt lgkmcnt(0)
	v_cmp_gt_i32_e32 vcc_lo, 0, v98
	s_cbranch_vccnz .LBB58_113
; %bb.112:                              ;   in Loop: Header=BB58_55 Depth=1
	v_mul_lo_u32 v84, v98, s9
	s_delay_alu instid0(VALU_DEP_1) | instskip(NEXT) | instid1(VALU_DEP_1)
	v_add3_u32 v84, v84, s38, v81
	v_ashrrev_i32_e32 v85, 31, v84
	s_delay_alu instid0(VALU_DEP_1) | instskip(NEXT) | instid1(VALU_DEP_1)
	v_lshlrev_b64 v[84:85], 2, v[84:85]
	v_add_co_u32 v84, vcc_lo, s18, v84
	s_delay_alu instid0(VALU_DEP_2)
	v_add_co_ci_u32_e32 v85, vcc_lo, s22, v85, vcc_lo
	global_load_b64 v[84:85], v[84:85], off
.LBB58_113:                             ;   in Loop: Header=BB58_55 Depth=1
	s_waitcnt vmcnt(0)
	v_and_b32_e32 v98, 0x7f800000, v84
	s_delay_alu instid0(VALU_DEP_1) | instskip(SKIP_1) | instid1(SALU_CYCLE_1)
	v_cmp_ne_u32_e32 vcc_lo, 0x7f800000, v98
                                        ; implicit-def: $vgpr98
	s_and_saveexec_b32 s74, vcc_lo
	s_xor_b32 s74, exec_lo, s74
; %bb.114:                              ;   in Loop: Header=BB58_55 Depth=1
	v_bfe_u32 v98, v84, 16, 1
	s_delay_alu instid0(VALU_DEP_1)
	v_add3_u32 v98, v84, v98, 0x7fff
; %bb.115:                              ;   in Loop: Header=BB58_55 Depth=1
	s_and_not1_saveexec_b32 s74, s74
; %bb.116:                              ;   in Loop: Header=BB58_55 Depth=1
	v_and_b32_e32 v98, 0xffff, v84
	v_or_b32_e32 v99, 0x10000, v84
	s_delay_alu instid0(VALU_DEP_2) | instskip(NEXT) | instid1(VALU_DEP_2)
	v_cmp_eq_u32_e32 vcc_lo, 0, v98
	v_cndmask_b32_e32 v98, v99, v84, vcc_lo
; %bb.117:                              ;   in Loop: Header=BB58_55 Depth=1
	s_or_b32 exec_lo, exec_lo, s74
	v_and_b32_e32 v84, 0x7f800000, v85
	s_delay_alu instid0(VALU_DEP_1) | instskip(SKIP_1) | instid1(SALU_CYCLE_1)
	v_cmp_ne_u32_e32 vcc_lo, 0x7f800000, v84
                                        ; implicit-def: $vgpr84
	s_and_saveexec_b32 s74, vcc_lo
	s_xor_b32 s74, exec_lo, s74
; %bb.118:                              ;   in Loop: Header=BB58_55 Depth=1
	v_bfe_u32 v84, v85, 16, 1
	s_delay_alu instid0(VALU_DEP_1)
	v_add3_u32 v84, v85, v84, 0x7fff
                                        ; implicit-def: $vgpr85
; %bb.119:                              ;   in Loop: Header=BB58_55 Depth=1
	s_and_not1_saveexec_b32 s74, s74
; %bb.120:                              ;   in Loop: Header=BB58_55 Depth=1
	v_and_b32_e32 v84, 0xffff, v85
	v_or_b32_e32 v99, 0x10000, v85
	s_delay_alu instid0(VALU_DEP_2) | instskip(NEXT) | instid1(VALU_DEP_2)
	v_cmp_eq_u32_e32 vcc_lo, 0, v84
	v_cndmask_b32_e32 v84, v99, v85, vcc_lo
; %bb.121:                              ;   in Loop: Header=BB58_55 Depth=1
	s_or_b32 exec_lo, exec_lo, s74
	s_delay_alu instid0(VALU_DEP_1)
	v_perm_b32 v98, v84, v98, 0x7060302
	v_dual_mov_b32 v85, 0 :: v_dual_mov_b32 v84, 0
	s_and_not1_b32 vcc_lo, exec_lo, s35
	ds_store_b32 v94, v98 offset:784
	s_cbranch_vccnz .LBB58_124
; %bb.122:                              ;   in Loop: Header=BB58_55 Depth=1
	ds_load_b32 v98, v97 offset:24
	v_dual_mov_b32 v84, 0 :: v_dual_mov_b32 v85, 0
	s_waitcnt lgkmcnt(0)
	v_cmp_gt_i32_e32 vcc_lo, 0, v98
	s_cbranch_vccnz .LBB58_124
; %bb.123:                              ;   in Loop: Header=BB58_55 Depth=1
	v_mul_lo_u32 v84, v98, s9
	s_delay_alu instid0(VALU_DEP_1) | instskip(NEXT) | instid1(VALU_DEP_1)
	v_add3_u32 v84, v84, s43, v81
	v_ashrrev_i32_e32 v85, 31, v84
	s_delay_alu instid0(VALU_DEP_1) | instskip(NEXT) | instid1(VALU_DEP_1)
	v_lshlrev_b64 v[84:85], 2, v[84:85]
	v_add_co_u32 v84, vcc_lo, s18, v84
	s_delay_alu instid0(VALU_DEP_2)
	v_add_co_ci_u32_e32 v85, vcc_lo, s22, v85, vcc_lo
	global_load_b64 v[84:85], v[84:85], off
.LBB58_124:                             ;   in Loop: Header=BB58_55 Depth=1
	s_waitcnt vmcnt(0)
	v_and_b32_e32 v98, 0x7f800000, v84
	s_delay_alu instid0(VALU_DEP_1) | instskip(SKIP_1) | instid1(SALU_CYCLE_1)
	v_cmp_ne_u32_e32 vcc_lo, 0x7f800000, v98
                                        ; implicit-def: $vgpr98
	s_and_saveexec_b32 s74, vcc_lo
	s_xor_b32 s74, exec_lo, s74
; %bb.125:                              ;   in Loop: Header=BB58_55 Depth=1
	v_bfe_u32 v98, v84, 16, 1
	s_delay_alu instid0(VALU_DEP_1)
	v_add3_u32 v98, v84, v98, 0x7fff
; %bb.126:                              ;   in Loop: Header=BB58_55 Depth=1
	s_and_not1_saveexec_b32 s74, s74
; %bb.127:                              ;   in Loop: Header=BB58_55 Depth=1
	v_and_b32_e32 v98, 0xffff, v84
	v_or_b32_e32 v99, 0x10000, v84
	s_delay_alu instid0(VALU_DEP_2) | instskip(NEXT) | instid1(VALU_DEP_2)
	v_cmp_eq_u32_e32 vcc_lo, 0, v98
	v_cndmask_b32_e32 v98, v99, v84, vcc_lo
; %bb.128:                              ;   in Loop: Header=BB58_55 Depth=1
	s_or_b32 exec_lo, exec_lo, s74
	v_and_b32_e32 v84, 0x7f800000, v85
	s_delay_alu instid0(VALU_DEP_1) | instskip(SKIP_1) | instid1(SALU_CYCLE_1)
	v_cmp_ne_u32_e32 vcc_lo, 0x7f800000, v84
                                        ; implicit-def: $vgpr84
	s_and_saveexec_b32 s74, vcc_lo
	s_xor_b32 s74, exec_lo, s74
; %bb.129:                              ;   in Loop: Header=BB58_55 Depth=1
	v_bfe_u32 v84, v85, 16, 1
	s_delay_alu instid0(VALU_DEP_1)
	v_add3_u32 v84, v85, v84, 0x7fff
                                        ; implicit-def: $vgpr85
; %bb.130:                              ;   in Loop: Header=BB58_55 Depth=1
	s_and_not1_saveexec_b32 s74, s74
; %bb.131:                              ;   in Loop: Header=BB58_55 Depth=1
	v_and_b32_e32 v84, 0xffff, v85
	v_or_b32_e32 v99, 0x10000, v85
	s_delay_alu instid0(VALU_DEP_2) | instskip(NEXT) | instid1(VALU_DEP_2)
	v_cmp_eq_u32_e32 vcc_lo, 0, v84
	v_cndmask_b32_e32 v84, v99, v85, vcc_lo
; %bb.132:                              ;   in Loop: Header=BB58_55 Depth=1
	s_or_b32 exec_lo, exec_lo, s74
	s_delay_alu instid0(VALU_DEP_1)
	v_perm_b32 v98, v84, v98, 0x7060302
	v_dual_mov_b32 v85, 0 :: v_dual_mov_b32 v84, 0
	s_and_not1_b32 vcc_lo, exec_lo, s36
	ds_store_b32 v94, v98 offset:928
	s_cbranch_vccnz .LBB58_135
; %bb.133:                              ;   in Loop: Header=BB58_55 Depth=1
	ds_load_b32 v98, v97 offset:28
	v_dual_mov_b32 v84, 0 :: v_dual_mov_b32 v85, 0
	s_waitcnt lgkmcnt(0)
	v_cmp_gt_i32_e32 vcc_lo, 0, v98
	s_cbranch_vccnz .LBB58_135
; %bb.134:                              ;   in Loop: Header=BB58_55 Depth=1
	v_mul_lo_u32 v84, v98, s9
	s_delay_alu instid0(VALU_DEP_1) | instskip(NEXT) | instid1(VALU_DEP_1)
	v_add3_u32 v84, v84, s42, v81
	v_ashrrev_i32_e32 v85, 31, v84
	s_delay_alu instid0(VALU_DEP_1) | instskip(NEXT) | instid1(VALU_DEP_1)
	v_lshlrev_b64 v[84:85], 2, v[84:85]
	v_add_co_u32 v84, vcc_lo, s18, v84
	s_delay_alu instid0(VALU_DEP_2)
	v_add_co_ci_u32_e32 v85, vcc_lo, s22, v85, vcc_lo
	global_load_b64 v[84:85], v[84:85], off
.LBB58_135:                             ;   in Loop: Header=BB58_55 Depth=1
	s_waitcnt vmcnt(0)
	v_and_b32_e32 v98, 0x7f800000, v84
	s_delay_alu instid0(VALU_DEP_1) | instskip(SKIP_1) | instid1(SALU_CYCLE_1)
	v_cmp_ne_u32_e32 vcc_lo, 0x7f800000, v98
                                        ; implicit-def: $vgpr98
	s_and_saveexec_b32 s74, vcc_lo
	s_xor_b32 s74, exec_lo, s74
; %bb.136:                              ;   in Loop: Header=BB58_55 Depth=1
	v_bfe_u32 v98, v84, 16, 1
	s_delay_alu instid0(VALU_DEP_1)
	v_add3_u32 v98, v84, v98, 0x7fff
; %bb.137:                              ;   in Loop: Header=BB58_55 Depth=1
	s_and_not1_saveexec_b32 s74, s74
; %bb.138:                              ;   in Loop: Header=BB58_55 Depth=1
	v_and_b32_e32 v98, 0xffff, v84
	v_or_b32_e32 v99, 0x10000, v84
	s_delay_alu instid0(VALU_DEP_2) | instskip(NEXT) | instid1(VALU_DEP_2)
	v_cmp_eq_u32_e32 vcc_lo, 0, v98
	v_cndmask_b32_e32 v98, v99, v84, vcc_lo
; %bb.139:                              ;   in Loop: Header=BB58_55 Depth=1
	s_or_b32 exec_lo, exec_lo, s74
	v_and_b32_e32 v84, 0x7f800000, v85
	s_delay_alu instid0(VALU_DEP_1) | instskip(SKIP_1) | instid1(SALU_CYCLE_1)
	v_cmp_ne_u32_e32 vcc_lo, 0x7f800000, v84
                                        ; implicit-def: $vgpr84
	s_and_saveexec_b32 s74, vcc_lo
	s_xor_b32 s74, exec_lo, s74
; %bb.140:                              ;   in Loop: Header=BB58_55 Depth=1
	v_bfe_u32 v84, v85, 16, 1
	s_delay_alu instid0(VALU_DEP_1)
	v_add3_u32 v84, v85, v84, 0x7fff
                                        ; implicit-def: $vgpr85
; %bb.141:                              ;   in Loop: Header=BB58_55 Depth=1
	s_and_not1_saveexec_b32 s74, s74
; %bb.142:                              ;   in Loop: Header=BB58_55 Depth=1
	v_and_b32_e32 v84, 0xffff, v85
	v_or_b32_e32 v99, 0x10000, v85
	s_delay_alu instid0(VALU_DEP_2) | instskip(NEXT) | instid1(VALU_DEP_2)
	v_cmp_eq_u32_e32 vcc_lo, 0, v84
	v_cndmask_b32_e32 v84, v99, v85, vcc_lo
; %bb.143:                              ;   in Loop: Header=BB58_55 Depth=1
	s_or_b32 exec_lo, exec_lo, s74
	s_delay_alu instid0(VALU_DEP_1)
	v_perm_b32 v98, v84, v98, 0x7060302
	v_dual_mov_b32 v85, 0 :: v_dual_mov_b32 v84, 0
	s_and_not1_b32 vcc_lo, exec_lo, s39
	ds_store_b32 v94, v98 offset:1072
	s_cbranch_vccnz .LBB58_146
; %bb.144:                              ;   in Loop: Header=BB58_55 Depth=1
	ds_load_b32 v98, v97 offset:32
	v_dual_mov_b32 v84, 0 :: v_dual_mov_b32 v85, 0
	s_waitcnt lgkmcnt(0)
	v_cmp_gt_i32_e32 vcc_lo, 0, v98
	s_cbranch_vccnz .LBB58_146
; %bb.145:                              ;   in Loop: Header=BB58_55 Depth=1
	v_mul_lo_u32 v84, v98, s9
	s_delay_alu instid0(VALU_DEP_1) | instskip(NEXT) | instid1(VALU_DEP_1)
	v_add3_u32 v84, v84, s40, v81
	v_ashrrev_i32_e32 v85, 31, v84
	s_delay_alu instid0(VALU_DEP_1) | instskip(NEXT) | instid1(VALU_DEP_1)
	v_lshlrev_b64 v[84:85], 2, v[84:85]
	v_add_co_u32 v84, vcc_lo, s18, v84
	s_delay_alu instid0(VALU_DEP_2)
	v_add_co_ci_u32_e32 v85, vcc_lo, s22, v85, vcc_lo
	global_load_b64 v[84:85], v[84:85], off
.LBB58_146:                             ;   in Loop: Header=BB58_55 Depth=1
	s_waitcnt vmcnt(0)
	v_and_b32_e32 v98, 0x7f800000, v84
	s_delay_alu instid0(VALU_DEP_1) | instskip(SKIP_1) | instid1(SALU_CYCLE_1)
	v_cmp_ne_u32_e32 vcc_lo, 0x7f800000, v98
                                        ; implicit-def: $vgpr98
	s_and_saveexec_b32 s74, vcc_lo
	s_xor_b32 s74, exec_lo, s74
; %bb.147:                              ;   in Loop: Header=BB58_55 Depth=1
	v_bfe_u32 v98, v84, 16, 1
	s_delay_alu instid0(VALU_DEP_1)
	v_add3_u32 v98, v84, v98, 0x7fff
; %bb.148:                              ;   in Loop: Header=BB58_55 Depth=1
	s_and_not1_saveexec_b32 s74, s74
; %bb.149:                              ;   in Loop: Header=BB58_55 Depth=1
	v_and_b32_e32 v98, 0xffff, v84
	v_or_b32_e32 v99, 0x10000, v84
	s_delay_alu instid0(VALU_DEP_2) | instskip(NEXT) | instid1(VALU_DEP_2)
	v_cmp_eq_u32_e32 vcc_lo, 0, v98
	v_cndmask_b32_e32 v98, v99, v84, vcc_lo
; %bb.150:                              ;   in Loop: Header=BB58_55 Depth=1
	s_or_b32 exec_lo, exec_lo, s74
	v_and_b32_e32 v84, 0x7f800000, v85
	s_delay_alu instid0(VALU_DEP_1) | instskip(SKIP_1) | instid1(SALU_CYCLE_1)
	v_cmp_ne_u32_e32 vcc_lo, 0x7f800000, v84
                                        ; implicit-def: $vgpr84
	s_and_saveexec_b32 s74, vcc_lo
	s_xor_b32 s74, exec_lo, s74
; %bb.151:                              ;   in Loop: Header=BB58_55 Depth=1
	v_bfe_u32 v84, v85, 16, 1
	s_delay_alu instid0(VALU_DEP_1)
	v_add3_u32 v84, v85, v84, 0x7fff
                                        ; implicit-def: $vgpr85
; %bb.152:                              ;   in Loop: Header=BB58_55 Depth=1
	s_and_not1_saveexec_b32 s74, s74
; %bb.153:                              ;   in Loop: Header=BB58_55 Depth=1
	v_and_b32_e32 v84, 0xffff, v85
	v_or_b32_e32 v99, 0x10000, v85
	s_delay_alu instid0(VALU_DEP_2) | instskip(NEXT) | instid1(VALU_DEP_2)
	v_cmp_eq_u32_e32 vcc_lo, 0, v84
	v_cndmask_b32_e32 v84, v99, v85, vcc_lo
; %bb.154:                              ;   in Loop: Header=BB58_55 Depth=1
	s_or_b32 exec_lo, exec_lo, s74
	s_delay_alu instid0(VALU_DEP_1)
	v_perm_b32 v98, v84, v98, 0x7060302
	v_dual_mov_b32 v85, 0 :: v_dual_mov_b32 v84, 0
	s_and_not1_b32 vcc_lo, exec_lo, s41
	ds_store_b32 v94, v98 offset:1216
	s_cbranch_vccnz .LBB58_157
; %bb.155:                              ;   in Loop: Header=BB58_55 Depth=1
	ds_load_b32 v98, v97 offset:36
	v_dual_mov_b32 v84, 0 :: v_dual_mov_b32 v85, 0
	s_waitcnt lgkmcnt(0)
	v_cmp_gt_i32_e32 vcc_lo, 0, v98
	s_cbranch_vccnz .LBB58_157
; %bb.156:                              ;   in Loop: Header=BB58_55 Depth=1
	v_mul_lo_u32 v84, v98, s9
	s_delay_alu instid0(VALU_DEP_1) | instskip(NEXT) | instid1(VALU_DEP_1)
	v_add3_u32 v84, v84, s29, v81
	v_ashrrev_i32_e32 v85, 31, v84
	s_delay_alu instid0(VALU_DEP_1) | instskip(NEXT) | instid1(VALU_DEP_1)
	v_lshlrev_b64 v[84:85], 2, v[84:85]
	v_add_co_u32 v84, vcc_lo, s18, v84
	s_delay_alu instid0(VALU_DEP_2)
	v_add_co_ci_u32_e32 v85, vcc_lo, s22, v85, vcc_lo
	global_load_b64 v[84:85], v[84:85], off
.LBB58_157:                             ;   in Loop: Header=BB58_55 Depth=1
	s_waitcnt vmcnt(0)
	v_and_b32_e32 v98, 0x7f800000, v84
	s_delay_alu instid0(VALU_DEP_1) | instskip(SKIP_1) | instid1(SALU_CYCLE_1)
	v_cmp_ne_u32_e32 vcc_lo, 0x7f800000, v98
                                        ; implicit-def: $vgpr98
	s_and_saveexec_b32 s74, vcc_lo
	s_xor_b32 s74, exec_lo, s74
; %bb.158:                              ;   in Loop: Header=BB58_55 Depth=1
	v_bfe_u32 v98, v84, 16, 1
	s_delay_alu instid0(VALU_DEP_1)
	v_add3_u32 v98, v84, v98, 0x7fff
; %bb.159:                              ;   in Loop: Header=BB58_55 Depth=1
	s_and_not1_saveexec_b32 s74, s74
; %bb.160:                              ;   in Loop: Header=BB58_55 Depth=1
	v_and_b32_e32 v98, 0xffff, v84
	v_or_b32_e32 v99, 0x10000, v84
	s_delay_alu instid0(VALU_DEP_2) | instskip(NEXT) | instid1(VALU_DEP_2)
	v_cmp_eq_u32_e32 vcc_lo, 0, v98
	v_cndmask_b32_e32 v98, v99, v84, vcc_lo
; %bb.161:                              ;   in Loop: Header=BB58_55 Depth=1
	s_or_b32 exec_lo, exec_lo, s74
	v_and_b32_e32 v84, 0x7f800000, v85
	s_delay_alu instid0(VALU_DEP_1) | instskip(SKIP_1) | instid1(SALU_CYCLE_1)
	v_cmp_ne_u32_e32 vcc_lo, 0x7f800000, v84
                                        ; implicit-def: $vgpr84
	s_and_saveexec_b32 s74, vcc_lo
	s_xor_b32 s74, exec_lo, s74
; %bb.162:                              ;   in Loop: Header=BB58_55 Depth=1
	v_bfe_u32 v84, v85, 16, 1
	s_delay_alu instid0(VALU_DEP_1)
	v_add3_u32 v84, v85, v84, 0x7fff
                                        ; implicit-def: $vgpr85
; %bb.163:                              ;   in Loop: Header=BB58_55 Depth=1
	s_and_not1_saveexec_b32 s74, s74
; %bb.164:                              ;   in Loop: Header=BB58_55 Depth=1
	v_and_b32_e32 v84, 0xffff, v85
	v_or_b32_e32 v99, 0x10000, v85
	s_delay_alu instid0(VALU_DEP_2) | instskip(NEXT) | instid1(VALU_DEP_2)
	v_cmp_eq_u32_e32 vcc_lo, 0, v84
	v_cndmask_b32_e32 v84, v99, v85, vcc_lo
; %bb.165:                              ;   in Loop: Header=BB58_55 Depth=1
	s_or_b32 exec_lo, exec_lo, s74
	s_delay_alu instid0(VALU_DEP_1)
	v_perm_b32 v98, v84, v98, 0x7060302
	v_dual_mov_b32 v85, 0 :: v_dual_mov_b32 v84, 0
	s_and_not1_b32 vcc_lo, exec_lo, s17
	ds_store_b32 v94, v98 offset:1360
	s_cbranch_vccnz .LBB58_168
; %bb.166:                              ;   in Loop: Header=BB58_55 Depth=1
	ds_load_b32 v98, v97 offset:40
	v_dual_mov_b32 v84, 0 :: v_dual_mov_b32 v85, 0
	s_waitcnt lgkmcnt(0)
	v_cmp_gt_i32_e32 vcc_lo, 0, v98
	s_cbranch_vccnz .LBB58_168
; %bb.167:                              ;   in Loop: Header=BB58_55 Depth=1
	v_mul_lo_u32 v84, v98, s9
	s_delay_alu instid0(VALU_DEP_1) | instskip(NEXT) | instid1(VALU_DEP_1)
	v_add3_u32 v84, v84, s28, v81
	v_ashrrev_i32_e32 v85, 31, v84
	s_delay_alu instid0(VALU_DEP_1) | instskip(NEXT) | instid1(VALU_DEP_1)
	v_lshlrev_b64 v[84:85], 2, v[84:85]
	v_add_co_u32 v84, vcc_lo, s18, v84
	s_delay_alu instid0(VALU_DEP_2)
	v_add_co_ci_u32_e32 v85, vcc_lo, s22, v85, vcc_lo
	global_load_b64 v[84:85], v[84:85], off
.LBB58_168:                             ;   in Loop: Header=BB58_55 Depth=1
	s_waitcnt vmcnt(0)
	v_and_b32_e32 v98, 0x7f800000, v84
	s_delay_alu instid0(VALU_DEP_1) | instskip(SKIP_1) | instid1(SALU_CYCLE_1)
	v_cmp_ne_u32_e32 vcc_lo, 0x7f800000, v98
                                        ; implicit-def: $vgpr98
	s_and_saveexec_b32 s74, vcc_lo
	s_xor_b32 s74, exec_lo, s74
; %bb.169:                              ;   in Loop: Header=BB58_55 Depth=1
	v_bfe_u32 v98, v84, 16, 1
	s_delay_alu instid0(VALU_DEP_1)
	v_add3_u32 v98, v84, v98, 0x7fff
; %bb.170:                              ;   in Loop: Header=BB58_55 Depth=1
	s_and_not1_saveexec_b32 s74, s74
; %bb.171:                              ;   in Loop: Header=BB58_55 Depth=1
	v_and_b32_e32 v98, 0xffff, v84
	v_or_b32_e32 v99, 0x10000, v84
	s_delay_alu instid0(VALU_DEP_2) | instskip(NEXT) | instid1(VALU_DEP_2)
	v_cmp_eq_u32_e32 vcc_lo, 0, v98
	v_cndmask_b32_e32 v98, v99, v84, vcc_lo
; %bb.172:                              ;   in Loop: Header=BB58_55 Depth=1
	s_or_b32 exec_lo, exec_lo, s74
	v_and_b32_e32 v84, 0x7f800000, v85
	s_delay_alu instid0(VALU_DEP_1) | instskip(SKIP_1) | instid1(SALU_CYCLE_1)
	v_cmp_ne_u32_e32 vcc_lo, 0x7f800000, v84
                                        ; implicit-def: $vgpr84
	s_and_saveexec_b32 s74, vcc_lo
	s_xor_b32 s74, exec_lo, s74
; %bb.173:                              ;   in Loop: Header=BB58_55 Depth=1
	v_bfe_u32 v84, v85, 16, 1
	s_delay_alu instid0(VALU_DEP_1)
	v_add3_u32 v84, v85, v84, 0x7fff
                                        ; implicit-def: $vgpr85
; %bb.174:                              ;   in Loop: Header=BB58_55 Depth=1
	s_and_not1_saveexec_b32 s74, s74
	s_cbranch_execz .LBB58_54
; %bb.175:                              ;   in Loop: Header=BB58_55 Depth=1
	v_and_b32_e32 v84, 0xffff, v85
	v_or_b32_e32 v99, 0x10000, v85
	s_delay_alu instid0(VALU_DEP_2) | instskip(NEXT) | instid1(VALU_DEP_2)
	v_cmp_eq_u32_e32 vcc_lo, 0, v84
	v_cndmask_b32_e32 v84, v99, v85, vcc_lo
	s_branch .LBB58_54
.LBB58_176:
	s_or_b32 exec_lo, exec_lo, s19
.LBB58_177:
	s_delay_alu instid0(SALU_CYCLE_1) | instskip(SKIP_4) | instid1(VALU_DEP_3)
	s_or_b32 exec_lo, exec_lo, s14
	v_lshrrev_b32_e32 v16, 2, v80
	s_movk_i32 s0, 0x190
	v_lshlrev_b32_e32 v17, 2, v91
	v_mad_u32_u24 v18, v92, s0, 0x100
	v_and_b32_e32 v16, 0xfc, v16
	s_barrier
	buffer_gl0_inv
	s_mov_b32 s0, exec_lo
	v_add3_u32 v17, v18, v16, v17
	v_lshl_add_u32 v16, v80, 2, 0x100
	ds_store_2addr_b32 v17, v8, v9 offset0:16 offset1:18
	ds_store_2addr_b32 v17, v10, v11 offset0:20 offset1:22
	;; [unrolled: 1-line block ×7, first 2 shown]
	v_mov_b32_e32 v5, -1
	v_mad_u32_u24 v2, 0x190, v87, v16
	ds_store_2addr_b32 v17, v6, v7 offset0:44 offset1:46
	s_waitcnt lgkmcnt(0)
	s_barrier
	buffer_gl0_inv
	ds_load_2addr_b32 v[0:1], v2 offset0:16 offset1:48
	ds_load_b32 v3, v2 offset:320
	v_cmpx_gt_u32_e32 11, v87
	s_cbranch_execz .LBB58_179
; %bb.178:
	ds_load_b32 v5, v86
.LBB58_179:
	s_or_b32 exec_lo, exec_lo, s0
	s_mul_hi_i32 s1, s26, s15
	s_mul_i32 s0, s26, s15
	s_mul_hi_i32 s9, s12, s21
	s_lshl_b64 s[0:1], s[0:1], 2
	s_mul_i32 s8, s12, s21
	s_waitcnt lgkmcnt(0)
	v_cmp_lt_i32_e32 vcc_lo, -1, v5
	s_add_u32 s6, s6, s0
	v_mul_u32_u24_e32 v4, 0x190, v87
	s_addc_u32 s7, s7, s1
	s_lshl_b64 s[0:1], s[8:9], 2
	v_add_nc_u32_e32 v2, s11, v80
	s_add_u32 s0, s6, s0
	s_addc_u32 s1, s7, s1
	s_and_b32 s6, vcc_lo, s2
	s_delay_alu instid0(SALU_CYCLE_1)
	s_and_saveexec_b32 s2, s6
	s_cbranch_execz .LBB58_181
; %bb.180:
	v_mul_lo_u32 v5, v5, s10
	v_mul_lo_u32 v7, v87, s21
	v_add_f32_e32 v0, 0, v0
	v_mov_b32_e32 v6, 0
	s_delay_alu instid0(VALU_DEP_3) | instskip(NEXT) | instid1(VALU_DEP_3)
	v_add3_u32 v5, v2, v7, v5
	v_add_f32_e32 v7, v0, v1
	s_delay_alu instid0(VALU_DEP_2) | instskip(NEXT) | instid1(VALU_DEP_2)
	v_lshlrev_b64 v[0:1], 2, v[5:6]
	v_add_f32_e32 v3, v7, v3
	s_delay_alu instid0(VALU_DEP_2) | instskip(NEXT) | instid1(VALU_DEP_3)
	v_add_co_u32 v0, vcc_lo, s0, v0
	v_add_co_ci_u32_e32 v1, vcc_lo, s1, v1, vcc_lo
	global_store_b32 v[0:1], v3, off
.LBB58_181:
	s_or_b32 exec_lo, exec_lo, s2
	v_add_nc_u32_e32 v3, v4, v16
	s_mov_b32 s2, exec_lo
	s_delay_alu instid0(VALU_DEP_1)
	v_dual_mov_b32 v5, -1 :: v_dual_add_nc_u32 v0, 0x400, v3
	ds_load_2addr_b32 v[0:1], v0 offset0:60 offset1:92
	ds_load_b32 v4, v3 offset:1520
	v_cmpx_gt_u32_e32 8, v87
	s_cbranch_execz .LBB58_183
; %bb.182:
	ds_load_b32 v5, v86 offset:12
.LBB58_183:
	s_or_b32 exec_lo, exec_lo, s2
	s_waitcnt lgkmcnt(0)
	v_cmp_lt_i32_e32 vcc_lo, -1, v5
	s_and_b32 s3, vcc_lo, s3
	s_delay_alu instid0(SALU_CYCLE_1)
	s_and_saveexec_b32 s2, s3
	s_cbranch_execz .LBB58_185
; %bb.184:
	v_mul_lo_u32 v5, v5, s10
	v_mul_lo_u32 v7, v88, s21
	v_add_f32_e32 v0, 0, v0
	v_mov_b32_e32 v6, 0
	s_delay_alu instid0(VALU_DEP_3) | instskip(NEXT) | instid1(VALU_DEP_3)
	v_add3_u32 v5, v2, v7, v5
	v_add_f32_e32 v7, v0, v1
	s_delay_alu instid0(VALU_DEP_2) | instskip(NEXT) | instid1(VALU_DEP_2)
	v_lshlrev_b64 v[0:1], 2, v[5:6]
	v_add_f32_e32 v4, v7, v4
	s_delay_alu instid0(VALU_DEP_2) | instskip(NEXT) | instid1(VALU_DEP_3)
	v_add_co_u32 v0, vcc_lo, s0, v0
	v_add_co_ci_u32_e32 v1, vcc_lo, s1, v1, vcc_lo
	global_store_b32 v[0:1], v4, off
.LBB58_185:
	s_or_b32 exec_lo, exec_lo, s2
	v_dual_mov_b32 v5, -1 :: v_dual_add_nc_u32 v0, 0x800, v3
	s_mov_b32 s2, exec_lo
	ds_load_2addr_b32 v[0:1], v0 offset0:104 offset1:136
	ds_load_b32 v4, v3 offset:2720
	v_cmpx_gt_u32_e32 5, v87
	s_cbranch_execz .LBB58_187
; %bb.186:
	ds_load_b32 v5, v86 offset:24
.LBB58_187:
	s_or_b32 exec_lo, exec_lo, s2
	s_waitcnt lgkmcnt(0)
	v_cmp_lt_i32_e32 vcc_lo, -1, v5
	s_and_b32 s3, vcc_lo, s4
	s_delay_alu instid0(SALU_CYCLE_1)
	s_and_saveexec_b32 s2, s3
	s_cbranch_execz .LBB58_189
; %bb.188:
	v_mul_lo_u32 v5, v5, s10
	v_mul_lo_u32 v7, v89, s21
	v_add_f32_e32 v0, 0, v0
	v_mov_b32_e32 v6, 0
	s_delay_alu instid0(VALU_DEP_3) | instskip(NEXT) | instid1(VALU_DEP_3)
	v_add3_u32 v5, v2, v7, v5
	v_add_f32_e32 v7, v0, v1
	s_delay_alu instid0(VALU_DEP_2) | instskip(NEXT) | instid1(VALU_DEP_2)
	v_lshlrev_b64 v[0:1], 2, v[5:6]
	v_add_f32_e32 v4, v7, v4
	s_delay_alu instid0(VALU_DEP_2) | instskip(NEXT) | instid1(VALU_DEP_3)
	v_add_co_u32 v0, vcc_lo, s0, v0
	v_add_co_ci_u32_e32 v1, vcc_lo, s1, v1, vcc_lo
	global_store_b32 v[0:1], v4, off
.LBB58_189:
	s_or_b32 exec_lo, exec_lo, s2
	v_cmp_gt_u32_e32 vcc_lo, 2, v87
	s_and_b32 exec_lo, exec_lo, vcc_lo
	s_cbranch_execz .LBB58_192
; %bb.190:
	ds_load_b32 v0, v86 offset:36
	s_waitcnt lgkmcnt(0)
	v_cmp_lt_i32_e32 vcc_lo, -1, v0
	s_and_b32 s2, vcc_lo, s5
	s_delay_alu instid0(SALU_CYCLE_1)
	s_and_b32 exec_lo, exec_lo, s2
	s_cbranch_execz .LBB58_192
; %bb.191:
	v_add_nc_u32_e32 v1, 0xc00, v3
	v_mul_lo_u32 v0, v0, s10
	v_mul_lo_u32 v6, v90, s21
	ds_load_2addr_b32 v[4:5], v1 offset0:148 offset1:180
	ds_load_b32 v3, v3 offset:3920
	v_add3_u32 v0, v2, v6, v0
	s_waitcnt lgkmcnt(1)
	v_dual_add_f32 v4, 0, v4 :: v_dual_mov_b32 v1, 0
	s_delay_alu instid0(VALU_DEP_1) | instskip(NEXT) | instid1(VALU_DEP_2)
	v_add_f32_e32 v2, v4, v5
	v_lshlrev_b64 v[0:1], 2, v[0:1]
	s_waitcnt lgkmcnt(0)
	s_delay_alu instid0(VALU_DEP_2) | instskip(NEXT) | instid1(VALU_DEP_2)
	v_add_f32_e32 v2, v2, v3
	v_add_co_u32 v0, vcc_lo, s0, v0
	s_delay_alu instid0(VALU_DEP_3)
	v_add_co_ci_u32_e32 v1, vcc_lo, s1, v1, vcc_lo
	global_store_b32 v[0:1], v2, off
.LBB58_192:
	s_nop 0
	s_sendmsg sendmsg(MSG_DEALLOC_VGPRS)
	s_endpgm
	.section	.rodata,"a",@progbits
	.p2align	6, 0x0
	.amdhsa_kernel _ZL9mul_mat_fI15__hip_bfloat162Li32ELi11ELi3ELb1EEvPKT_PKfPKiPfiiiiiiiiiiiiiiii
		.amdhsa_group_segment_fixed_size 256
		.amdhsa_private_segment_fixed_size 0
		.amdhsa_kernarg_size 352
		.amdhsa_user_sgpr_count 13
		.amdhsa_user_sgpr_dispatch_ptr 0
		.amdhsa_user_sgpr_queue_ptr 0
		.amdhsa_user_sgpr_kernarg_segment_ptr 1
		.amdhsa_user_sgpr_dispatch_id 0
		.amdhsa_user_sgpr_private_segment_size 0
		.amdhsa_wavefront_size32 1
		.amdhsa_uses_dynamic_stack 0
		.amdhsa_enable_private_segment 0
		.amdhsa_system_sgpr_workgroup_id_x 1
		.amdhsa_system_sgpr_workgroup_id_y 1
		.amdhsa_system_sgpr_workgroup_id_z 1
		.amdhsa_system_sgpr_workgroup_info 0
		.amdhsa_system_vgpr_workitem_id 2
		.amdhsa_next_free_vgpr 114
		.amdhsa_next_free_sgpr 75
		.amdhsa_reserve_vcc 1
		.amdhsa_float_round_mode_32 0
		.amdhsa_float_round_mode_16_64 0
		.amdhsa_float_denorm_mode_32 3
		.amdhsa_float_denorm_mode_16_64 3
		.amdhsa_dx10_clamp 1
		.amdhsa_ieee_mode 1
		.amdhsa_fp16_overflow 0
		.amdhsa_workgroup_processor_mode 1
		.amdhsa_memory_ordered 1
		.amdhsa_forward_progress 0
		.amdhsa_shared_vgpr_count 0
		.amdhsa_exception_fp_ieee_invalid_op 0
		.amdhsa_exception_fp_denorm_src 0
		.amdhsa_exception_fp_ieee_div_zero 0
		.amdhsa_exception_fp_ieee_overflow 0
		.amdhsa_exception_fp_ieee_underflow 0
		.amdhsa_exception_fp_ieee_inexact 0
		.amdhsa_exception_int_div_zero 0
	.end_amdhsa_kernel
	.section	.text._ZL9mul_mat_fI15__hip_bfloat162Li32ELi11ELi3ELb1EEvPKT_PKfPKiPfiiiiiiiiiiiiiiii,"axG",@progbits,_ZL9mul_mat_fI15__hip_bfloat162Li32ELi11ELi3ELb1EEvPKT_PKfPKiPfiiiiiiiiiiiiiiii,comdat
.Lfunc_end58:
	.size	_ZL9mul_mat_fI15__hip_bfloat162Li32ELi11ELi3ELb1EEvPKT_PKfPKiPfiiiiiiiiiiiiiiii, .Lfunc_end58-_ZL9mul_mat_fI15__hip_bfloat162Li32ELi11ELi3ELb1EEvPKT_PKfPKiPfiiiiiiiiiiiiiiii
                                        ; -- End function
	.section	.AMDGPU.csdata,"",@progbits
; Kernel info:
; codeLenInByte = 8988
; NumSgprs: 77
; NumVgprs: 114
; ScratchSize: 0
; MemoryBound: 0
; FloatMode: 240
; IeeeMode: 1
; LDSByteSize: 256 bytes/workgroup (compile time only)
; SGPRBlocks: 9
; VGPRBlocks: 14
; NumSGPRsForWavesPerEU: 77
; NumVGPRsForWavesPerEU: 114
; Occupancy: 12
; WaveLimiterHint : 0
; COMPUTE_PGM_RSRC2:SCRATCH_EN: 0
; COMPUTE_PGM_RSRC2:USER_SGPR: 13
; COMPUTE_PGM_RSRC2:TRAP_HANDLER: 0
; COMPUTE_PGM_RSRC2:TGID_X_EN: 1
; COMPUTE_PGM_RSRC2:TGID_Y_EN: 1
; COMPUTE_PGM_RSRC2:TGID_Z_EN: 1
; COMPUTE_PGM_RSRC2:TIDIG_COMP_CNT: 2
	.section	.text._ZL9mul_mat_fI15__hip_bfloat162Li32ELi11ELi3ELb0EEvPKT_PKfPKiPfiiiiiiiiiiiiiiii,"axG",@progbits,_ZL9mul_mat_fI15__hip_bfloat162Li32ELi11ELi3ELb0EEvPKT_PKfPKiPfiiiiiiiiiiiiiiii,comdat
	.globl	_ZL9mul_mat_fI15__hip_bfloat162Li32ELi11ELi3ELb0EEvPKT_PKfPKiPfiiiiiiiiiiiiiiii ; -- Begin function _ZL9mul_mat_fI15__hip_bfloat162Li32ELi11ELi3ELb0EEvPKT_PKfPKiPfiiiiiiiiiiiiiiii
	.p2align	8
	.type	_ZL9mul_mat_fI15__hip_bfloat162Li32ELi11ELi3ELb0EEvPKT_PKfPKiPfiiiiiiiiiiiiiiii,@function
_ZL9mul_mat_fI15__hip_bfloat162Li32ELi11ELi3ELb0EEvPKT_PKfPKiPfiiiiiiiiiiiiiiii: ; @_ZL9mul_mat_fI15__hip_bfloat162Li32ELi11ELi3ELb0EEvPKT_PKfPKiPfiiiiiiiiiiiiiiii
; %bb.0:
	s_clause 0x2
	s_load_b256 s[4:11], s[0:1], 0x40
	s_load_b32 s22, s[0:1], 0x20
	s_load_b128 s[16:19], s[0:1], 0x2c
	v_bfe_u32 v86, v0, 10, 10
	v_and_b32_e32 v87, 0x3ff, v0
	s_mov_b32 s12, 0
	s_ashr_i32 s24, s15, 31
	s_waitcnt lgkmcnt(0)
	s_mov_b32 s19, exec_lo
	v_lshlrev_b32_e32 v88, 5, v86
	v_and_b32_e32 v89, 15, v87
	s_delay_alu instid0(VALU_DEP_2) | instskip(SKIP_4) | instid1(VALU_DEP_2)
	v_add_nc_u32_e32 v90, v88, v87
	s_abs_i32 s2, s4
	s_abs_i32 s23, s8
	v_cvt_f32_u32_e32 v1, s2
	v_cvt_f32_u32_e32 v2, s23
	v_rcp_iflag_f32_e32 v1, v1
	s_delay_alu instid0(VALU_DEP_1) | instskip(SKIP_2) | instid1(VALU_DEP_1)
	v_rcp_iflag_f32_e32 v2, v2
	s_waitcnt_depctr 0xfff
	v_dual_mul_f32 v0, 0x4f7ffffe, v1 :: v_dual_mul_f32 v1, 0x4f7ffffe, v2
	v_cvt_u32_f32_e32 v0, v0
	s_delay_alu instid0(VALU_DEP_2) | instskip(NEXT) | instid1(VALU_DEP_2)
	v_cvt_u32_f32_e32 v1, v1
	v_readfirstlane_b32 s25, v0
	s_delay_alu instid0(VALU_DEP_2)
	v_readfirstlane_b32 s3, v1
	v_cmpx_le_i32_e64 s22, v90
	s_xor_b32 s19, exec_lo, s19
; %bb.1:
	v_and_b32_e32 v89, 15, v87
                                        ; implicit-def: $vgpr90
; %bb.2:
	s_or_saveexec_b32 s19, s19
	s_load_b64 s[20:21], s[0:1], 0x18
	v_dual_mov_b32 v15, s12 :: v_dual_mov_b32 v14, s12
	v_dual_mov_b32 v13, s12 :: v_dual_mov_b32 v12, s12
	;; [unrolled: 1-line block ×8, first 2 shown]
	s_lshl_b32 s12, s13, 5
	s_xor_b32 exec_lo, exec_lo, s19
	s_cbranch_execz .LBB59_94
; %bb.3:
	s_sub_i32 s13, 0, s2
	s_sub_i32 s26, 0, s23
	s_mul_i32 s13, s13, s25
	s_mul_i32 s26, s26, s3
	s_mul_hi_u32 s13, s25, s13
	s_mul_hi_u32 s26, s3, s26
	s_abs_i32 s27, s14
	s_add_i32 s25, s25, s13
	s_add_i32 s26, s3, s26
	s_mul_hi_u32 s3, s27, s25
	s_ashr_i32 s25, s14, 31
	s_ashr_i32 s4, s4, 31
	s_mul_i32 s28, s3, s2
	s_xor_b32 s4, s25, s4
	s_sub_i32 s25, s27, s28
	s_abs_i32 s13, s15
	s_ashr_i32 s8, s8, 31
	s_add_i32 s27, s3, 1
	s_sub_i32 s28, s25, s2
	s_cmp_ge_u32 s25, s2
	s_mul_hi_u32 s26, s13, s26
	s_cselect_b32 s3, s27, s3
	s_cselect_b32 s25, s28, s25
	s_add_i32 s27, s3, 1
	s_cmp_ge_u32 s25, s2
	s_mul_i32 s28, s14, s6
	s_cselect_b32 s25, s27, s3
	s_load_b128 s[0:3], s[0:1], 0x0
	s_xor_b32 s25, s25, s4
	s_xor_b32 s8, s24, s8
	s_sub_i32 s4, s25, s4
	s_mul_i32 s25, s26, s23
	s_add_i32 s24, s26, 1
	s_sub_i32 s13, s13, s25
	s_mul_i32 s4, s4, s5
	s_sub_i32 s25, s13, s23
	s_cmp_ge_u32 s13, s23
	s_mul_hi_i32 s27, s10, s15
	s_cselect_b32 s24, s24, s26
	s_cselect_b32 s13, s25, s13
	s_add_i32 s25, s24, 1
	s_cmp_ge_u32 s13, s23
	s_mul_i32 s26, s10, s15
	s_cselect_b32 s13, s25, s24
	s_ashr_i32 s5, s4, 31
	s_xor_b32 s13, s13, s8
	v_mad_u32_u24 v0, 0x900, v86, 0
	s_sub_i32 s8, s13, s8
	v_dual_mov_b32 v92, 0 :: v_dual_lshlrev_b32 v1, 2, v87
	s_mul_hi_i32 s25, s8, s9
	s_mul_i32 s24, s8, s9
	s_mul_i32 s8, s12, s16
	s_lshl_b64 s[24:25], s[24:25], 2
	v_mul_u32_u24_e32 v2, 0x90, v89
	s_waitcnt lgkmcnt(0)
	s_add_u32 s13, s0, s24
	s_addc_u32 s23, s1, s25
	s_ashr_i32 s9, s8, 31
	s_lshl_b64 s[4:5], s[4:5], 2
	s_lshl_b64 s[8:9], s[8:9], 2
	v_lshlrev_b32_e32 v3, 7, v86
	s_add_u32 s30, s4, s8
	s_addc_u32 s31, s5, s9
	s_add_u32 s6, s30, s13
	s_addc_u32 s8, s31, s23
	s_ashr_i32 s29, s28, 31
	s_lshl_b64 s[4:5], s[26:27], 2
	s_lshl_b64 s[26:27], s[28:29], 2
	v_dual_mov_b32 v8, 0 :: v_dual_add_nc_u32 v93, v0, v2
	s_add_u32 s13, s2, s26
	s_addc_u32 s23, s3, s27
	s_add_u32 s9, s13, s4
	s_addc_u32 s10, s23, s5
	s_ashr_i32 s3, s16, 31
	s_mov_b32 s2, s16
	s_ashr_i32 s27, s17, 31
	s_lshl_b64 s[2:3], s[2:3], 2
	s_add_u32 s24, s30, s24
	s_addc_u32 s25, s31, s25
	v_mov_b32_e32 v2, v92
	v_add_co_u32 v3, s24, s24, v3
	s_delay_alu instid0(VALU_DEP_1) | instskip(SKIP_2) | instid1(VALU_DEP_4)
	v_add_co_ci_u32_e64 v4, null, s25, 0, s24
	v_lshlrev_b32_e32 v5, 8, v86
	v_dual_mov_b32 v0, 0 :: v_dual_add_nc_u32 v91, v0, v1
	v_add_co_u32 v1, vcc_lo, v3, v1
	s_delay_alu instid0(VALU_DEP_4) | instskip(NEXT) | instid1(VALU_DEP_4)
	v_add_co_ci_u32_e32 v3, vcc_lo, 0, v4, vcc_lo
	v_add_co_u32 v4, s4, s4, v5
	v_lshlrev_b32_e32 v6, 3, v87
	v_add_co_ci_u32_e64 v5, null, s5, 0, s4
	v_add_co_u32 v80, vcc_lo, s0, v1
	v_add_co_ci_u32_e32 v81, vcc_lo, s1, v3, vcc_lo
	s_delay_alu instid0(VALU_DEP_4) | instskip(NEXT) | instid1(VALU_DEP_4)
	v_add_co_u32 v1, vcc_lo, v4, v6
	v_add_co_ci_u32_e32 v3, vcc_lo, 0, v5, vcc_lo
	v_mov_b32_e32 v4, v92
	s_delay_alu instid0(VALU_DEP_3) | instskip(SKIP_1) | instid1(VALU_DEP_4)
	v_add_co_u32 v82, vcc_lo, s13, v1
	v_mov_b32_e32 v1, v92
	v_add_co_ci_u32_e32 v83, vcc_lo, s23, v3, vcc_lo
	v_mov_b32_e32 v3, v92
	v_mov_b32_e32 v5, v92
	;; [unrolled: 1-line block ×11, first 2 shown]
	s_mov_b32 s26, s17
	s_mul_i32 s1, s16, 31
	s_lshl_b64 s[4:5], s[26:27], 3
	s_lshl_b32 s13, s17, 1
	s_mul_i32 s23, s17, 3
	s_lshl_b32 s24, s17, 2
	s_mul_i32 s25, s17, 5
	s_mul_i32 s26, s17, 6
	;; [unrolled: 1-line block ×3, first 2 shown]
	s_lshl_b32 s28, s17, 3
	s_mul_i32 s29, s17, 9
	s_mul_i32 s17, s17, 10
	s_lshl_b32 s30, s16, 1
	s_mul_i32 s31, s16, 3
	s_lshl_b32 s33, s16, 2
	s_mul_i32 s34, s16, 5
	s_mul_i32 s35, s16, 6
	;; [unrolled: 1-line block ×3, first 2 shown]
	s_lshl_b32 s37, s16, 3
	s_mul_i32 s38, s16, 9
	s_mul_i32 s39, s16, 10
	;; [unrolled: 1-line block ×7, first 2 shown]
	s_lshl_b32 s45, s16, 4
	s_mul_i32 s46, s16, 17
	s_mul_i32 s47, s16, 18
	;; [unrolled: 1-line block ×14, first 2 shown]
	s_mov_b32 s16, 0
	s_branch .LBB59_5
.LBB59_4:                               ;   in Loop: Header=BB59_5 Depth=1
	s_or_b32 exec_lo, exec_lo, s0
	s_delay_alu instid0(VALU_DEP_1)
	v_perm_b32 v84, v95, v94, 0x7060302
	v_add_nc_u32_e32 v85, 0x400, v91
	v_add_nc_u32_e32 v94, 0x600, v91
	;; [unrolled: 1-line block ×3, first 2 shown]
	v_add_co_u32 v80, vcc_lo, 0x180, v80
	ds_store_2addr_b32 v85, v84, v92 offset0:104 offset1:140
	ds_store_2addr_b32 v85, v92, v92 offset0:176 offset1:212
	;; [unrolled: 1-line block ×3, first 2 shown]
	ds_load_b128 v[94:97], v93
	ds_load_b128 v[98:101], v93 offset:16
	ds_load_b128 v[102:105], v93 offset:32
	;; [unrolled: 1-line block ×5, first 2 shown]
	v_add_co_ci_u32_e32 v81, vcc_lo, 0, v81, vcc_lo
	v_cmp_le_i32_e32 vcc_lo, s22, v90
	v_add_co_u32 v82, s0, 0x300, v82
	s_delay_alu instid0(VALU_DEP_1)
	v_add_co_ci_u32_e64 v83, s0, 0, v83, s0
	s_or_b32 s16, vcc_lo, s16
	s_waitcnt lgkmcnt(4)
	v_wmma_f32_16x16x16_bf16 v[8:15], v[72:79], v[94:101], v[8:15]
	ds_load_b128 v[72:75], v93 offset:96
	ds_load_b128 v[76:79], v93 offset:112
	v_wmma_f32_16x16x16_bf16 v[0:7], v[64:71], v[94:101], v[0:7]
	s_waitcnt lgkmcnt(4)
	v_wmma_f32_16x16x16_bf16 v[8:15], v[48:55], v[102:109], v[8:15]
	s_delay_alu instid0(VALU_DEP_2) | instskip(SKIP_1) | instid1(VALU_DEP_2)
	v_wmma_f32_16x16x16_bf16 v[0:7], v[56:63], v[102:109], v[0:7]
	s_waitcnt lgkmcnt(2)
	v_wmma_f32_16x16x16_bf16 v[8:15], v[24:31], v[110:117], v[8:15]
	s_delay_alu instid0(VALU_DEP_2) | instskip(SKIP_1) | instid1(VALU_DEP_2)
	v_wmma_f32_16x16x16_bf16 v[0:7], v[40:47], v[110:117], v[0:7]
	s_waitcnt lgkmcnt(0)
	v_wmma_f32_16x16x16_bf16 v[8:15], v[16:23], v[72:79], v[8:15]
	s_delay_alu instid0(VALU_DEP_2)
	v_wmma_f32_16x16x16_bf16 v[0:7], v[32:39], v[72:79], v[0:7]
	s_and_not1_b32 exec_lo, exec_lo, s16
	s_cbranch_execz .LBB59_93
.LBB59_5:                               ; =>This Inner Loop Header: Depth=1
	v_add_nc_u32_e32 v16, s30, v90
	v_add_nc_u32_e32 v22, s33, v90
	;; [unrolled: 1-line block ×3, first 2 shown]
	v_add_co_u32 v20, vcc_lo, v80, s2
	s_delay_alu instid0(VALU_DEP_4)
	v_ashrrev_i32_e32 v17, 31, v16
	v_add_co_ci_u32_e32 v21, vcc_lo, s3, v81, vcc_lo
	v_ashrrev_i32_e32 v23, 31, v22
	v_ashrrev_i32_e32 v19, 31, v18
	v_add_nc_u32_e32 v24, s34, v90
	v_lshlrev_b64 v[16:17], 2, v[16:17]
	s_clause 0x1
	global_load_b32 v38, v[80:81], off
	global_load_b32 v39, v[20:21], off
	v_lshlrev_b64 v[20:21], 2, v[22:23]
	v_add_nc_u32_e32 v22, s35, v90
	v_lshlrev_b64 v[18:19], 2, v[18:19]
	v_ashrrev_i32_e32 v25, 31, v24
	v_add_nc_u32_e32 v26, s36, v90
	v_add_co_u32 v16, vcc_lo, s6, v16
	v_ashrrev_i32_e32 v23, 31, v22
	v_add_co_ci_u32_e32 v17, vcc_lo, s8, v17, vcc_lo
	v_add_nc_u32_e32 v28, s37, v90
	v_add_co_u32 v18, vcc_lo, s6, v18
	v_lshlrev_b64 v[24:25], 2, v[24:25]
	v_ashrrev_i32_e32 v27, 31, v26
	v_add_co_ci_u32_e32 v19, vcc_lo, s8, v19, vcc_lo
	v_add_nc_u32_e32 v30, s38, v90
	v_add_co_u32 v20, vcc_lo, s6, v20
	v_lshlrev_b64 v[22:23], 2, v[22:23]
	v_ashrrev_i32_e32 v29, 31, v28
	v_add_co_ci_u32_e32 v21, vcc_lo, s8, v21, vcc_lo
	v_add_co_u32 v24, vcc_lo, s6, v24
	v_lshlrev_b64 v[26:27], 2, v[26:27]
	v_ashrrev_i32_e32 v31, 31, v30
	v_add_co_ci_u32_e32 v25, vcc_lo, s8, v25, vcc_lo
	v_add_co_u32 v22, vcc_lo, s6, v22
	v_lshlrev_b64 v[28:29], 2, v[28:29]
	v_add_co_ci_u32_e32 v23, vcc_lo, s8, v23, vcc_lo
	v_add_nc_u32_e32 v32, s39, v90
	v_add_co_u32 v26, vcc_lo, s6, v26
	v_lshlrev_b64 v[30:31], 2, v[30:31]
	v_add_co_ci_u32_e32 v27, vcc_lo, s8, v27, vcc_lo
	v_add_nc_u32_e32 v34, s40, v90
	v_add_co_u32 v28, vcc_lo, s6, v28
	v_ashrrev_i32_e32 v33, 31, v32
	v_add_co_ci_u32_e32 v29, vcc_lo, s8, v29, vcc_lo
	v_add_nc_u32_e32 v36, s41, v90
	v_add_co_u32 v30, vcc_lo, s6, v30
	v_ashrrev_i32_e32 v35, 31, v34
	v_add_co_ci_u32_e32 v31, vcc_lo, s8, v31, vcc_lo
	s_clause 0x7
	global_load_b32 v40, v[16:17], off
	global_load_b32 v41, v[18:19], off
	global_load_b32 v42, v[20:21], off
	global_load_b32 v43, v[24:25], off
	global_load_b32 v44, v[22:23], off
	global_load_b32 v45, v[26:27], off
	global_load_b32 v46, v[28:29], off
	global_load_b32 v47, v[30:31], off
	v_add_nc_u32_e32 v18, s42, v90
	v_lshlrev_b64 v[32:33], 2, v[32:33]
	v_ashrrev_i32_e32 v37, 31, v36
	v_add_nc_u32_e32 v24, s43, v90
	v_lshlrev_b64 v[16:17], 2, v[34:35]
	v_ashrrev_i32_e32 v19, 31, v18
	v_add_nc_u32_e32 v26, s44, v90
	v_add_co_u32 v20, vcc_lo, s6, v32
	v_lshlrev_b64 v[22:23], 2, v[36:37]
	v_ashrrev_i32_e32 v25, 31, v24
	v_add_co_ci_u32_e32 v21, vcc_lo, s8, v33, vcc_lo
	v_add_nc_u32_e32 v28, s45, v90
	v_add_co_u32 v16, vcc_lo, s6, v16
	v_lshlrev_b64 v[18:19], 2, v[18:19]
	v_ashrrev_i32_e32 v27, 31, v26
	v_add_co_ci_u32_e32 v17, vcc_lo, s8, v17, vcc_lo
	v_add_nc_u32_e32 v30, s46, v90
	v_add_co_u32 v22, vcc_lo, s6, v22
	v_lshlrev_b64 v[24:25], 2, v[24:25]
	v_ashrrev_i32_e32 v29, 31, v28
	v_add_co_ci_u32_e32 v23, vcc_lo, s8, v23, vcc_lo
	v_add_co_u32 v18, vcc_lo, s6, v18
	v_lshlrev_b64 v[26:27], 2, v[26:27]
	v_ashrrev_i32_e32 v31, 31, v30
	v_add_co_ci_u32_e32 v19, vcc_lo, s8, v19, vcc_lo
	v_add_co_u32 v24, vcc_lo, s6, v24
	v_lshlrev_b64 v[28:29], 2, v[28:29]
	v_add_co_ci_u32_e32 v25, vcc_lo, s8, v25, vcc_lo
	v_add_nc_u32_e32 v32, s47, v90
	v_add_co_u32 v26, vcc_lo, s6, v26
	v_lshlrev_b64 v[30:31], 2, v[30:31]
	v_add_co_ci_u32_e32 v27, vcc_lo, s8, v27, vcc_lo
	v_add_nc_u32_e32 v34, s48, v90
	v_add_co_u32 v28, vcc_lo, s6, v28
	v_ashrrev_i32_e32 v33, 31, v32
	v_add_co_ci_u32_e32 v29, vcc_lo, s8, v29, vcc_lo
	v_add_nc_u32_e32 v36, s49, v90
	v_add_co_u32 v30, vcc_lo, s6, v30
	v_ashrrev_i32_e32 v35, 31, v34
	v_add_co_ci_u32_e32 v31, vcc_lo, s8, v31, vcc_lo
	s_clause 0x7
	global_load_b32 v48, v[20:21], off
	global_load_b32 v49, v[16:17], off
	global_load_b32 v50, v[22:23], off
	global_load_b32 v51, v[18:19], off
	global_load_b32 v52, v[24:25], off
	global_load_b32 v53, v[26:27], off
	global_load_b32 v56, v[28:29], off
	global_load_b32 v57, v[30:31], off
	v_add_nc_u32_e32 v18, s50, v90
	v_lshlrev_b64 v[32:33], 2, v[32:33]
	v_ashrrev_i32_e32 v37, 31, v36
	v_add_nc_u32_e32 v24, s51, v90
	v_lshlrev_b64 v[16:17], 2, v[34:35]
	v_ashrrev_i32_e32 v19, 31, v18
	v_add_nc_u32_e32 v26, s52, v90
	v_add_co_u32 v20, vcc_lo, s6, v32
	v_lshlrev_b64 v[22:23], 2, v[36:37]
	;; [unrolled: 49-line block ×3, first 2 shown]
	v_ashrrev_i32_e32 v25, 31, v24
	v_add_co_ci_u32_e32 v21, vcc_lo, s8, v33, vcc_lo
	v_add_co_u32 v16, vcc_lo, s6, v16
	v_lshlrev_b64 v[18:19], 2, v[18:19]
	v_ashrrev_i32_e32 v27, 31, v26
	v_add_co_ci_u32_e32 v17, vcc_lo, s8, v17, vcc_lo
	v_add_co_u32 v22, vcc_lo, s6, v22
	v_lshlrev_b64 v[24:25], 2, v[24:25]
	v_add_co_ci_u32_e32 v23, vcc_lo, s8, v23, vcc_lo
	v_add_co_u32 v18, vcc_lo, s6, v18
	v_lshlrev_b64 v[26:27], 2, v[26:27]
	v_add_co_ci_u32_e32 v19, vcc_lo, s8, v19, vcc_lo
	v_add_co_u32 v24, vcc_lo, s6, v24
	v_add_co_ci_u32_e32 v25, vcc_lo, s8, v25, vcc_lo
	s_delay_alu instid0(VALU_DEP_4)
	v_add_co_u32 v26, vcc_lo, s6, v26
	v_add_co_ci_u32_e32 v27, vcc_lo, s8, v27, vcc_lo
	s_clause 0x5
	global_load_b32 v32, v[20:21], off
	global_load_b32 v33, v[16:17], off
	;; [unrolled: 1-line block ×6, first 2 shown]
	global_load_b64 v[84:85], v[82:83], off
	s_waitcnt vmcnt(32)
	ds_store_b32 v91, v38
	s_waitcnt vmcnt(31)
	ds_store_b32 v91, v39 offset:144
	s_waitcnt vmcnt(30)
	ds_store_b32 v91, v40 offset:288
	;; [unrolled: 2-line block ×15, first 2 shown]
	ds_load_b128 v[72:75], v93
	ds_load_b128 v[76:79], v93 offset:16
	ds_load_b128 v[48:51], v93 offset:32
	;; [unrolled: 1-line block ×7, first 2 shown]
	s_waitcnt vmcnt(16)
	ds_store_b32 v91, v56
	s_waitcnt vmcnt(15)
	ds_store_b32 v91, v57 offset:144
	s_waitcnt vmcnt(14)
	ds_store_b32 v91, v58 offset:288
	;; [unrolled: 2-line block ×15, first 2 shown]
	ds_load_b128 v[64:67], v93
	ds_load_b128 v[68:71], v93 offset:16
	ds_load_b128 v[56:59], v93 offset:32
	ds_load_b128 v[60:63], v93 offset:48
	ds_load_b128 v[40:43], v93 offset:64
	ds_load_b128 v[44:47], v93 offset:80
	ds_load_b128 v[32:35], v93 offset:96
	ds_load_b128 v[36:39], v93 offset:112
	s_waitcnt vmcnt(0)
	v_and_b32_e32 v94, 0x7f800000, v84
	s_delay_alu instid0(VALU_DEP_1) | instskip(SKIP_1) | instid1(SALU_CYCLE_1)
	v_cmp_ne_u32_e32 vcc_lo, 0x7f800000, v94
                                        ; implicit-def: $vgpr94
	s_and_saveexec_b32 s0, vcc_lo
	s_xor_b32 s0, exec_lo, s0
; %bb.6:                                ;   in Loop: Header=BB59_5 Depth=1
	v_bfe_u32 v94, v84, 16, 1
	s_delay_alu instid0(VALU_DEP_1)
	v_add3_u32 v94, v84, v94, 0x7fff
; %bb.7:                                ;   in Loop: Header=BB59_5 Depth=1
	s_and_not1_saveexec_b32 s0, s0
; %bb.8:                                ;   in Loop: Header=BB59_5 Depth=1
	v_and_b32_e32 v94, 0xffff, v84
	v_or_b32_e32 v95, 0x10000, v84
	s_delay_alu instid0(VALU_DEP_2) | instskip(NEXT) | instid1(VALU_DEP_2)
	v_cmp_eq_u32_e32 vcc_lo, 0, v94
	v_cndmask_b32_e32 v94, v95, v84, vcc_lo
; %bb.9:                                ;   in Loop: Header=BB59_5 Depth=1
	s_or_b32 exec_lo, exec_lo, s0
	v_and_b32_e32 v84, 0x7f800000, v85
	s_mov_b32 s0, exec_lo
                                        ; implicit-def: $vgpr95
	s_delay_alu instid0(VALU_DEP_1)
	v_cmpx_ne_u32_e32 0x7f800000, v84
	s_xor_b32 s0, exec_lo, s0
; %bb.10:                               ;   in Loop: Header=BB59_5 Depth=1
	v_bfe_u32 v84, v85, 16, 1
	s_delay_alu instid0(VALU_DEP_1)
	v_add3_u32 v95, v85, v84, 0x7fff
                                        ; implicit-def: $vgpr84_vgpr85
; %bb.11:                               ;   in Loop: Header=BB59_5 Depth=1
	s_and_not1_saveexec_b32 s0, s0
; %bb.12:                               ;   in Loop: Header=BB59_5 Depth=1
	v_and_b32_e32 v84, 0xffff, v85
	v_or_b32_e32 v95, 0x10000, v85
	s_delay_alu instid0(VALU_DEP_2) | instskip(NEXT) | instid1(VALU_DEP_2)
	v_cmp_eq_u32_e32 vcc_lo, 0, v84
	v_cndmask_b32_e32 v95, v95, v85, vcc_lo
; %bb.13:                               ;   in Loop: Header=BB59_5 Depth=1
	s_or_b32 exec_lo, exec_lo, s0
	s_delay_alu instid0(VALU_DEP_1)
	v_perm_b32 v84, v95, v94, 0x7060302
	ds_store_b32 v91, v84
	v_add_co_u32 v84, vcc_lo, v82, s4
	v_add_co_ci_u32_e32 v85, vcc_lo, s5, v83, vcc_lo
	global_load_b64 v[84:85], v[84:85], off
	s_waitcnt vmcnt(0)
	v_and_b32_e32 v94, 0x7f800000, v84
	s_delay_alu instid0(VALU_DEP_1) | instskip(SKIP_1) | instid1(SALU_CYCLE_1)
	v_cmp_ne_u32_e32 vcc_lo, 0x7f800000, v94
                                        ; implicit-def: $vgpr94
	s_and_saveexec_b32 s0, vcc_lo
	s_xor_b32 s0, exec_lo, s0
; %bb.14:                               ;   in Loop: Header=BB59_5 Depth=1
	v_bfe_u32 v94, v84, 16, 1
	s_delay_alu instid0(VALU_DEP_1)
	v_add3_u32 v94, v84, v94, 0x7fff
; %bb.15:                               ;   in Loop: Header=BB59_5 Depth=1
	s_and_not1_saveexec_b32 s0, s0
; %bb.16:                               ;   in Loop: Header=BB59_5 Depth=1
	v_and_b32_e32 v94, 0xffff, v84
	v_or_b32_e32 v95, 0x10000, v84
	s_delay_alu instid0(VALU_DEP_2) | instskip(NEXT) | instid1(VALU_DEP_2)
	v_cmp_eq_u32_e32 vcc_lo, 0, v94
	v_cndmask_b32_e32 v94, v95, v84, vcc_lo
; %bb.17:                               ;   in Loop: Header=BB59_5 Depth=1
	s_or_b32 exec_lo, exec_lo, s0
	v_and_b32_e32 v84, 0x7f800000, v85
	s_mov_b32 s0, exec_lo
                                        ; implicit-def: $vgpr95
	s_delay_alu instid0(VALU_DEP_1)
	v_cmpx_ne_u32_e32 0x7f800000, v84
	s_xor_b32 s0, exec_lo, s0
; %bb.18:                               ;   in Loop: Header=BB59_5 Depth=1
	v_bfe_u32 v84, v85, 16, 1
	s_delay_alu instid0(VALU_DEP_1)
	v_add3_u32 v95, v85, v84, 0x7fff
                                        ; implicit-def: $vgpr84_vgpr85
; %bb.19:                               ;   in Loop: Header=BB59_5 Depth=1
	s_and_not1_saveexec_b32 s0, s0
; %bb.20:                               ;   in Loop: Header=BB59_5 Depth=1
	v_and_b32_e32 v84, 0xffff, v85
	v_or_b32_e32 v95, 0x10000, v85
	s_delay_alu instid0(VALU_DEP_2) | instskip(NEXT) | instid1(VALU_DEP_2)
	v_cmp_eq_u32_e32 vcc_lo, 0, v84
	v_cndmask_b32_e32 v95, v95, v85, vcc_lo
; %bb.21:                               ;   in Loop: Header=BB59_5 Depth=1
	s_or_b32 exec_lo, exec_lo, s0
	s_delay_alu instid0(VALU_DEP_1) | instskip(SKIP_2) | instid1(VALU_DEP_1)
	v_perm_b32 v84, v95, v94, 0x7060302
	ds_store_b32 v91, v84 offset:144
	v_add_nc_u32_e32 v84, s13, v90
	v_ashrrev_i32_e32 v85, 31, v84
	s_delay_alu instid0(VALU_DEP_1) | instskip(NEXT) | instid1(VALU_DEP_1)
	v_lshlrev_b64 v[84:85], 3, v[84:85]
	v_add_co_u32 v84, vcc_lo, s9, v84
	s_delay_alu instid0(VALU_DEP_2) | instskip(SKIP_3) | instid1(VALU_DEP_1)
	v_add_co_ci_u32_e32 v85, vcc_lo, s10, v85, vcc_lo
	global_load_b64 v[84:85], v[84:85], off
	s_waitcnt vmcnt(0)
	v_and_b32_e32 v94, 0x7f800000, v84
	v_cmp_ne_u32_e32 vcc_lo, 0x7f800000, v94
                                        ; implicit-def: $vgpr94
	s_and_saveexec_b32 s0, vcc_lo
	s_delay_alu instid0(SALU_CYCLE_1)
	s_xor_b32 s0, exec_lo, s0
; %bb.22:                               ;   in Loop: Header=BB59_5 Depth=1
	v_bfe_u32 v94, v84, 16, 1
	s_delay_alu instid0(VALU_DEP_1)
	v_add3_u32 v94, v84, v94, 0x7fff
; %bb.23:                               ;   in Loop: Header=BB59_5 Depth=1
	s_and_not1_saveexec_b32 s0, s0
; %bb.24:                               ;   in Loop: Header=BB59_5 Depth=1
	v_and_b32_e32 v94, 0xffff, v84
	v_or_b32_e32 v95, 0x10000, v84
	s_delay_alu instid0(VALU_DEP_2) | instskip(NEXT) | instid1(VALU_DEP_2)
	v_cmp_eq_u32_e32 vcc_lo, 0, v94
	v_cndmask_b32_e32 v94, v95, v84, vcc_lo
; %bb.25:                               ;   in Loop: Header=BB59_5 Depth=1
	s_or_b32 exec_lo, exec_lo, s0
	v_and_b32_e32 v84, 0x7f800000, v85
	s_mov_b32 s0, exec_lo
                                        ; implicit-def: $vgpr95
	s_delay_alu instid0(VALU_DEP_1)
	v_cmpx_ne_u32_e32 0x7f800000, v84
	s_xor_b32 s0, exec_lo, s0
; %bb.26:                               ;   in Loop: Header=BB59_5 Depth=1
	v_bfe_u32 v84, v85, 16, 1
	s_delay_alu instid0(VALU_DEP_1)
	v_add3_u32 v95, v85, v84, 0x7fff
                                        ; implicit-def: $vgpr84_vgpr85
; %bb.27:                               ;   in Loop: Header=BB59_5 Depth=1
	s_and_not1_saveexec_b32 s0, s0
; %bb.28:                               ;   in Loop: Header=BB59_5 Depth=1
	v_and_b32_e32 v84, 0xffff, v85
	v_or_b32_e32 v95, 0x10000, v85
	s_delay_alu instid0(VALU_DEP_2) | instskip(NEXT) | instid1(VALU_DEP_2)
	v_cmp_eq_u32_e32 vcc_lo, 0, v84
	v_cndmask_b32_e32 v95, v95, v85, vcc_lo
; %bb.29:                               ;   in Loop: Header=BB59_5 Depth=1
	s_or_b32 exec_lo, exec_lo, s0
	s_delay_alu instid0(VALU_DEP_1) | instskip(SKIP_2) | instid1(VALU_DEP_1)
	v_perm_b32 v84, v95, v94, 0x7060302
	ds_store_b32 v91, v84 offset:288
	v_add_nc_u32_e32 v84, s23, v90
	v_ashrrev_i32_e32 v85, 31, v84
	s_delay_alu instid0(VALU_DEP_1) | instskip(NEXT) | instid1(VALU_DEP_1)
	v_lshlrev_b64 v[84:85], 3, v[84:85]
	v_add_co_u32 v84, vcc_lo, s9, v84
	s_delay_alu instid0(VALU_DEP_2) | instskip(SKIP_3) | instid1(VALU_DEP_1)
	v_add_co_ci_u32_e32 v85, vcc_lo, s10, v85, vcc_lo
	global_load_b64 v[84:85], v[84:85], off
	s_waitcnt vmcnt(0)
	v_and_b32_e32 v94, 0x7f800000, v84
	v_cmp_ne_u32_e32 vcc_lo, 0x7f800000, v94
                                        ; implicit-def: $vgpr94
	s_and_saveexec_b32 s0, vcc_lo
	s_delay_alu instid0(SALU_CYCLE_1)
	;; [unrolled: 53-line block ×9, first 2 shown]
	s_xor_b32 s0, exec_lo, s0
; %bb.86:                               ;   in Loop: Header=BB59_5 Depth=1
	v_bfe_u32 v94, v84, 16, 1
	s_delay_alu instid0(VALU_DEP_1)
	v_add3_u32 v94, v84, v94, 0x7fff
; %bb.87:                               ;   in Loop: Header=BB59_5 Depth=1
	s_and_not1_saveexec_b32 s0, s0
; %bb.88:                               ;   in Loop: Header=BB59_5 Depth=1
	v_and_b32_e32 v94, 0xffff, v84
	v_or_b32_e32 v95, 0x10000, v84
	s_delay_alu instid0(VALU_DEP_2) | instskip(NEXT) | instid1(VALU_DEP_2)
	v_cmp_eq_u32_e32 vcc_lo, 0, v94
	v_cndmask_b32_e32 v94, v95, v84, vcc_lo
; %bb.89:                               ;   in Loop: Header=BB59_5 Depth=1
	s_or_b32 exec_lo, exec_lo, s0
	v_and_b32_e32 v84, 0x7f800000, v85
	s_mov_b32 s0, exec_lo
                                        ; implicit-def: $vgpr95
	s_delay_alu instid0(VALU_DEP_1)
	v_cmpx_ne_u32_e32 0x7f800000, v84
	s_xor_b32 s0, exec_lo, s0
; %bb.90:                               ;   in Loop: Header=BB59_5 Depth=1
	v_bfe_u32 v84, v85, 16, 1
	s_delay_alu instid0(VALU_DEP_1)
	v_add3_u32 v95, v85, v84, 0x7fff
                                        ; implicit-def: $vgpr84_vgpr85
; %bb.91:                               ;   in Loop: Header=BB59_5 Depth=1
	s_and_not1_saveexec_b32 s0, s0
	s_cbranch_execz .LBB59_4
; %bb.92:                               ;   in Loop: Header=BB59_5 Depth=1
	v_and_b32_e32 v84, 0xffff, v85
	v_or_b32_e32 v95, 0x10000, v85
	s_delay_alu instid0(VALU_DEP_2) | instskip(NEXT) | instid1(VALU_DEP_2)
	v_cmp_eq_u32_e32 vcc_lo, 0, v84
	v_cndmask_b32_e32 v95, v95, v85, vcc_lo
	s_branch .LBB59_4
.LBB59_93:
	s_or_b32 exec_lo, exec_lo, s16
.LBB59_94:
	s_delay_alu instid0(SALU_CYCLE_1)
	s_or_b32 exec_lo, exec_lo, s19
	v_lshrrev_b32_e32 v16, 2, v87
	v_mad_u32_u24 v17, 0x190, v89, 0
	v_lshlrev_b32_e32 v18, 2, v88
	s_waitcnt lgkmcnt(0)
	s_barrier
	v_and_b32_e32 v16, 0xfc, v16
	buffer_gl0_inv
	s_mul_hi_i32 s1, s11, s15
	s_mul_i32 s0, s11, s15
	s_mul_i32 s2, s14, s7
	v_add3_u32 v17, v17, v16, v18
	v_lshl_add_u32 v16, v87, 2, 0
	s_lshl_b64 s[0:1], s[0:1], 2
	ds_store_2addr_b32 v17, v8, v9 offset1:2
	ds_store_2addr_b32 v17, v10, v11 offset0:4 offset1:6
	ds_store_2addr_b32 v17, v12, v13 offset0:8 offset1:10
	;; [unrolled: 1-line block ×6, first 2 shown]
	v_mad_u32_u24 v11, 0x190, v86, v16
	ds_store_2addr_b32 v17, v6, v7 offset0:28 offset1:30
	s_waitcnt lgkmcnt(0)
	s_barrier
	buffer_gl0_inv
	ds_load_2addr_b32 v[1:2], v11 offset1:32
	v_add_nc_u32_e32 v0, 0x100, v11
	v_add_nc_u32_e32 v7, 0x800, v11
	v_mul_lo_u32 v9, v86, s18
	s_add_u32 s4, s20, s0
	s_addc_u32 s5, s21, s1
	ds_load_2addr_b32 v[3:4], v0 offset1:236
	v_add_nc_u32_e32 v0, 0x400, v11
	s_ashr_i32 s3, s2, 31
	ds_load_b32 v11, v11 offset:2656
	s_lshl_b64 s[0:1], s[2:3], 2
	s_mul_i32 s2, s18, 3
	ds_load_2addr_b32 v[5:6], v0 offset0:76 offset1:108
	v_add3_u32 v0, s12, v87, v9
	s_add_u32 s0, s4, s0
	s_addc_u32 s1, s5, s1
	s_mov_b32 s3, exec_lo
	s_waitcnt lgkmcnt(3)
	v_add_f32_e32 v10, 0, v1
	ds_load_2addr_b32 v[7:8], v7 offset0:88 offset1:120
	v_dual_mov_b32 v1, 0 :: v_dual_add_f32 v2, v10, v2
	s_waitcnt lgkmcnt(3)
	v_add_f32_e32 v4, 0, v4
	s_delay_alu instid0(VALU_DEP_2) | instskip(SKIP_1) | instid1(VALU_DEP_2)
	v_lshlrev_b64 v[9:10], 2, v[0:1]
	s_waitcnt lgkmcnt(1)
	v_dual_add_f32 v13, v4, v5 :: v_dual_add_nc_u32 v0, s2, v0
	s_delay_alu instid0(VALU_DEP_2) | instskip(NEXT) | instid1(VALU_DEP_3)
	v_add_co_u32 v4, vcc_lo, s0, v9
	v_add_co_ci_u32_e32 v5, vcc_lo, s1, v10, vcc_lo
	s_delay_alu instid0(VALU_DEP_3)
	v_add_f32_e32 v9, v13, v6
	s_waitcnt lgkmcnt(0)
	v_add_f32_e32 v7, 0, v7
	v_add_f32_e32 v12, v2, v3
	v_lshlrev_b64 v[2:3], 2, v[0:1]
	v_add_nc_u32_e32 v0, s2, v0
	s_delay_alu instid0(VALU_DEP_4) | instskip(NEXT) | instid1(VALU_DEP_2)
	v_add_f32_e32 v8, v7, v8
	v_lshlrev_b64 v[6:7], 2, v[0:1]
	s_delay_alu instid0(VALU_DEP_4) | instskip(SKIP_1) | instid1(VALU_DEP_4)
	v_add_co_u32 v2, vcc_lo, s0, v2
	v_add_co_ci_u32_e32 v3, vcc_lo, s1, v3, vcc_lo
	v_add_f32_e32 v8, v8, v11
	s_delay_alu instid0(VALU_DEP_4)
	v_add_co_u32 v6, vcc_lo, s0, v6
	v_add_co_ci_u32_e32 v7, vcc_lo, s1, v7, vcc_lo
	s_clause 0x2
	global_store_b32 v[4:5], v12, off
	global_store_b32 v[2:3], v9, off
	;; [unrolled: 1-line block ×3, first 2 shown]
	v_cmpx_gt_u32_e32 2, v86
	s_cbranch_execz .LBB59_96
; %bb.95:
	v_mul_u32_u24_e32 v2, 0x190, v86
	v_add_nc_u32_e32 v0, s2, v0
	s_delay_alu instid0(VALU_DEP_2) | instskip(NEXT) | instid1(VALU_DEP_2)
	v_add_nc_u32_e32 v4, v16, v2
	v_lshlrev_b64 v[0:1], 2, v[0:1]
	s_delay_alu instid0(VALU_DEP_2)
	v_add_nc_u32_e32 v2, 0xc00, v4
	ds_load_2addr_b32 v[2:3], v2 offset0:132 offset1:164
	ds_load_b32 v4, v4 offset:3856
	v_add_co_u32 v0, vcc_lo, s0, v0
	v_add_co_ci_u32_e32 v1, vcc_lo, s1, v1, vcc_lo
	s_waitcnt lgkmcnt(1)
	v_add_f32_e32 v2, 0, v2
	s_delay_alu instid0(VALU_DEP_1) | instskip(SKIP_1) | instid1(VALU_DEP_1)
	v_add_f32_e32 v2, v2, v3
	s_waitcnt lgkmcnt(0)
	v_add_f32_e32 v2, v2, v4
	global_store_b32 v[0:1], v2, off
.LBB59_96:
	s_nop 0
	s_sendmsg sendmsg(MSG_DEALLOC_VGPRS)
	s_endpgm
	.section	.rodata,"a",@progbits
	.p2align	6, 0x0
	.amdhsa_kernel _ZL9mul_mat_fI15__hip_bfloat162Li32ELi11ELi3ELb0EEvPKT_PKfPKiPfiiiiiiiiiiiiiiii
		.amdhsa_group_segment_fixed_size 0
		.amdhsa_private_segment_fixed_size 0
		.amdhsa_kernarg_size 96
		.amdhsa_user_sgpr_count 13
		.amdhsa_user_sgpr_dispatch_ptr 0
		.amdhsa_user_sgpr_queue_ptr 0
		.amdhsa_user_sgpr_kernarg_segment_ptr 1
		.amdhsa_user_sgpr_dispatch_id 0
		.amdhsa_user_sgpr_private_segment_size 0
		.amdhsa_wavefront_size32 1
		.amdhsa_uses_dynamic_stack 0
		.amdhsa_enable_private_segment 0
		.amdhsa_system_sgpr_workgroup_id_x 1
		.amdhsa_system_sgpr_workgroup_id_y 1
		.amdhsa_system_sgpr_workgroup_id_z 1
		.amdhsa_system_sgpr_workgroup_info 0
		.amdhsa_system_vgpr_workitem_id 1
		.amdhsa_next_free_vgpr 118
		.amdhsa_next_free_sgpr 60
		.amdhsa_reserve_vcc 1
		.amdhsa_float_round_mode_32 0
		.amdhsa_float_round_mode_16_64 0
		.amdhsa_float_denorm_mode_32 3
		.amdhsa_float_denorm_mode_16_64 3
		.amdhsa_dx10_clamp 1
		.amdhsa_ieee_mode 1
		.amdhsa_fp16_overflow 0
		.amdhsa_workgroup_processor_mode 1
		.amdhsa_memory_ordered 1
		.amdhsa_forward_progress 0
		.amdhsa_shared_vgpr_count 0
		.amdhsa_exception_fp_ieee_invalid_op 0
		.amdhsa_exception_fp_denorm_src 0
		.amdhsa_exception_fp_ieee_div_zero 0
		.amdhsa_exception_fp_ieee_overflow 0
		.amdhsa_exception_fp_ieee_underflow 0
		.amdhsa_exception_fp_ieee_inexact 0
		.amdhsa_exception_int_div_zero 0
	.end_amdhsa_kernel
	.section	.text._ZL9mul_mat_fI15__hip_bfloat162Li32ELi11ELi3ELb0EEvPKT_PKfPKiPfiiiiiiiiiiiiiiii,"axG",@progbits,_ZL9mul_mat_fI15__hip_bfloat162Li32ELi11ELi3ELb0EEvPKT_PKfPKiPfiiiiiiiiiiiiiiii,comdat
.Lfunc_end59:
	.size	_ZL9mul_mat_fI15__hip_bfloat162Li32ELi11ELi3ELb0EEvPKT_PKfPKiPfiiiiiiiiiiiiiiii, .Lfunc_end59-_ZL9mul_mat_fI15__hip_bfloat162Li32ELi11ELi3ELb0EEvPKT_PKfPKiPfiiiiiiiiiiiiiiii
                                        ; -- End function
	.section	.AMDGPU.csdata,"",@progbits
; Kernel info:
; codeLenInByte = 6092
; NumSgprs: 62
; NumVgprs: 118
; ScratchSize: 0
; MemoryBound: 0
; FloatMode: 240
; IeeeMode: 1
; LDSByteSize: 0 bytes/workgroup (compile time only)
; SGPRBlocks: 7
; VGPRBlocks: 14
; NumSGPRsForWavesPerEU: 62
; NumVGPRsForWavesPerEU: 118
; Occupancy: 12
; WaveLimiterHint : 0
; COMPUTE_PGM_RSRC2:SCRATCH_EN: 0
; COMPUTE_PGM_RSRC2:USER_SGPR: 13
; COMPUTE_PGM_RSRC2:TRAP_HANDLER: 0
; COMPUTE_PGM_RSRC2:TGID_X_EN: 1
; COMPUTE_PGM_RSRC2:TGID_Y_EN: 1
; COMPUTE_PGM_RSRC2:TGID_Z_EN: 1
; COMPUTE_PGM_RSRC2:TIDIG_COMP_CNT: 1
	.section	.text._ZL13mul_mat_f_idsI15__hip_bfloat162Li32ELi11ELi4EEvPKT_PKfPKiS7_S7_Pfiiiiiiiiiiiiii15HIP_vector_typeIjLj3EESA_,"axG",@progbits,_ZL13mul_mat_f_idsI15__hip_bfloat162Li32ELi11ELi4EEvPKT_PKfPKiS7_S7_Pfiiiiiiiiiiiiii15HIP_vector_typeIjLj3EESA_,comdat
	.globl	_ZL13mul_mat_f_idsI15__hip_bfloat162Li32ELi11ELi4EEvPKT_PKfPKiS7_S7_Pfiiiiiiiiiiiiii15HIP_vector_typeIjLj3EESA_ ; -- Begin function _ZL13mul_mat_f_idsI15__hip_bfloat162Li32ELi11ELi4EEvPKT_PKfPKiS7_S7_Pfiiiiiiiiiiiiii15HIP_vector_typeIjLj3EESA_
	.p2align	8
	.type	_ZL13mul_mat_f_idsI15__hip_bfloat162Li32ELi11ELi4EEvPKT_PKfPKiS7_S7_Pfiiiiiiiiiiiiii15HIP_vector_typeIjLj3EESA_,@function
_ZL13mul_mat_f_idsI15__hip_bfloat162Li32ELi11ELi4EEvPKT_PKfPKiS7_S7_Pfiiiiiiiiiiiiii15HIP_vector_typeIjLj3EESA_: ; @_ZL13mul_mat_f_idsI15__hip_bfloat162Li32ELi11ELi4EEvPKT_PKfPKiS7_S7_Pfiiiiiiiiiiiiii15HIP_vector_typeIjLj3EESA_
; %bb.0:
	s_load_b64 s[4:5], s[0:1], 0x20
	s_mov_b32 s2, s15
	s_ashr_i32 s15, s14, 31
	s_delay_alu instid0(SALU_CYCLE_1)
	s_lshl_b64 s[6:7], s[14:15], 2
	s_waitcnt lgkmcnt(0)
	s_add_u32 s4, s4, s6
	s_addc_u32 s5, s5, s7
	s_load_b64 s[30:31], s[4:5], 0x0
	s_waitcnt lgkmcnt(0)
	s_sub_i32 s33, s31, s30
	s_delay_alu instid0(SALU_CYCLE_1) | instskip(NEXT) | instid1(SALU_CYCLE_1)
	s_add_i32 s3, s33, 10
	s_mul_hi_i32 s3, s3, 0x2e8ba2e9
	s_delay_alu instid0(SALU_CYCLE_1) | instskip(SKIP_1) | instid1(SALU_CYCLE_1)
	s_lshr_b32 s4, s3, 31
	s_ashr_i32 s3, s3, 1
	s_add_i32 s3, s3, s4
	s_delay_alu instid0(SALU_CYCLE_1)
	s_cmp_ge_i32 s2, s3
	s_cbranch_scc1 .LBB60_138
; %bb.1:
	s_clause 0x4
	s_load_b128 s[8:11], s[0:1], 0x30
	s_load_b64 s[24:25], s[0:1], 0x40
	s_load_b128 s[4:7], s[0:1], 0x4c
	s_load_b128 s[16:19], s[0:1], 0x68
	s_load_b64 s[26:27], s[0:1], 0x78
	v_bfe_u32 v105, v0, 10, 10
	v_and_b32_e32 v106, 0x3ff, v0
	s_ashr_i32 s31, s30, 31
	s_waitcnt lgkmcnt(0)
	s_mov_b32 s7, exec_lo
                                        ; implicit-def: $sgpr3
	v_lshlrev_b32_e32 v107, 5, v105
	v_and_b32_e32 v108, 15, v106
	s_delay_alu instid0(VALU_DEP_2) | instskip(NEXT) | instid1(VALU_DEP_1)
	v_add_nc_u32_e32 v80, v107, v106
	v_cmpx_le_i32_e64 s8, v80
	s_xor_b32 s7, exec_lo, s7
; %bb.2:
	v_and_b32_e32 v108, 15, v106
	s_mov_b32 s3, 0
                                        ; implicit-def: $vgpr80
; %bb.3:
	s_or_saveexec_b32 s36, s7
	s_clause 0x1
	s_load_b64 s[34:35], s[0:1], 0x18
	s_load_b64 s[28:29], s[0:1], 0x28
	v_dual_mov_b32 v7, s3 :: v_dual_mov_b32 v6, s3
	v_dual_mov_b32 v5, s3 :: v_dual_mov_b32 v4, s3
	;; [unrolled: 1-line block ×8, first 2 shown]
	s_lshl_b32 s7, s13, 5
	s_mul_i32 s2, s2, 11
	s_xor_b32 exec_lo, exec_lo, s36
	s_cbranch_execz .LBB60_128
; %bb.4:
	s_clause 0x1
	s_load_b128 s[20:23], s[0:1], 0x0
	s_load_b64 s[12:13], s[0:1], 0x10
	s_mul_i32 s0, s7, s11
	s_mul_i32 s14, s14, s4
	s_ashr_i32 s1, s0, 31
	s_ashr_i32 s15, s14, 31
	s_lshl_b64 s[0:1], s[0:1], 2
	s_lshl_b64 s[14:15], s[14:15], 2
	v_dual_mov_b32 v8, 0 :: v_dual_lshlrev_b32 v3, 7, v105
	s_add_u32 s0, s14, s0
	s_addc_u32 s47, s15, s1
	v_mad_u32_u24 v0, 0x900, v105, 0
	v_dual_mov_b32 v110, 0 :: v_dual_lshlrev_b32 v1, 2, v106
	v_mul_u32_u24_e32 v2, 0x90, v108
	s_mov_b32 s41, 0
	s_mul_i32 s45, s11, 3
	s_delay_alu instid0(VALU_DEP_2)
	v_dual_mov_b32 v10, v110 :: v_dual_add_nc_u32 v109, v0, v1
	s_waitcnt lgkmcnt(0)
	s_add_u32 s1, s0, s20
	s_addc_u32 s4, s47, s21
	s_lshl_b64 s[14:15], s[30:31], 2
	v_add_co_u32 v3, s0, s0, v3
	s_add_u32 s14, s12, s14
	s_addc_u32 s15, s13, s15
	s_cmp_lt_i32 s2, s33
	v_add_co_ci_u32_e64 v4, null, s47, 0, s0
	s_cselect_b32 s37, -1, 0
	s_ashr_i32 s3, s2, 31
	v_add_co_u32 v1, vcc_lo, v3, v1
	s_lshl_b64 s[12:13], s[2:3], 2
	v_add_co_ci_u32_e32 v3, vcc_lo, 0, v4, vcc_lo
	s_add_u32 s12, s14, s12
	s_addc_u32 s13, s15, s13
	s_add_i32 s3, s2, 1
	v_add_co_u32 v81, vcc_lo, s20, v1
	s_cmp_lt_i32 s3, s33
	v_add_co_ci_u32_e32 v82, vcc_lo, s21, v3, vcc_lo
	s_cselect_b32 s3, -1, 0
	s_add_i32 s14, s2, 2
	v_dual_mov_b32 v12, v110 :: v_dual_add_nc_u32 v111, v0, v2
	s_cmp_lt_i32 s14, s33
	v_dual_mov_b32 v9, v110 :: v_dual_mov_b32 v0, 0
	s_cselect_b32 s38, -1, 0
	s_add_i32 s14, s2, 3
	v_mov_b32_e32 v11, v110
	s_cmp_lt_i32 s14, s33
	v_mov_b32_e32 v13, v110
	s_cselect_b32 s39, -1, 0
	s_add_i32 s14, s2, 4
	v_mov_b32_e32 v14, v110
	s_cmp_lt_i32 s14, s33
	v_mov_b32_e32 v15, v110
	;; [unrolled: 5-line block ×5, first 2 shown]
	s_cselect_b32 s44, -1, 0
	s_add_i32 s15, s2, 8
	v_mov_b32_e32 v7, v110
	s_cmp_lt_i32 s15, s33
	s_mov_b32 s14, s11
	s_cselect_b32 s46, -1, 0
	s_add_i32 s15, s2, 9
	s_mul_i32 s49, s11, 5
	s_cmp_lt_i32 s15, s33
	s_mul_i32 s50, s11, 6
	s_cselect_b32 s47, -1, 0
	s_add_i32 s0, s2, 10
	s_mul_i32 s51, s11, 7
	s_cmp_lt_i32 s0, s33
	s_mul_i32 s53, s11, 9
	s_cselect_b32 s20, -1, 0
	s_ashr_i32 s15, s11, 31
	s_lshl_b32 s21, s11, 1
	s_lshl_b32 s48, s11, 2
	s_lshl_b64 s[14:15], s[14:15], 2
	s_lshl_b32 s52, s11, 3
	s_mul_i32 s54, s11, 10
	s_mul_i32 s55, s11, 11
	;; [unrolled: 1-line block ×6, first 2 shown]
	s_lshl_b32 s60, s11, 4
	s_mul_i32 s61, s11, 17
	s_mul_i32 s62, s11, 18
	s_mul_i32 s63, s11, 19
	s_mul_i32 s64, s11, 20
	s_mul_i32 s65, s11, 21
	s_mul_i32 s66, s11, 22
	s_mul_i32 s67, s11, 23
	s_mul_i32 s68, s11, 24
	s_mul_i32 s69, s11, 25
	s_mul_i32 s70, s11, 26
	s_mul_i32 s71, s11, 27
	s_mul_i32 s72, s11, 28
	s_mul_i32 s73, s11, 29
	s_mul_i32 s74, s11, 30
	s_mul_i32 s11, s11, 31
	s_branch .LBB60_6
.LBB60_5:                               ;   in Loop: Header=BB60_6 Depth=1
	s_or_b32 exec_lo, exec_lo, s0
	s_delay_alu instid0(VALU_DEP_1)
	v_perm_b32 v83, v83, v85, 0x7060302
	v_add_nc_u32_e32 v84, 0x400, v109
	v_add_nc_u32_e32 v85, 0x600, v109
	v_add_nc_u32_e32 v80, 0x80, v80
	v_add_co_u32 v81, s0, 0x200, v81
	ds_store_2addr_b32 v84, v83, v110 offset0:104 offset1:140
	ds_store_2addr_b32 v84, v110, v110 offset0:176 offset1:212
	;; [unrolled: 1-line block ×3, first 2 shown]
	ds_load_b128 v[83:86], v111
	ds_load_b128 v[87:90], v111 offset:16
	ds_load_b128 v[91:94], v111 offset:32
	ds_load_b128 v[95:98], v111 offset:48
	ds_load_b128 v[112:115], v111 offset:64
	ds_load_b128 v[116:119], v111 offset:80
	v_cmp_le_i32_e32 vcc_lo, s8, v80
	v_add_co_ci_u32_e64 v82, s0, 0, v82, s0
	s_or_b32 s41, vcc_lo, s41
	s_waitcnt lgkmcnt(4)
	v_wmma_f32_16x16x16_bf16 v[8:15], v[56:63], v[83:90], v[8:15]
	ds_load_b128 v[56:59], v111 offset:96
	ds_load_b128 v[60:63], v111 offset:112
	v_wmma_f32_16x16x16_bf16 v[0:7], v[72:79], v[83:90], v[0:7]
	s_waitcnt lgkmcnt(4)
	v_wmma_f32_16x16x16_bf16 v[8:15], v[40:47], v[91:98], v[8:15]
	s_delay_alu instid0(VALU_DEP_2) | instskip(SKIP_1) | instid1(VALU_DEP_2)
	v_wmma_f32_16x16x16_bf16 v[0:7], v[64:71], v[91:98], v[0:7]
	s_waitcnt lgkmcnt(2)
	v_wmma_f32_16x16x16_bf16 v[8:15], v[24:31], v[112:119], v[8:15]
	s_delay_alu instid0(VALU_DEP_2) | instskip(SKIP_1) | instid1(VALU_DEP_2)
	v_wmma_f32_16x16x16_bf16 v[0:7], v[48:55], v[112:119], v[0:7]
	s_waitcnt lgkmcnt(0)
	v_wmma_f32_16x16x16_bf16 v[8:15], v[16:23], v[56:63], v[8:15]
	s_delay_alu instid0(VALU_DEP_2)
	v_wmma_f32_16x16x16_bf16 v[0:7], v[32:39], v[56:63], v[0:7]
	s_and_not1_b32 exec_lo, exec_lo, s41
	s_cbranch_execz .LBB60_127
.LBB60_6:                               ; =>This Inner Loop Header: Depth=1
	v_dual_mov_b32 v103, 0 :: v_dual_add_nc_u32 v16, s21, v80
	v_add_nc_u32_e32 v22, s48, v80
	v_add_nc_u32_e32 v18, s45, v80
	v_add_co_u32 v20, vcc_lo, v81, s14
	s_delay_alu instid0(VALU_DEP_4)
	v_ashrrev_i32_e32 v17, 31, v16
	v_add_co_ci_u32_e32 v21, vcc_lo, s15, v82, vcc_lo
	v_ashrrev_i32_e32 v23, 31, v22
	v_ashrrev_i32_e32 v19, 31, v18
	v_add_nc_u32_e32 v24, s49, v80
	v_lshlrev_b64 v[16:17], 2, v[16:17]
	s_clause 0x1
	global_load_b32 v38, v[81:82], off
	global_load_b32 v39, v[20:21], off
	v_lshlrev_b64 v[20:21], 2, v[22:23]
	v_add_nc_u32_e32 v22, s50, v80
	v_lshlrev_b64 v[18:19], 2, v[18:19]
	v_ashrrev_i32_e32 v25, 31, v24
	v_add_nc_u32_e32 v26, s51, v80
	v_add_co_u32 v16, vcc_lo, s1, v16
	v_ashrrev_i32_e32 v23, 31, v22
	v_add_co_ci_u32_e32 v17, vcc_lo, s4, v17, vcc_lo
	v_add_nc_u32_e32 v28, s52, v80
	v_add_co_u32 v18, vcc_lo, s1, v18
	v_lshlrev_b64 v[24:25], 2, v[24:25]
	v_ashrrev_i32_e32 v27, 31, v26
	v_add_co_ci_u32_e32 v19, vcc_lo, s4, v19, vcc_lo
	v_add_nc_u32_e32 v30, s53, v80
	v_add_co_u32 v20, vcc_lo, s1, v20
	v_lshlrev_b64 v[22:23], 2, v[22:23]
	v_ashrrev_i32_e32 v29, 31, v28
	v_add_co_ci_u32_e32 v21, vcc_lo, s4, v21, vcc_lo
	v_add_co_u32 v24, vcc_lo, s1, v24
	v_lshlrev_b64 v[26:27], 2, v[26:27]
	v_ashrrev_i32_e32 v31, 31, v30
	v_add_co_ci_u32_e32 v25, vcc_lo, s4, v25, vcc_lo
	v_add_co_u32 v22, vcc_lo, s1, v22
	v_lshlrev_b64 v[28:29], 2, v[28:29]
	v_add_co_ci_u32_e32 v23, vcc_lo, s4, v23, vcc_lo
	v_add_nc_u32_e32 v32, s54, v80
	v_add_co_u32 v26, vcc_lo, s1, v26
	v_lshlrev_b64 v[30:31], 2, v[30:31]
	v_add_co_ci_u32_e32 v27, vcc_lo, s4, v27, vcc_lo
	v_add_nc_u32_e32 v34, s55, v80
	v_add_co_u32 v28, vcc_lo, s1, v28
	v_ashrrev_i32_e32 v33, 31, v32
	v_add_co_ci_u32_e32 v29, vcc_lo, s4, v29, vcc_lo
	v_add_nc_u32_e32 v36, s56, v80
	v_add_co_u32 v30, vcc_lo, s1, v30
	v_ashrrev_i32_e32 v35, 31, v34
	v_add_co_ci_u32_e32 v31, vcc_lo, s4, v31, vcc_lo
	s_clause 0x7
	global_load_b32 v40, v[16:17], off
	global_load_b32 v41, v[18:19], off
	global_load_b32 v42, v[20:21], off
	global_load_b32 v43, v[24:25], off
	global_load_b32 v44, v[22:23], off
	global_load_b32 v45, v[26:27], off
	global_load_b32 v46, v[28:29], off
	global_load_b32 v47, v[30:31], off
	v_add_nc_u32_e32 v18, s57, v80
	v_lshlrev_b64 v[32:33], 2, v[32:33]
	v_ashrrev_i32_e32 v37, 31, v36
	v_add_nc_u32_e32 v24, s58, v80
	v_lshlrev_b64 v[16:17], 2, v[34:35]
	v_ashrrev_i32_e32 v19, 31, v18
	v_add_nc_u32_e32 v26, s59, v80
	v_add_co_u32 v20, vcc_lo, s1, v32
	v_lshlrev_b64 v[22:23], 2, v[36:37]
	v_ashrrev_i32_e32 v25, 31, v24
	v_add_co_ci_u32_e32 v21, vcc_lo, s4, v33, vcc_lo
	v_add_nc_u32_e32 v28, s60, v80
	v_add_co_u32 v16, vcc_lo, s1, v16
	v_lshlrev_b64 v[18:19], 2, v[18:19]
	v_ashrrev_i32_e32 v27, 31, v26
	v_add_co_ci_u32_e32 v17, vcc_lo, s4, v17, vcc_lo
	v_add_nc_u32_e32 v30, s61, v80
	v_add_co_u32 v22, vcc_lo, s1, v22
	v_lshlrev_b64 v[24:25], 2, v[24:25]
	v_ashrrev_i32_e32 v29, 31, v28
	v_add_co_ci_u32_e32 v23, vcc_lo, s4, v23, vcc_lo
	v_add_co_u32 v18, vcc_lo, s1, v18
	v_lshlrev_b64 v[26:27], 2, v[26:27]
	v_ashrrev_i32_e32 v31, 31, v30
	v_add_co_ci_u32_e32 v19, vcc_lo, s4, v19, vcc_lo
	v_add_co_u32 v24, vcc_lo, s1, v24
	v_lshlrev_b64 v[28:29], 2, v[28:29]
	v_add_co_ci_u32_e32 v25, vcc_lo, s4, v25, vcc_lo
	v_add_nc_u32_e32 v32, s62, v80
	v_add_co_u32 v26, vcc_lo, s1, v26
	v_lshlrev_b64 v[30:31], 2, v[30:31]
	v_add_co_ci_u32_e32 v27, vcc_lo, s4, v27, vcc_lo
	v_add_nc_u32_e32 v34, s63, v80
	v_add_co_u32 v28, vcc_lo, s1, v28
	v_ashrrev_i32_e32 v33, 31, v32
	v_add_co_ci_u32_e32 v29, vcc_lo, s4, v29, vcc_lo
	v_add_nc_u32_e32 v36, s64, v80
	v_add_co_u32 v30, vcc_lo, s1, v30
	v_ashrrev_i32_e32 v35, 31, v34
	v_add_co_ci_u32_e32 v31, vcc_lo, s4, v31, vcc_lo
	s_clause 0x7
	global_load_b32 v48, v[20:21], off
	global_load_b32 v49, v[16:17], off
	global_load_b32 v50, v[22:23], off
	global_load_b32 v51, v[18:19], off
	global_load_b32 v52, v[24:25], off
	global_load_b32 v53, v[26:27], off
	global_load_b32 v54, v[28:29], off
	global_load_b32 v55, v[30:31], off
	v_add_nc_u32_e32 v18, s65, v80
	v_lshlrev_b64 v[32:33], 2, v[32:33]
	v_ashrrev_i32_e32 v37, 31, v36
	v_add_nc_u32_e32 v24, s66, v80
	v_lshlrev_b64 v[16:17], 2, v[34:35]
	v_ashrrev_i32_e32 v19, 31, v18
	v_add_nc_u32_e32 v26, s67, v80
	v_add_co_u32 v20, vcc_lo, s1, v32
	v_lshlrev_b64 v[22:23], 2, v[36:37]
	;; [unrolled: 49-line block ×3, first 2 shown]
	v_ashrrev_i32_e32 v25, 31, v24
	v_add_co_ci_u32_e32 v21, vcc_lo, s4, v33, vcc_lo
	v_add_co_u32 v16, vcc_lo, s1, v16
	v_lshlrev_b64 v[18:19], 2, v[18:19]
	v_ashrrev_i32_e32 v27, 31, v26
	v_add_co_ci_u32_e32 v17, vcc_lo, s4, v17, vcc_lo
	v_add_co_u32 v22, vcc_lo, s1, v22
	v_lshlrev_b64 v[24:25], 2, v[24:25]
	v_add_co_ci_u32_e32 v23, vcc_lo, s4, v23, vcc_lo
	v_add_co_u32 v18, vcc_lo, s1, v18
	v_lshlrev_b64 v[26:27], 2, v[26:27]
	v_add_co_ci_u32_e32 v19, vcc_lo, s4, v19, vcc_lo
	v_add_co_u32 v24, vcc_lo, s1, v24
	v_add_co_ci_u32_e32 v25, vcc_lo, s4, v25, vcc_lo
	s_delay_alu instid0(VALU_DEP_4)
	v_add_co_u32 v26, vcc_lo, s1, v26
	v_add_co_ci_u32_e32 v27, vcc_lo, s4, v27, vcc_lo
	s_clause 0x5
	global_load_b32 v32, v[20:21], off
	global_load_b32 v33, v[16:17], off
	global_load_b32 v34, v[22:23], off
	global_load_b32 v35, v[18:19], off
	global_load_b32 v36, v[24:25], off
	global_load_b32 v37, v[26:27], off
	v_mov_b32_e32 v104, 0
	s_and_not1_b32 vcc_lo, exec_lo, s37
	s_waitcnt vmcnt(31)
	ds_store_b32 v109, v38
	s_waitcnt vmcnt(30)
	ds_store_b32 v109, v39 offset:144
	s_waitcnt vmcnt(29)
	ds_store_b32 v109, v40 offset:288
	;; [unrolled: 2-line block ×15, first 2 shown]
	ds_load_b128 v[56:59], v111
	ds_load_b128 v[60:63], v111 offset:16
	ds_load_b128 v[40:43], v111 offset:32
	;; [unrolled: 1-line block ×7, first 2 shown]
	s_waitcnt vmcnt(15)
	ds_store_b32 v109, v54
	s_waitcnt vmcnt(14)
	ds_store_b32 v109, v55 offset:144
	s_waitcnt vmcnt(13)
	ds_store_b32 v109, v64 offset:288
	;; [unrolled: 2-line block ×15, first 2 shown]
	ds_load_b128 v[72:75], v111
	ds_load_b128 v[76:79], v111 offset:16
	ds_load_b128 v[64:67], v111 offset:32
	;; [unrolled: 1-line block ×7, first 2 shown]
	s_cbranch_vccnz .LBB60_9
; %bb.7:                                ;   in Loop: Header=BB60_6 Depth=1
	s_load_b32 s0, s[12:13], 0x0
	v_dual_mov_b32 v104, 0 :: v_dual_mov_b32 v103, 0
	s_waitcnt lgkmcnt(0)
	s_mul_hi_u32 s75, s0, s16
	s_delay_alu instid0(SALU_CYCLE_1) | instskip(NEXT) | instid1(SALU_CYCLE_1)
	s_add_i32 s75, s0, s75
	s_lshr_b32 s75, s75, s17
	s_delay_alu instid0(SALU_CYCLE_1)
	s_cmp_ge_i32 s75, s9
	s_cbranch_scc1 .LBB60_9
; %bb.8:                                ;   in Loop: Header=BB60_6 Depth=1
	v_mad_u64_u32 v[83:84], null, s75, s24, v[80:81]
	s_mul_i32 s75, s75, s18
	s_delay_alu instid0(SALU_CYCLE_1) | instskip(NEXT) | instid1(SALU_CYCLE_1)
	s_sub_i32 s0, s0, s75
	s_mul_i32 s0, s0, s5
	s_delay_alu instid0(VALU_DEP_1) | instid1(SALU_CYCLE_1)
	v_lshl_add_u32 v83, v83, 1, s0
	s_delay_alu instid0(VALU_DEP_1) | instskip(NEXT) | instid1(VALU_DEP_1)
	v_ashrrev_i32_e32 v84, 31, v83
	v_lshlrev_b64 v[83:84], 2, v[83:84]
	s_delay_alu instid0(VALU_DEP_1) | instskip(NEXT) | instid1(VALU_DEP_2)
	v_add_co_u32 v83, vcc_lo, s22, v83
	v_add_co_ci_u32_e32 v84, vcc_lo, s23, v84, vcc_lo
	global_load_b64 v[103:104], v[83:84], off
.LBB60_9:                               ;   in Loop: Header=BB60_6 Depth=1
	v_dual_mov_b32 v97, 0 :: v_dual_mov_b32 v102, 0
	v_mov_b32_e32 v101, 0
	s_and_not1_b32 vcc_lo, exec_lo, s3
	s_cbranch_vccnz .LBB60_12
; %bb.10:                               ;   in Loop: Header=BB60_6 Depth=1
	s_load_b32 s0, s[12:13], 0x4
	v_dual_mov_b32 v102, 0 :: v_dual_mov_b32 v101, 0
	s_waitcnt lgkmcnt(0)
	s_mul_hi_u32 s75, s0, s16
	s_delay_alu instid0(SALU_CYCLE_1) | instskip(NEXT) | instid1(SALU_CYCLE_1)
	s_add_i32 s75, s0, s75
	s_lshr_b32 s75, s75, s17
	s_delay_alu instid0(SALU_CYCLE_1)
	s_cmp_ge_i32 s75, s9
	s_cbranch_scc1 .LBB60_12
; %bb.11:                               ;   in Loop: Header=BB60_6 Depth=1
	v_mad_u64_u32 v[83:84], null, s75, s24, v[80:81]
	s_mul_i32 s75, s75, s18
	s_delay_alu instid0(SALU_CYCLE_1) | instskip(NEXT) | instid1(SALU_CYCLE_1)
	s_sub_i32 s0, s0, s75
	s_mul_i32 s0, s0, s5
	s_delay_alu instid0(VALU_DEP_1) | instid1(SALU_CYCLE_1)
	v_lshl_add_u32 v83, v83, 1, s0
	s_delay_alu instid0(VALU_DEP_1) | instskip(NEXT) | instid1(VALU_DEP_1)
	v_ashrrev_i32_e32 v84, 31, v83
	v_lshlrev_b64 v[83:84], 2, v[83:84]
	s_delay_alu instid0(VALU_DEP_1) | instskip(NEXT) | instid1(VALU_DEP_2)
	v_add_co_u32 v83, vcc_lo, s22, v83
	v_add_co_ci_u32_e32 v84, vcc_lo, s23, v84, vcc_lo
	global_load_b64 v[101:102], v[83:84], off
.LBB60_12:                              ;   in Loop: Header=BB60_6 Depth=1
	v_mov_b32_e32 v98, 0
	s_and_not1_b32 vcc_lo, exec_lo, s38
	s_cbranch_vccnz .LBB60_15
; %bb.13:                               ;   in Loop: Header=BB60_6 Depth=1
	s_load_b32 s0, s[12:13], 0x8
	v_dual_mov_b32 v98, 0 :: v_dual_mov_b32 v97, 0
	s_waitcnt lgkmcnt(0)
	s_mul_hi_u32 s75, s0, s16
	s_delay_alu instid0(SALU_CYCLE_1) | instskip(NEXT) | instid1(SALU_CYCLE_1)
	s_add_i32 s75, s0, s75
	s_lshr_b32 s75, s75, s17
	s_delay_alu instid0(SALU_CYCLE_1)
	s_cmp_ge_i32 s75, s9
	s_cbranch_scc1 .LBB60_15
; %bb.14:                               ;   in Loop: Header=BB60_6 Depth=1
	v_mad_u64_u32 v[83:84], null, s75, s24, v[80:81]
	s_mul_i32 s75, s75, s18
	s_delay_alu instid0(SALU_CYCLE_1) | instskip(NEXT) | instid1(SALU_CYCLE_1)
	s_sub_i32 s0, s0, s75
	s_mul_i32 s0, s0, s5
	s_delay_alu instid0(VALU_DEP_1) | instid1(SALU_CYCLE_1)
	v_lshl_add_u32 v83, v83, 1, s0
	s_delay_alu instid0(VALU_DEP_1) | instskip(NEXT) | instid1(VALU_DEP_1)
	v_ashrrev_i32_e32 v84, 31, v83
	v_lshlrev_b64 v[83:84], 2, v[83:84]
	s_delay_alu instid0(VALU_DEP_1) | instskip(NEXT) | instid1(VALU_DEP_2)
	v_add_co_u32 v83, vcc_lo, s22, v83
	v_add_co_ci_u32_e32 v84, vcc_lo, s23, v84, vcc_lo
	global_load_b64 v[97:98], v[83:84], off
.LBB60_15:                              ;   in Loop: Header=BB60_6 Depth=1
	v_dual_mov_b32 v93, 0 :: v_dual_mov_b32 v100, 0
	v_mov_b32_e32 v99, 0
	s_and_not1_b32 vcc_lo, exec_lo, s39
	s_cbranch_vccnz .LBB60_18
; %bb.16:                               ;   in Loop: Header=BB60_6 Depth=1
	s_load_b32 s0, s[12:13], 0xc
	v_dual_mov_b32 v100, 0 :: v_dual_mov_b32 v99, 0
	s_waitcnt lgkmcnt(0)
	s_mul_hi_u32 s75, s0, s16
	s_delay_alu instid0(SALU_CYCLE_1) | instskip(NEXT) | instid1(SALU_CYCLE_1)
	s_add_i32 s75, s0, s75
	s_lshr_b32 s75, s75, s17
	s_delay_alu instid0(SALU_CYCLE_1)
	s_cmp_ge_i32 s75, s9
	s_cbranch_scc1 .LBB60_18
; %bb.17:                               ;   in Loop: Header=BB60_6 Depth=1
	v_mad_u64_u32 v[83:84], null, s75, s24, v[80:81]
	s_mul_i32 s75, s75, s18
	s_delay_alu instid0(SALU_CYCLE_1) | instskip(NEXT) | instid1(SALU_CYCLE_1)
	s_sub_i32 s0, s0, s75
	s_mul_i32 s0, s0, s5
	s_delay_alu instid0(VALU_DEP_1) | instid1(SALU_CYCLE_1)
	v_lshl_add_u32 v83, v83, 1, s0
	s_delay_alu instid0(VALU_DEP_1) | instskip(NEXT) | instid1(VALU_DEP_1)
	v_ashrrev_i32_e32 v84, 31, v83
	v_lshlrev_b64 v[83:84], 2, v[83:84]
	s_delay_alu instid0(VALU_DEP_1) | instskip(NEXT) | instid1(VALU_DEP_2)
	v_add_co_u32 v83, vcc_lo, s22, v83
	v_add_co_ci_u32_e32 v84, vcc_lo, s23, v84, vcc_lo
	global_load_b64 v[99:100], v[83:84], off
.LBB60_18:                              ;   in Loop: Header=BB60_6 Depth=1
	v_mov_b32_e32 v94, 0
	s_and_not1_b32 vcc_lo, exec_lo, s40
	s_cbranch_vccnz .LBB60_21
; %bb.19:                               ;   in Loop: Header=BB60_6 Depth=1
	s_load_b32 s0, s[12:13], 0x10
	v_dual_mov_b32 v94, 0 :: v_dual_mov_b32 v93, 0
	s_waitcnt lgkmcnt(0)
	s_mul_hi_u32 s75, s0, s16
	s_delay_alu instid0(SALU_CYCLE_1) | instskip(NEXT) | instid1(SALU_CYCLE_1)
	s_add_i32 s75, s0, s75
	s_lshr_b32 s75, s75, s17
	s_delay_alu instid0(SALU_CYCLE_1)
	s_cmp_ge_i32 s75, s9
	s_cbranch_scc1 .LBB60_21
; %bb.20:                               ;   in Loop: Header=BB60_6 Depth=1
	v_mad_u64_u32 v[83:84], null, s75, s24, v[80:81]
	s_mul_i32 s75, s75, s18
	s_delay_alu instid0(SALU_CYCLE_1) | instskip(NEXT) | instid1(SALU_CYCLE_1)
	s_sub_i32 s0, s0, s75
	s_mul_i32 s0, s0, s5
	s_delay_alu instid0(VALU_DEP_1) | instid1(SALU_CYCLE_1)
	v_lshl_add_u32 v83, v83, 1, s0
	s_delay_alu instid0(VALU_DEP_1) | instskip(NEXT) | instid1(VALU_DEP_1)
	v_ashrrev_i32_e32 v84, 31, v83
	v_lshlrev_b64 v[83:84], 2, v[83:84]
	s_delay_alu instid0(VALU_DEP_1) | instskip(NEXT) | instid1(VALU_DEP_2)
	v_add_co_u32 v83, vcc_lo, s22, v83
	v_add_co_ci_u32_e32 v84, vcc_lo, s23, v84, vcc_lo
	global_load_b64 v[93:94], v[83:84], off
.LBB60_21:                              ;   in Loop: Header=BB60_6 Depth=1
	;; [unrolled: 61-line block ×5, first 2 shown]
	s_waitcnt vmcnt(0)
	v_and_b32_e32 v112, 0x7f800000, v103
	s_delay_alu instid0(VALU_DEP_1) | instskip(SKIP_1) | instid1(SALU_CYCLE_1)
	v_cmp_ne_u32_e32 vcc_lo, 0x7f800000, v112
                                        ; implicit-def: $vgpr112
	s_and_saveexec_b32 s0, vcc_lo
	s_xor_b32 s0, exec_lo, s0
; %bb.40:                               ;   in Loop: Header=BB60_6 Depth=1
	v_bfe_u32 v112, v103, 16, 1
	s_delay_alu instid0(VALU_DEP_1)
	v_add3_u32 v112, v103, v112, 0x7fff
; %bb.41:                               ;   in Loop: Header=BB60_6 Depth=1
	s_and_not1_saveexec_b32 s0, s0
; %bb.42:                               ;   in Loop: Header=BB60_6 Depth=1
	v_and_b32_e32 v112, 0xffff, v103
	v_or_b32_e32 v113, 0x10000, v103
	s_delay_alu instid0(VALU_DEP_2) | instskip(NEXT) | instid1(VALU_DEP_2)
	v_cmp_eq_u32_e32 vcc_lo, 0, v112
	v_cndmask_b32_e32 v112, v113, v103, vcc_lo
; %bb.43:                               ;   in Loop: Header=BB60_6 Depth=1
	s_or_b32 exec_lo, exec_lo, s0
	v_and_b32_e32 v103, 0x7f800000, v104
	s_delay_alu instid0(VALU_DEP_1) | instskip(SKIP_1) | instid1(SALU_CYCLE_1)
	v_cmp_ne_u32_e32 vcc_lo, 0x7f800000, v103
                                        ; implicit-def: $vgpr103
	s_and_saveexec_b32 s0, vcc_lo
	s_xor_b32 s0, exec_lo, s0
; %bb.44:                               ;   in Loop: Header=BB60_6 Depth=1
	v_bfe_u32 v103, v104, 16, 1
	s_delay_alu instid0(VALU_DEP_1)
	v_add3_u32 v103, v104, v103, 0x7fff
                                        ; implicit-def: $vgpr104
; %bb.45:                               ;   in Loop: Header=BB60_6 Depth=1
	s_and_not1_saveexec_b32 s0, s0
; %bb.46:                               ;   in Loop: Header=BB60_6 Depth=1
	v_and_b32_e32 v103, 0xffff, v104
	v_or_b32_e32 v113, 0x10000, v104
	s_delay_alu instid0(VALU_DEP_2) | instskip(NEXT) | instid1(VALU_DEP_2)
	v_cmp_eq_u32_e32 vcc_lo, 0, v103
	v_cndmask_b32_e32 v103, v113, v104, vcc_lo
; %bb.47:                               ;   in Loop: Header=BB60_6 Depth=1
	s_or_b32 exec_lo, exec_lo, s0
	v_and_b32_e32 v104, 0x7f800000, v101
	s_delay_alu instid0(VALU_DEP_2)
	v_perm_b32 v103, v103, v112, 0x7060302
	s_mov_b32 s0, exec_lo
	ds_store_b32 v109, v103
                                        ; implicit-def: $vgpr103
	v_cmpx_ne_u32_e32 0x7f800000, v104
	s_xor_b32 s0, exec_lo, s0
; %bb.48:                               ;   in Loop: Header=BB60_6 Depth=1
	v_bfe_u32 v103, v101, 16, 1
	s_delay_alu instid0(VALU_DEP_1)
	v_add3_u32 v103, v101, v103, 0x7fff
; %bb.49:                               ;   in Loop: Header=BB60_6 Depth=1
	s_and_not1_saveexec_b32 s0, s0
; %bb.50:                               ;   in Loop: Header=BB60_6 Depth=1
	v_and_b32_e32 v103, 0xffff, v101
	v_or_b32_e32 v104, 0x10000, v101
	s_delay_alu instid0(VALU_DEP_2) | instskip(NEXT) | instid1(VALU_DEP_2)
	v_cmp_eq_u32_e32 vcc_lo, 0, v103
	v_cndmask_b32_e32 v103, v104, v101, vcc_lo
; %bb.51:                               ;   in Loop: Header=BB60_6 Depth=1
	s_or_b32 exec_lo, exec_lo, s0
	v_and_b32_e32 v101, 0x7f800000, v102
	s_delay_alu instid0(VALU_DEP_1) | instskip(SKIP_1) | instid1(SALU_CYCLE_1)
	v_cmp_ne_u32_e32 vcc_lo, 0x7f800000, v101
                                        ; implicit-def: $vgpr101
	s_and_saveexec_b32 s0, vcc_lo
	s_xor_b32 s0, exec_lo, s0
; %bb.52:                               ;   in Loop: Header=BB60_6 Depth=1
	v_bfe_u32 v101, v102, 16, 1
	s_delay_alu instid0(VALU_DEP_1)
	v_add3_u32 v101, v102, v101, 0x7fff
                                        ; implicit-def: $vgpr102
; %bb.53:                               ;   in Loop: Header=BB60_6 Depth=1
	s_and_not1_saveexec_b32 s0, s0
; %bb.54:                               ;   in Loop: Header=BB60_6 Depth=1
	v_and_b32_e32 v101, 0xffff, v102
	v_or_b32_e32 v104, 0x10000, v102
	s_delay_alu instid0(VALU_DEP_2) | instskip(NEXT) | instid1(VALU_DEP_2)
	v_cmp_eq_u32_e32 vcc_lo, 0, v101
	v_cndmask_b32_e32 v101, v104, v102, vcc_lo
; %bb.55:                               ;   in Loop: Header=BB60_6 Depth=1
	s_or_b32 exec_lo, exec_lo, s0
	v_and_b32_e32 v102, 0x7f800000, v97
	s_delay_alu instid0(VALU_DEP_2)
	v_perm_b32 v101, v101, v103, 0x7060302
	s_mov_b32 s0, exec_lo
	ds_store_b32 v109, v101 offset:144
                                        ; implicit-def: $vgpr101
	v_cmpx_ne_u32_e32 0x7f800000, v102
	s_xor_b32 s0, exec_lo, s0
; %bb.56:                               ;   in Loop: Header=BB60_6 Depth=1
	v_bfe_u32 v101, v97, 16, 1
	s_delay_alu instid0(VALU_DEP_1)
	v_add3_u32 v101, v97, v101, 0x7fff
; %bb.57:                               ;   in Loop: Header=BB60_6 Depth=1
	s_and_not1_saveexec_b32 s0, s0
; %bb.58:                               ;   in Loop: Header=BB60_6 Depth=1
	v_and_b32_e32 v101, 0xffff, v97
	v_or_b32_e32 v102, 0x10000, v97
	s_delay_alu instid0(VALU_DEP_2) | instskip(NEXT) | instid1(VALU_DEP_2)
	v_cmp_eq_u32_e32 vcc_lo, 0, v101
	v_cndmask_b32_e32 v101, v102, v97, vcc_lo
; %bb.59:                               ;   in Loop: Header=BB60_6 Depth=1
	s_or_b32 exec_lo, exec_lo, s0
	v_and_b32_e32 v97, 0x7f800000, v98
	s_delay_alu instid0(VALU_DEP_1) | instskip(SKIP_1) | instid1(SALU_CYCLE_1)
	v_cmp_ne_u32_e32 vcc_lo, 0x7f800000, v97
                                        ; implicit-def: $vgpr97
	s_and_saveexec_b32 s0, vcc_lo
	s_xor_b32 s0, exec_lo, s0
; %bb.60:                               ;   in Loop: Header=BB60_6 Depth=1
	v_bfe_u32 v97, v98, 16, 1
	s_delay_alu instid0(VALU_DEP_1)
	v_add3_u32 v97, v98, v97, 0x7fff
                                        ; implicit-def: $vgpr98
; %bb.61:                               ;   in Loop: Header=BB60_6 Depth=1
	s_and_not1_saveexec_b32 s0, s0
; %bb.62:                               ;   in Loop: Header=BB60_6 Depth=1
	v_and_b32_e32 v97, 0xffff, v98
	v_or_b32_e32 v102, 0x10000, v98
	s_delay_alu instid0(VALU_DEP_2) | instskip(NEXT) | instid1(VALU_DEP_2)
	v_cmp_eq_u32_e32 vcc_lo, 0, v97
	v_cndmask_b32_e32 v97, v102, v98, vcc_lo
; %bb.63:                               ;   in Loop: Header=BB60_6 Depth=1
	s_or_b32 exec_lo, exec_lo, s0
	v_and_b32_e32 v98, 0x7f800000, v99
	s_delay_alu instid0(VALU_DEP_2)
	v_perm_b32 v97, v97, v101, 0x7060302
	s_mov_b32 s0, exec_lo
	ds_store_b32 v109, v97 offset:288
                                        ; implicit-def: $vgpr97
	v_cmpx_ne_u32_e32 0x7f800000, v98
	s_xor_b32 s0, exec_lo, s0
; %bb.64:                               ;   in Loop: Header=BB60_6 Depth=1
	v_bfe_u32 v97, v99, 16, 1
	s_delay_alu instid0(VALU_DEP_1)
	v_add3_u32 v97, v99, v97, 0x7fff
; %bb.65:                               ;   in Loop: Header=BB60_6 Depth=1
	s_and_not1_saveexec_b32 s0, s0
; %bb.66:                               ;   in Loop: Header=BB60_6 Depth=1
	v_and_b32_e32 v97, 0xffff, v99
	v_or_b32_e32 v98, 0x10000, v99
	s_delay_alu instid0(VALU_DEP_2) | instskip(NEXT) | instid1(VALU_DEP_2)
	v_cmp_eq_u32_e32 vcc_lo, 0, v97
	v_cndmask_b32_e32 v97, v98, v99, vcc_lo
; %bb.67:                               ;   in Loop: Header=BB60_6 Depth=1
	s_or_b32 exec_lo, exec_lo, s0
	v_and_b32_e32 v98, 0x7f800000, v100
	s_delay_alu instid0(VALU_DEP_1) | instskip(SKIP_1) | instid1(SALU_CYCLE_1)
	v_cmp_ne_u32_e32 vcc_lo, 0x7f800000, v98
                                        ; implicit-def: $vgpr98
	s_and_saveexec_b32 s0, vcc_lo
	s_xor_b32 s0, exec_lo, s0
; %bb.68:                               ;   in Loop: Header=BB60_6 Depth=1
	v_bfe_u32 v98, v100, 16, 1
	s_delay_alu instid0(VALU_DEP_1)
	v_add3_u32 v98, v100, v98, 0x7fff
                                        ; implicit-def: $vgpr100
; %bb.69:                               ;   in Loop: Header=BB60_6 Depth=1
	s_and_not1_saveexec_b32 s0, s0
; %bb.70:                               ;   in Loop: Header=BB60_6 Depth=1
	v_and_b32_e32 v98, 0xffff, v100
	v_or_b32_e32 v99, 0x10000, v100
	s_delay_alu instid0(VALU_DEP_2) | instskip(NEXT) | instid1(VALU_DEP_2)
	v_cmp_eq_u32_e32 vcc_lo, 0, v98
	v_cndmask_b32_e32 v98, v99, v100, vcc_lo
; %bb.71:                               ;   in Loop: Header=BB60_6 Depth=1
	s_or_b32 exec_lo, exec_lo, s0
	v_and_b32_e32 v99, 0x7f800000, v93
	s_delay_alu instid0(VALU_DEP_2)
	v_perm_b32 v97, v98, v97, 0x7060302
	s_mov_b32 s0, exec_lo
	ds_store_b32 v109, v97 offset:432
                                        ; implicit-def: $vgpr97
	v_cmpx_ne_u32_e32 0x7f800000, v99
	s_xor_b32 s0, exec_lo, s0
; %bb.72:                               ;   in Loop: Header=BB60_6 Depth=1
	v_bfe_u32 v97, v93, 16, 1
	s_delay_alu instid0(VALU_DEP_1)
	v_add3_u32 v97, v93, v97, 0x7fff
; %bb.73:                               ;   in Loop: Header=BB60_6 Depth=1
	s_and_not1_saveexec_b32 s0, s0
; %bb.74:                               ;   in Loop: Header=BB60_6 Depth=1
	v_and_b32_e32 v97, 0xffff, v93
	v_or_b32_e32 v98, 0x10000, v93
	s_delay_alu instid0(VALU_DEP_2) | instskip(NEXT) | instid1(VALU_DEP_2)
	v_cmp_eq_u32_e32 vcc_lo, 0, v97
	v_cndmask_b32_e32 v97, v98, v93, vcc_lo
; %bb.75:                               ;   in Loop: Header=BB60_6 Depth=1
	s_or_b32 exec_lo, exec_lo, s0
	v_and_b32_e32 v93, 0x7f800000, v94
	s_delay_alu instid0(VALU_DEP_1) | instskip(SKIP_1) | instid1(SALU_CYCLE_1)
	v_cmp_ne_u32_e32 vcc_lo, 0x7f800000, v93
                                        ; implicit-def: $vgpr93
	s_and_saveexec_b32 s0, vcc_lo
	s_xor_b32 s0, exec_lo, s0
; %bb.76:                               ;   in Loop: Header=BB60_6 Depth=1
	v_bfe_u32 v93, v94, 16, 1
	s_delay_alu instid0(VALU_DEP_1)
	v_add3_u32 v93, v94, v93, 0x7fff
                                        ; implicit-def: $vgpr94
; %bb.77:                               ;   in Loop: Header=BB60_6 Depth=1
	s_and_not1_saveexec_b32 s0, s0
; %bb.78:                               ;   in Loop: Header=BB60_6 Depth=1
	v_and_b32_e32 v93, 0xffff, v94
	v_or_b32_e32 v98, 0x10000, v94
	s_delay_alu instid0(VALU_DEP_2) | instskip(NEXT) | instid1(VALU_DEP_2)
	v_cmp_eq_u32_e32 vcc_lo, 0, v93
	v_cndmask_b32_e32 v93, v98, v94, vcc_lo
; %bb.79:                               ;   in Loop: Header=BB60_6 Depth=1
	s_or_b32 exec_lo, exec_lo, s0
	v_and_b32_e32 v94, 0x7f800000, v95
	s_delay_alu instid0(VALU_DEP_2)
	v_perm_b32 v93, v93, v97, 0x7060302
	s_mov_b32 s0, exec_lo
	ds_store_b32 v109, v93 offset:576
                                        ; implicit-def: $vgpr93
	v_cmpx_ne_u32_e32 0x7f800000, v94
	s_xor_b32 s0, exec_lo, s0
; %bb.80:                               ;   in Loop: Header=BB60_6 Depth=1
	v_bfe_u32 v93, v95, 16, 1
	s_delay_alu instid0(VALU_DEP_1)
	v_add3_u32 v93, v95, v93, 0x7fff
; %bb.81:                               ;   in Loop: Header=BB60_6 Depth=1
	s_and_not1_saveexec_b32 s0, s0
; %bb.82:                               ;   in Loop: Header=BB60_6 Depth=1
	v_and_b32_e32 v93, 0xffff, v95
	v_or_b32_e32 v94, 0x10000, v95
	s_delay_alu instid0(VALU_DEP_2) | instskip(NEXT) | instid1(VALU_DEP_2)
	v_cmp_eq_u32_e32 vcc_lo, 0, v93
	v_cndmask_b32_e32 v93, v94, v95, vcc_lo
; %bb.83:                               ;   in Loop: Header=BB60_6 Depth=1
	s_or_b32 exec_lo, exec_lo, s0
	v_and_b32_e32 v94, 0x7f800000, v96
	s_delay_alu instid0(VALU_DEP_1) | instskip(SKIP_1) | instid1(SALU_CYCLE_1)
	v_cmp_ne_u32_e32 vcc_lo, 0x7f800000, v94
                                        ; implicit-def: $vgpr94
	s_and_saveexec_b32 s0, vcc_lo
	s_xor_b32 s0, exec_lo, s0
; %bb.84:                               ;   in Loop: Header=BB60_6 Depth=1
	v_bfe_u32 v94, v96, 16, 1
	s_delay_alu instid0(VALU_DEP_1)
	v_add3_u32 v94, v96, v94, 0x7fff
                                        ; implicit-def: $vgpr96
; %bb.85:                               ;   in Loop: Header=BB60_6 Depth=1
	s_and_not1_saveexec_b32 s0, s0
; %bb.86:                               ;   in Loop: Header=BB60_6 Depth=1
	v_and_b32_e32 v94, 0xffff, v96
	v_or_b32_e32 v95, 0x10000, v96
	s_delay_alu instid0(VALU_DEP_2) | instskip(NEXT) | instid1(VALU_DEP_2)
	v_cmp_eq_u32_e32 vcc_lo, 0, v94
	v_cndmask_b32_e32 v94, v95, v96, vcc_lo
; %bb.87:                               ;   in Loop: Header=BB60_6 Depth=1
	s_or_b32 exec_lo, exec_lo, s0
	v_and_b32_e32 v95, 0x7f800000, v89
	s_delay_alu instid0(VALU_DEP_2)
	v_perm_b32 v93, v94, v93, 0x7060302
	s_mov_b32 s0, exec_lo
	ds_store_b32 v109, v93 offset:720
                                        ; implicit-def: $vgpr93
	v_cmpx_ne_u32_e32 0x7f800000, v95
	s_xor_b32 s0, exec_lo, s0
; %bb.88:                               ;   in Loop: Header=BB60_6 Depth=1
	v_bfe_u32 v93, v89, 16, 1
	s_delay_alu instid0(VALU_DEP_1)
	v_add3_u32 v93, v89, v93, 0x7fff
; %bb.89:                               ;   in Loop: Header=BB60_6 Depth=1
	s_and_not1_saveexec_b32 s0, s0
; %bb.90:                               ;   in Loop: Header=BB60_6 Depth=1
	v_and_b32_e32 v93, 0xffff, v89
	v_or_b32_e32 v94, 0x10000, v89
	s_delay_alu instid0(VALU_DEP_2) | instskip(NEXT) | instid1(VALU_DEP_2)
	v_cmp_eq_u32_e32 vcc_lo, 0, v93
	v_cndmask_b32_e32 v93, v94, v89, vcc_lo
; %bb.91:                               ;   in Loop: Header=BB60_6 Depth=1
	s_or_b32 exec_lo, exec_lo, s0
	v_and_b32_e32 v89, 0x7f800000, v90
	s_delay_alu instid0(VALU_DEP_1) | instskip(SKIP_1) | instid1(SALU_CYCLE_1)
	v_cmp_ne_u32_e32 vcc_lo, 0x7f800000, v89
                                        ; implicit-def: $vgpr89
	s_and_saveexec_b32 s0, vcc_lo
	s_xor_b32 s0, exec_lo, s0
; %bb.92:                               ;   in Loop: Header=BB60_6 Depth=1
	v_bfe_u32 v89, v90, 16, 1
	s_delay_alu instid0(VALU_DEP_1)
	v_add3_u32 v89, v90, v89, 0x7fff
                                        ; implicit-def: $vgpr90
; %bb.93:                               ;   in Loop: Header=BB60_6 Depth=1
	s_and_not1_saveexec_b32 s0, s0
; %bb.94:                               ;   in Loop: Header=BB60_6 Depth=1
	v_and_b32_e32 v89, 0xffff, v90
	v_or_b32_e32 v94, 0x10000, v90
	s_delay_alu instid0(VALU_DEP_2) | instskip(NEXT) | instid1(VALU_DEP_2)
	v_cmp_eq_u32_e32 vcc_lo, 0, v89
	v_cndmask_b32_e32 v89, v94, v90, vcc_lo
; %bb.95:                               ;   in Loop: Header=BB60_6 Depth=1
	s_or_b32 exec_lo, exec_lo, s0
	v_and_b32_e32 v90, 0x7f800000, v91
	s_delay_alu instid0(VALU_DEP_2)
	v_perm_b32 v89, v89, v93, 0x7060302
	s_mov_b32 s0, exec_lo
	ds_store_b32 v109, v89 offset:864
                                        ; implicit-def: $vgpr89
	v_cmpx_ne_u32_e32 0x7f800000, v90
	s_xor_b32 s0, exec_lo, s0
; %bb.96:                               ;   in Loop: Header=BB60_6 Depth=1
	v_bfe_u32 v89, v91, 16, 1
	s_delay_alu instid0(VALU_DEP_1)
	v_add3_u32 v89, v91, v89, 0x7fff
; %bb.97:                               ;   in Loop: Header=BB60_6 Depth=1
	s_and_not1_saveexec_b32 s0, s0
; %bb.98:                               ;   in Loop: Header=BB60_6 Depth=1
	v_and_b32_e32 v89, 0xffff, v91
	v_or_b32_e32 v90, 0x10000, v91
	s_delay_alu instid0(VALU_DEP_2) | instskip(NEXT) | instid1(VALU_DEP_2)
	v_cmp_eq_u32_e32 vcc_lo, 0, v89
	v_cndmask_b32_e32 v89, v90, v91, vcc_lo
; %bb.99:                               ;   in Loop: Header=BB60_6 Depth=1
	s_or_b32 exec_lo, exec_lo, s0
	v_and_b32_e32 v90, 0x7f800000, v92
	s_delay_alu instid0(VALU_DEP_1) | instskip(SKIP_1) | instid1(SALU_CYCLE_1)
	v_cmp_ne_u32_e32 vcc_lo, 0x7f800000, v90
                                        ; implicit-def: $vgpr90
	s_and_saveexec_b32 s0, vcc_lo
	s_xor_b32 s0, exec_lo, s0
; %bb.100:                              ;   in Loop: Header=BB60_6 Depth=1
	v_bfe_u32 v90, v92, 16, 1
	s_delay_alu instid0(VALU_DEP_1)
	v_add3_u32 v90, v92, v90, 0x7fff
                                        ; implicit-def: $vgpr92
; %bb.101:                              ;   in Loop: Header=BB60_6 Depth=1
	s_and_not1_saveexec_b32 s0, s0
; %bb.102:                              ;   in Loop: Header=BB60_6 Depth=1
	v_and_b32_e32 v90, 0xffff, v92
	v_or_b32_e32 v91, 0x10000, v92
	s_delay_alu instid0(VALU_DEP_2) | instskip(NEXT) | instid1(VALU_DEP_2)
	v_cmp_eq_u32_e32 vcc_lo, 0, v90
	v_cndmask_b32_e32 v90, v91, v92, vcc_lo
; %bb.103:                              ;   in Loop: Header=BB60_6 Depth=1
	s_or_b32 exec_lo, exec_lo, s0
	v_and_b32_e32 v91, 0x7f800000, v85
	s_delay_alu instid0(VALU_DEP_2)
	v_perm_b32 v89, v90, v89, 0x7060302
	s_mov_b32 s0, exec_lo
	ds_store_b32 v109, v89 offset:1008
                                        ; implicit-def: $vgpr89
	v_cmpx_ne_u32_e32 0x7f800000, v91
	s_xor_b32 s0, exec_lo, s0
; %bb.104:                              ;   in Loop: Header=BB60_6 Depth=1
	v_bfe_u32 v89, v85, 16, 1
	s_delay_alu instid0(VALU_DEP_1)
	v_add3_u32 v89, v85, v89, 0x7fff
; %bb.105:                              ;   in Loop: Header=BB60_6 Depth=1
	s_and_not1_saveexec_b32 s0, s0
; %bb.106:                              ;   in Loop: Header=BB60_6 Depth=1
	v_and_b32_e32 v89, 0xffff, v85
	v_or_b32_e32 v90, 0x10000, v85
	s_delay_alu instid0(VALU_DEP_2) | instskip(NEXT) | instid1(VALU_DEP_2)
	v_cmp_eq_u32_e32 vcc_lo, 0, v89
	v_cndmask_b32_e32 v89, v90, v85, vcc_lo
; %bb.107:                              ;   in Loop: Header=BB60_6 Depth=1
	s_or_b32 exec_lo, exec_lo, s0
	v_and_b32_e32 v85, 0x7f800000, v86
	s_delay_alu instid0(VALU_DEP_1) | instskip(SKIP_1) | instid1(SALU_CYCLE_1)
	v_cmp_ne_u32_e32 vcc_lo, 0x7f800000, v85
                                        ; implicit-def: $vgpr85
	s_and_saveexec_b32 s0, vcc_lo
	s_xor_b32 s0, exec_lo, s0
; %bb.108:                              ;   in Loop: Header=BB60_6 Depth=1
	v_bfe_u32 v85, v86, 16, 1
	s_delay_alu instid0(VALU_DEP_1)
	v_add3_u32 v85, v86, v85, 0x7fff
                                        ; implicit-def: $vgpr86
; %bb.109:                              ;   in Loop: Header=BB60_6 Depth=1
	s_and_not1_saveexec_b32 s0, s0
; %bb.110:                              ;   in Loop: Header=BB60_6 Depth=1
	v_and_b32_e32 v85, 0xffff, v86
	v_or_b32_e32 v90, 0x10000, v86
	s_delay_alu instid0(VALU_DEP_2) | instskip(NEXT) | instid1(VALU_DEP_2)
	v_cmp_eq_u32_e32 vcc_lo, 0, v85
	v_cndmask_b32_e32 v85, v90, v86, vcc_lo
; %bb.111:                              ;   in Loop: Header=BB60_6 Depth=1
	s_or_b32 exec_lo, exec_lo, s0
	v_and_b32_e32 v86, 0x7f800000, v87
	s_delay_alu instid0(VALU_DEP_2)
	v_perm_b32 v85, v85, v89, 0x7060302
	s_mov_b32 s0, exec_lo
	ds_store_b32 v109, v85 offset:1152
                                        ; implicit-def: $vgpr85
	v_cmpx_ne_u32_e32 0x7f800000, v86
	s_xor_b32 s0, exec_lo, s0
; %bb.112:                              ;   in Loop: Header=BB60_6 Depth=1
	v_bfe_u32 v85, v87, 16, 1
	s_delay_alu instid0(VALU_DEP_1)
	v_add3_u32 v85, v87, v85, 0x7fff
; %bb.113:                              ;   in Loop: Header=BB60_6 Depth=1
	s_and_not1_saveexec_b32 s0, s0
; %bb.114:                              ;   in Loop: Header=BB60_6 Depth=1
	v_and_b32_e32 v85, 0xffff, v87
	v_or_b32_e32 v86, 0x10000, v87
	s_delay_alu instid0(VALU_DEP_2) | instskip(NEXT) | instid1(VALU_DEP_2)
	v_cmp_eq_u32_e32 vcc_lo, 0, v85
	v_cndmask_b32_e32 v85, v86, v87, vcc_lo
; %bb.115:                              ;   in Loop: Header=BB60_6 Depth=1
	s_or_b32 exec_lo, exec_lo, s0
	v_and_b32_e32 v86, 0x7f800000, v88
	s_delay_alu instid0(VALU_DEP_1) | instskip(SKIP_1) | instid1(SALU_CYCLE_1)
	v_cmp_ne_u32_e32 vcc_lo, 0x7f800000, v86
                                        ; implicit-def: $vgpr86
	s_and_saveexec_b32 s0, vcc_lo
	s_xor_b32 s0, exec_lo, s0
; %bb.116:                              ;   in Loop: Header=BB60_6 Depth=1
	v_bfe_u32 v86, v88, 16, 1
	s_delay_alu instid0(VALU_DEP_1)
	v_add3_u32 v86, v88, v86, 0x7fff
                                        ; implicit-def: $vgpr88
; %bb.117:                              ;   in Loop: Header=BB60_6 Depth=1
	s_and_not1_saveexec_b32 s0, s0
; %bb.118:                              ;   in Loop: Header=BB60_6 Depth=1
	v_and_b32_e32 v86, 0xffff, v88
	v_or_b32_e32 v87, 0x10000, v88
	s_delay_alu instid0(VALU_DEP_2) | instskip(NEXT) | instid1(VALU_DEP_2)
	v_cmp_eq_u32_e32 vcc_lo, 0, v86
	v_cndmask_b32_e32 v86, v87, v88, vcc_lo
; %bb.119:                              ;   in Loop: Header=BB60_6 Depth=1
	s_or_b32 exec_lo, exec_lo, s0
	v_and_b32_e32 v87, 0x7f800000, v83
	s_delay_alu instid0(VALU_DEP_2)
	v_perm_b32 v85, v86, v85, 0x7060302
	s_mov_b32 s0, exec_lo
	ds_store_b32 v109, v85 offset:1296
                                        ; implicit-def: $vgpr85
	v_cmpx_ne_u32_e32 0x7f800000, v87
	s_xor_b32 s0, exec_lo, s0
; %bb.120:                              ;   in Loop: Header=BB60_6 Depth=1
	v_bfe_u32 v85, v83, 16, 1
	s_delay_alu instid0(VALU_DEP_1)
	v_add3_u32 v85, v83, v85, 0x7fff
; %bb.121:                              ;   in Loop: Header=BB60_6 Depth=1
	s_and_not1_saveexec_b32 s0, s0
; %bb.122:                              ;   in Loop: Header=BB60_6 Depth=1
	v_and_b32_e32 v85, 0xffff, v83
	v_or_b32_e32 v86, 0x10000, v83
	s_delay_alu instid0(VALU_DEP_2) | instskip(NEXT) | instid1(VALU_DEP_2)
	v_cmp_eq_u32_e32 vcc_lo, 0, v85
	v_cndmask_b32_e32 v85, v86, v83, vcc_lo
; %bb.123:                              ;   in Loop: Header=BB60_6 Depth=1
	s_or_b32 exec_lo, exec_lo, s0
	v_and_b32_e32 v83, 0x7f800000, v84
	s_delay_alu instid0(VALU_DEP_1) | instskip(SKIP_1) | instid1(SALU_CYCLE_1)
	v_cmp_ne_u32_e32 vcc_lo, 0x7f800000, v83
                                        ; implicit-def: $vgpr83
	s_and_saveexec_b32 s0, vcc_lo
	s_xor_b32 s0, exec_lo, s0
; %bb.124:                              ;   in Loop: Header=BB60_6 Depth=1
	v_bfe_u32 v83, v84, 16, 1
	s_delay_alu instid0(VALU_DEP_1)
	v_add3_u32 v83, v84, v83, 0x7fff
                                        ; implicit-def: $vgpr84
; %bb.125:                              ;   in Loop: Header=BB60_6 Depth=1
	s_and_not1_saveexec_b32 s0, s0
	s_cbranch_execz .LBB60_5
; %bb.126:                              ;   in Loop: Header=BB60_6 Depth=1
	v_and_b32_e32 v83, 0xffff, v84
	v_or_b32_e32 v86, 0x10000, v84
	s_delay_alu instid0(VALU_DEP_2) | instskip(NEXT) | instid1(VALU_DEP_2)
	v_cmp_eq_u32_e32 vcc_lo, 0, v83
	v_cndmask_b32_e32 v83, v86, v84, vcc_lo
	s_branch .LBB60_5
.LBB60_127:
	s_or_b32 exec_lo, exec_lo, s41
.LBB60_128:
	s_delay_alu instid0(SALU_CYCLE_1)
	s_or_b32 exec_lo, exec_lo, s36
	v_lshrrev_b32_e32 v16, 2, v106
	v_mad_u32_u24 v17, 0x210, v108, 0
	v_lshlrev_b32_e32 v18, 2, v107
	s_waitcnt lgkmcnt(0)
	s_barrier
	v_and_b32_e32 v16, 0xfc, v16
	buffer_gl0_inv
	s_lshl_b64 s[4:5], s[30:31], 2
	v_cmp_gt_u32_e64 s0, 11, v105
	s_add_u32 s1, s34, s4
	v_add3_u32 v16, v17, v16, v18
	s_addc_u32 s3, s35, s5
	s_cmp_gt_i32 s10, 0
	ds_store_2addr_b32 v16, v8, v9 offset1:2
	ds_store_2addr_b32 v16, v10, v11 offset0:4 offset1:6
	ds_store_2addr_b32 v16, v12, v13 offset0:8 offset1:10
	;; [unrolled: 1-line block ×6, first 2 shown]
	v_add_nc_u32_e32 v0, s2, v105
	s_cselect_b32 s4, -1, 0
	v_lshl_add_u32 v3, v106, 2, 0
	v_add_nc_u32_e32 v2, s7, v106
	v_mul_u32_u24_e32 v4, 0x210, v105
	v_cmp_gt_i32_e32 vcc_lo, s33, v0
	ds_store_2addr_b32 v16, v6, v7 offset0:28 offset1:30
	s_waitcnt lgkmcnt(0)
	s_barrier
	buffer_gl0_inv
	s_and_b32 s5, s4, vcc_lo
	s_delay_alu instid0(SALU_CYCLE_1) | instskip(NEXT) | instid1(SALU_CYCLE_1)
	s_and_b32 s5, s0, s5
	s_and_saveexec_b32 s0, s5
	s_cbranch_execz .LBB60_131
; %bb.129:
	v_ashrrev_i32_e32 v1, 31, v0
	s_delay_alu instid0(VALU_DEP_1) | instskip(NEXT) | instid1(VALU_DEP_1)
	v_lshlrev_b64 v[5:6], 2, v[0:1]
	v_add_co_u32 v5, vcc_lo, s1, v5
	s_delay_alu instid0(VALU_DEP_2) | instskip(SKIP_3) | instid1(VALU_DEP_1)
	v_add_co_ci_u32_e32 v6, vcc_lo, s3, v6, vcc_lo
	global_load_b32 v1, v[5:6], off
	s_waitcnt vmcnt(0)
	v_mul_hi_u32 v5, v1, s19
	v_add_nc_u32_e32 v5, v1, v5
	s_delay_alu instid0(VALU_DEP_1) | instskip(NEXT) | instid1(VALU_DEP_1)
	v_lshrrev_b32_e32 v5, s26, v5
	v_cmp_gt_i32_e32 vcc_lo, s9, v5
	s_and_b32 exec_lo, exec_lo, vcc_lo
	s_cbranch_execz .LBB60_131
; %bb.130:
	v_add_nc_u32_e32 v8, v3, v4
	v_mul_lo_u32 v10, v5, s27
	v_mul_lo_u32 v5, v5, s25
	ds_load_2addr_b32 v[6:7], v8 offset1:32
	v_sub_nc_u32_e32 v1, v1, v10
	s_delay_alu instid0(VALU_DEP_1) | instskip(NEXT) | instid1(VALU_DEP_1)
	v_mul_lo_u32 v1, v1, s6
	v_add3_u32 v5, v2, v5, v1
	s_waitcnt lgkmcnt(0)
	v_add_f32_e32 v10, 0, v6
	s_delay_alu instid0(VALU_DEP_1) | instskip(SKIP_3) | instid1(VALU_DEP_1)
	v_add_f32_e32 v7, v10, v7
	ds_load_2addr_b32 v[8:9], v8 offset0:64 offset1:96
	s_waitcnt lgkmcnt(0)
	v_dual_add_f32 v1, v7, v8 :: v_dual_mov_b32 v6, 0
	v_add_f32_e32 v1, v1, v9
	s_delay_alu instid0(VALU_DEP_2) | instskip(NEXT) | instid1(VALU_DEP_1)
	v_lshlrev_b64 v[5:6], 2, v[5:6]
	v_add_co_u32 v5, vcc_lo, s28, v5
	s_delay_alu instid0(VALU_DEP_2)
	v_add_co_ci_u32_e32 v6, vcc_lo, s29, v6, vcc_lo
	global_store_b32 v[5:6], v1, off
.LBB60_131:
	s_or_b32 exec_lo, exec_lo, s0
	v_add_nc_u32_e32 v0, 4, v0
	v_cmp_gt_u32_e64 s0, 7, v105
	s_delay_alu instid0(VALU_DEP_2)
	v_cmp_gt_i32_e32 vcc_lo, s33, v0
	s_and_b32 s5, s4, vcc_lo
	s_delay_alu instid0(VALU_DEP_2) | instid1(SALU_CYCLE_1)
	s_and_b32 s5, s0, s5
	s_delay_alu instid0(SALU_CYCLE_1)
	s_and_saveexec_b32 s0, s5
	s_cbranch_execz .LBB60_134
; %bb.132:
	s_ashr_i32 s5, s2, 31
	v_add_co_u32 v0, s7, v105, s2
	s_delay_alu instid0(VALU_DEP_1) | instskip(NEXT) | instid1(VALU_DEP_1)
	v_add_co_ci_u32_e64 v1, null, 0, s5, s7
	v_lshlrev_b64 v[0:1], 2, v[0:1]
	s_delay_alu instid0(VALU_DEP_1) | instskip(NEXT) | instid1(VALU_DEP_2)
	v_add_co_u32 v0, vcc_lo, s1, v0
	v_add_co_ci_u32_e32 v1, vcc_lo, s3, v1, vcc_lo
	global_load_b32 v0, v[0:1], off offset:16
	s_waitcnt vmcnt(0)
	v_mul_hi_u32 v1, v0, s19
	s_delay_alu instid0(VALU_DEP_1) | instskip(NEXT) | instid1(VALU_DEP_1)
	v_add_nc_u32_e32 v1, v0, v1
	v_lshrrev_b32_e32 v5, s26, v1
	v_mov_b32_e32 v1, 0
	s_delay_alu instid0(VALU_DEP_2)
	v_cmp_gt_i32_e32 vcc_lo, s9, v5
	s_and_b32 exec_lo, exec_lo, vcc_lo
	s_cbranch_execz .LBB60_134
; %bb.133:
	v_add_nc_u32_e32 v4, v4, v3
	v_mul_lo_u32 v10, v5, s27
	s_delay_alu instid0(VALU_DEP_2) | instskip(NEXT) | instid1(VALU_DEP_2)
	v_add_nc_u32_e32 v4, 0x800, v4
	v_sub_nc_u32_e32 v0, v0, v10
	ds_load_2addr_b32 v[6:7], v4 offset0:16 offset1:48
	ds_load_2addr_b32 v[8:9], v4 offset0:80 offset1:112
	v_mul_lo_u32 v4, v5, s25
	v_mul_lo_u32 v0, v0, s6
	s_delay_alu instid0(VALU_DEP_1) | instskip(NEXT) | instid1(VALU_DEP_1)
	v_add3_u32 v0, v2, v4, v0
	v_lshlrev_b64 v[0:1], 2, v[0:1]
	s_waitcnt lgkmcnt(1)
	v_add_f32_e32 v5, 0, v6
	s_delay_alu instid0(VALU_DEP_2) | instskip(NEXT) | instid1(VALU_DEP_2)
	v_add_co_u32 v0, vcc_lo, s28, v0
	v_add_f32_e32 v5, v5, v7
	s_delay_alu instid0(VALU_DEP_4) | instskip(SKIP_1) | instid1(VALU_DEP_2)
	v_add_co_ci_u32_e32 v1, vcc_lo, s29, v1, vcc_lo
	s_waitcnt lgkmcnt(0)
	v_add_f32_e32 v4, v5, v8
	s_delay_alu instid0(VALU_DEP_1)
	v_add_f32_e32 v4, v4, v9
	global_store_b32 v[0:1], v4, off
.LBB60_134:
	s_or_b32 exec_lo, exec_lo, s0
	s_delay_alu instid0(SALU_CYCLE_1)
	s_mov_b32 s0, exec_lo
	v_cmpx_gt_u32_e32 3, v105
	s_cbranch_execz .LBB60_138
; %bb.135:
	v_or_b32_e32 v0, 8, v105
	s_delay_alu instid0(VALU_DEP_1) | instskip(NEXT) | instid1(VALU_DEP_1)
	v_add_nc_u32_e32 v1, s2, v0
	v_cmp_gt_i32_e32 vcc_lo, s33, v1
	s_and_b32 s0, s4, vcc_lo
	s_delay_alu instid0(SALU_CYCLE_1)
	s_and_b32 exec_lo, exec_lo, s0
	s_cbranch_execz .LBB60_138
; %bb.136:
	s_ashr_i32 s0, s2, 31
	v_add_co_u32 v4, s2, v105, s2
	s_delay_alu instid0(VALU_DEP_1) | instskip(NEXT) | instid1(VALU_DEP_1)
	v_add_co_ci_u32_e64 v5, null, 0, s0, s2
	v_lshlrev_b64 v[4:5], 2, v[4:5]
	s_delay_alu instid0(VALU_DEP_1) | instskip(NEXT) | instid1(VALU_DEP_2)
	v_add_co_u32 v4, vcc_lo, s1, v4
	v_add_co_ci_u32_e32 v5, vcc_lo, s3, v5, vcc_lo
	global_load_b32 v4, v[4:5], off offset:32
	s_waitcnt vmcnt(0)
	v_mul_hi_u32 v1, v4, s19
	s_delay_alu instid0(VALU_DEP_1) | instskip(NEXT) | instid1(VALU_DEP_1)
	v_add_nc_u32_e32 v1, v4, v1
	v_lshrrev_b32_e32 v5, s26, v1
	v_mov_b32_e32 v1, 0
	s_delay_alu instid0(VALU_DEP_2)
	v_cmp_gt_i32_e32 vcc_lo, s9, v5
	s_and_b32 exec_lo, exec_lo, vcc_lo
	s_cbranch_execz .LBB60_138
; %bb.137:
	v_mad_u32_u24 v0, 0x210, v0, v3
	v_mul_lo_u32 v3, v5, s27
	ds_load_2addr_b32 v[6:7], v0 offset1:32
	ds_load_2addr_b32 v[8:9], v0 offset0:64 offset1:96
	v_sub_nc_u32_e32 v0, v4, v3
	v_mul_lo_u32 v3, v5, s25
	s_delay_alu instid0(VALU_DEP_2) | instskip(NEXT) | instid1(VALU_DEP_1)
	v_mul_lo_u32 v0, v0, s6
	v_add3_u32 v0, v2, v3, v0
	s_waitcnt lgkmcnt(1)
	v_add_f32_e32 v4, 0, v6
	s_delay_alu instid0(VALU_DEP_2) | instskip(NEXT) | instid1(VALU_DEP_2)
	v_lshlrev_b64 v[0:1], 2, v[0:1]
	v_add_f32_e32 v4, v4, v7
	s_delay_alu instid0(VALU_DEP_2) | instskip(SKIP_1) | instid1(VALU_DEP_2)
	v_add_co_u32 v0, vcc_lo, s28, v0
	s_waitcnt lgkmcnt(0)
	v_add_f32_e32 v2, v4, v8
	s_delay_alu instid0(VALU_DEP_4) | instskip(NEXT) | instid1(VALU_DEP_2)
	v_add_co_ci_u32_e32 v1, vcc_lo, s29, v1, vcc_lo
	v_add_f32_e32 v2, v2, v9
	global_store_b32 v[0:1], v2, off
.LBB60_138:
	s_nop 0
	s_sendmsg sendmsg(MSG_DEALLOC_VGPRS)
	s_endpgm
	.section	.rodata,"a",@progbits
	.p2align	6, 0x0
	.amdhsa_kernel _ZL13mul_mat_f_idsI15__hip_bfloat162Li32ELi11ELi4EEvPKT_PKfPKiS7_S7_Pfiiiiiiiiiiiiii15HIP_vector_typeIjLj3EESA_
		.amdhsa_group_segment_fixed_size 0
		.amdhsa_private_segment_fixed_size 0
		.amdhsa_kernarg_size 128
		.amdhsa_user_sgpr_count 13
		.amdhsa_user_sgpr_dispatch_ptr 0
		.amdhsa_user_sgpr_queue_ptr 0
		.amdhsa_user_sgpr_kernarg_segment_ptr 1
		.amdhsa_user_sgpr_dispatch_id 0
		.amdhsa_user_sgpr_private_segment_size 0
		.amdhsa_wavefront_size32 1
		.amdhsa_uses_dynamic_stack 0
		.amdhsa_enable_private_segment 0
		.amdhsa_system_sgpr_workgroup_id_x 1
		.amdhsa_system_sgpr_workgroup_id_y 1
		.amdhsa_system_sgpr_workgroup_id_z 1
		.amdhsa_system_sgpr_workgroup_info 0
		.amdhsa_system_vgpr_workitem_id 1
		.amdhsa_next_free_vgpr 120
		.amdhsa_next_free_sgpr 76
		.amdhsa_reserve_vcc 1
		.amdhsa_float_round_mode_32 0
		.amdhsa_float_round_mode_16_64 0
		.amdhsa_float_denorm_mode_32 3
		.amdhsa_float_denorm_mode_16_64 3
		.amdhsa_dx10_clamp 1
		.amdhsa_ieee_mode 1
		.amdhsa_fp16_overflow 0
		.amdhsa_workgroup_processor_mode 1
		.amdhsa_memory_ordered 1
		.amdhsa_forward_progress 0
		.amdhsa_shared_vgpr_count 0
		.amdhsa_exception_fp_ieee_invalid_op 0
		.amdhsa_exception_fp_denorm_src 0
		.amdhsa_exception_fp_ieee_div_zero 0
		.amdhsa_exception_fp_ieee_overflow 0
		.amdhsa_exception_fp_ieee_underflow 0
		.amdhsa_exception_fp_ieee_inexact 0
		.amdhsa_exception_int_div_zero 0
	.end_amdhsa_kernel
	.section	.text._ZL13mul_mat_f_idsI15__hip_bfloat162Li32ELi11ELi4EEvPKT_PKfPKiS7_S7_Pfiiiiiiiiiiiiii15HIP_vector_typeIjLj3EESA_,"axG",@progbits,_ZL13mul_mat_f_idsI15__hip_bfloat162Li32ELi11ELi4EEvPKT_PKfPKiS7_S7_Pfiiiiiiiiiiiiii15HIP_vector_typeIjLj3EESA_,comdat
.Lfunc_end60:
	.size	_ZL13mul_mat_f_idsI15__hip_bfloat162Li32ELi11ELi4EEvPKT_PKfPKiS7_S7_Pfiiiiiiiiiiiiii15HIP_vector_typeIjLj3EESA_, .Lfunc_end60-_ZL13mul_mat_f_idsI15__hip_bfloat162Li32ELi11ELi4EEvPKT_PKfPKiS7_S7_Pfiiiiiiiiiiiiii15HIP_vector_typeIjLj3EESA_
                                        ; -- End function
	.section	.AMDGPU.csdata,"",@progbits
; Kernel info:
; codeLenInByte = 7412
; NumSgprs: 78
; NumVgprs: 120
; ScratchSize: 0
; MemoryBound: 0
; FloatMode: 240
; IeeeMode: 1
; LDSByteSize: 0 bytes/workgroup (compile time only)
; SGPRBlocks: 9
; VGPRBlocks: 14
; NumSGPRsForWavesPerEU: 78
; NumVGPRsForWavesPerEU: 120
; Occupancy: 12
; WaveLimiterHint : 1
; COMPUTE_PGM_RSRC2:SCRATCH_EN: 0
; COMPUTE_PGM_RSRC2:USER_SGPR: 13
; COMPUTE_PGM_RSRC2:TRAP_HANDLER: 0
; COMPUTE_PGM_RSRC2:TGID_X_EN: 1
; COMPUTE_PGM_RSRC2:TGID_Y_EN: 1
; COMPUTE_PGM_RSRC2:TGID_Z_EN: 1
; COMPUTE_PGM_RSRC2:TIDIG_COMP_CNT: 1
	.section	.text._ZL9mul_mat_fI15__hip_bfloat162Li32ELi11ELi4ELb1EEvPKT_PKfPKiPfiiiiiiiiiiiiiiii,"axG",@progbits,_ZL9mul_mat_fI15__hip_bfloat162Li32ELi11ELi4ELb1EEvPKT_PKfPKiPfiiiiiiiiiiiiiiii,comdat
	.globl	_ZL9mul_mat_fI15__hip_bfloat162Li32ELi11ELi4ELb1EEvPKT_PKfPKiPfiiiiiiiiiiiiiiii ; -- Begin function _ZL9mul_mat_fI15__hip_bfloat162Li32ELi11ELi4ELb1EEvPKT_PKfPKiPfiiiiiiiiiiiiiiii
	.p2align	8
	.type	_ZL9mul_mat_fI15__hip_bfloat162Li32ELi11ELi4ELb1EEvPKT_PKfPKiPfiiiiiiiiiiiiiiii,@function
_ZL9mul_mat_fI15__hip_bfloat162Li32ELi11ELi4ELb1EEvPKT_PKfPKiPfiiiiiiiiiiiiiiii: ; @_ZL9mul_mat_fI15__hip_bfloat162Li32ELi11ELi4ELb1EEvPKT_PKfPKiPfiiiiiiiiiiiiiiii
; %bb.0:
	s_clause 0x1
	s_load_b256 s[16:23], s[0:1], 0x20
	s_load_b128 s[8:11], s[0:1], 0x44
	v_and_b32_e32 v80, 0x3ff, v0
	v_bfe_u32 v87, v0, 10, 10
	s_delay_alu instid0(VALU_DEP_2) | instskip(NEXT) | instid1(VALU_DEP_2)
	v_cmp_eq_u32_e32 vcc_lo, 0, v80
	v_lshl_add_u32 v86, v87, 2, 0x100
	s_waitcnt lgkmcnt(0)
	s_add_i32 s2, s17, 10
	s_delay_alu instid0(SALU_CYCLE_1) | instskip(NEXT) | instid1(SALU_CYCLE_1)
	s_mul_hi_i32 s2, s2, 0x2e8ba2e9
	s_lshr_b32 s3, s2, 31
	s_ashr_i32 s2, s2, 1
	s_delay_alu instid0(SALU_CYCLE_1)
	s_add_i32 s2, s2, s3
	s_load_b32 s3, s[0:1], 0x64
	v_cvt_f32_u32_e32 v1, s2
	s_add_u32 s28, s0, 0x60
	s_addc_u32 s29, s1, 0
	s_sub_i32 s5, 0, s2
	s_delay_alu instid0(VALU_DEP_1) | instskip(SKIP_2) | instid1(VALU_DEP_1)
	v_rcp_iflag_f32_e32 v1, v1
	s_waitcnt_depctr 0xfff
	v_mul_f32_e32 v1, 0x4f7ffffe, v1
	v_cvt_u32_f32_e32 v1, v1
	s_delay_alu instid0(VALU_DEP_1) | instskip(NEXT) | instid1(VALU_DEP_1)
	v_readfirstlane_b32 s4, v1
	s_mul_i32 s5, s5, s4
	s_delay_alu instid0(SALU_CYCLE_1) | instskip(NEXT) | instid1(SALU_CYCLE_1)
	s_mul_hi_u32 s5, s4, s5
	s_add_i32 s4, s4, s5
	s_waitcnt lgkmcnt(0)
	s_mul_hi_u32 s4, s3, s4
	s_delay_alu instid0(SALU_CYCLE_1) | instskip(NEXT) | instid1(SALU_CYCLE_1)
	s_mul_i32 s5, s4, s2
	s_sub_i32 s3, s3, s5
	s_add_i32 s5, s4, 1
	s_sub_i32 s6, s3, s2
	s_cmp_ge_u32 s3, s2
	s_cselect_b32 s4, s5, s4
	s_cselect_b32 s3, s6, s3
	s_add_i32 s5, s4, 1
	s_cmp_ge_u32 s3, s2
	s_load_b64 s[6:7], s[0:1], 0x10
	s_cselect_b32 s2, s5, s4
	s_abs_i32 s12, s11
	v_cvt_f32_u32_e32 v1, s2
	v_cvt_f32_u32_e32 v2, s12
	s_sub_i32 s4, 0, s2
	s_delay_alu instid0(VALU_DEP_2) | instskip(NEXT) | instid1(VALU_DEP_1)
	v_rcp_iflag_f32_e32 v1, v1
	v_rcp_iflag_f32_e32 v2, v2
	s_waitcnt_depctr 0xfff
	v_dual_mul_f32 v1, 0x4f7ffffe, v1 :: v_dual_mul_f32 v2, 0x4f7ffffe, v2
	s_delay_alu instid0(VALU_DEP_1) | instskip(NEXT) | instid1(VALU_DEP_1)
	v_cvt_u32_f32_e32 v1, v1
	v_readfirstlane_b32 s3, v1
	s_delay_alu instid0(VALU_DEP_3) | instskip(NEXT) | instid1(VALU_DEP_2)
	v_cvt_u32_f32_e32 v1, v2
	s_mul_i32 s4, s4, s3
	s_delay_alu instid0(VALU_DEP_1) | instskip(SKIP_1) | instid1(SALU_CYCLE_1)
	v_readfirstlane_b32 s30, v1
	s_mul_hi_u32 s4, s3, s4
	s_add_i32 s3, s3, s4
	s_delay_alu instid0(SALU_CYCLE_1)
	s_mul_hi_u32 s3, s14, s3
	s_and_saveexec_b32 s4, vcc_lo
	s_cbranch_execz .LBB61_2
; %bb.1:
	v_mov_b32_e32 v1, -1
	ds_store_b32 v86, v1
.LBB61_2:
	s_or_b32 exec_lo, exec_lo, s4
	s_mul_i32 s4, s3, s2
	s_add_i32 s5, s3, 1
	s_sub_i32 s4, s14, s4
	v_mov_b32_e32 v3, 0
	s_sub_i32 s24, s4, s2
	s_cmp_ge_u32 s4, s2
	s_cselect_b32 s3, s5, s3
	s_cselect_b32 s4, s24, s4
	s_add_i32 s5, s3, 1
	s_cmp_ge_u32 s4, s2
	s_cselect_b32 s3, s5, s3
	v_cmp_gt_i32_e64 s5, s18, v80
	s_mul_i32 s33, s3, 11
	s_mul_i32 s3, s3, s2
	v_add_nc_u32_e32 v1, s33, v87
	s_mul_hi_i32 s25, s33, s23
	s_mul_i32 s24, s33, s23
	s_sub_i32 s14, s14, s3
	s_lshl_b64 s[24:25], s[24:25], 2
	v_cmp_gt_i32_e64 s2, s17, v1
	s_waitcnt lgkmcnt(0)
	s_add_u32 s31, s6, s24
	s_addc_u32 s7, s7, s25
	s_delay_alu instid0(VALU_DEP_1)
	s_and_saveexec_b32 s6, s2
	s_cbranch_execz .LBB61_10
; %bb.3:
	v_mov_b32_e32 v3, 0
	s_and_saveexec_b32 s24, s5
	s_cbranch_execz .LBB61_9
; %bb.4:
	v_mul_lo_u32 v1, v87, s23
	v_dual_mov_b32 v3, 0 :: v_dual_mov_b32 v6, v80
	s_lshl_b32 s26, s22, 5
	s_mov_b32 s25, 0
	s_delay_alu instid0(VALU_DEP_2) | instskip(NEXT) | instid1(VALU_DEP_1)
	v_ashrrev_i32_e32 v2, 31, v1
	v_lshlrev_b64 v[4:5], 2, v[1:2]
	v_mul_lo_u32 v1, v80, s22
	s_delay_alu instid0(VALU_DEP_2) | instskip(NEXT) | instid1(VALU_DEP_1)
	v_add_co_u32 v4, s3, s31, v4
	v_add_co_ci_u32_e64 v5, s3, s7, v5, s3
	s_set_inst_prefetch_distance 0x1
	s_branch .LBB61_6
	.p2align	6
.LBB61_5:                               ;   in Loop: Header=BB61_6 Depth=1
	s_or_b32 exec_lo, exec_lo, s27
	v_add_nc_u32_e32 v6, 32, v6
	s_xor_b32 s3, s3, -1
	v_add_nc_u32_e32 v1, s26, v1
	s_delay_alu instid0(VALU_DEP_2) | instskip(NEXT) | instid1(VALU_DEP_1)
	v_cmp_le_i32_e64 s4, s18, v6
	s_or_b32 s3, s3, s4
	s_delay_alu instid0(SALU_CYCLE_1) | instskip(NEXT) | instid1(SALU_CYCLE_1)
	s_and_b32 s3, exec_lo, s3
	s_or_b32 s25, s3, s25
	s_delay_alu instid0(SALU_CYCLE_1)
	s_and_not1_b32 exec_lo, exec_lo, s25
	s_cbranch_execz .LBB61_8
.LBB61_6:                               ; =>This Inner Loop Header: Depth=1
	s_delay_alu instid0(VALU_DEP_3) | instskip(SKIP_1) | instid1(VALU_DEP_1)
	v_ashrrev_i32_e32 v2, 31, v1
	s_mov_b32 s27, exec_lo
	v_lshlrev_b64 v[7:8], 2, v[1:2]
	s_delay_alu instid0(VALU_DEP_1) | instskip(NEXT) | instid1(VALU_DEP_1)
	v_add_co_u32 v7, s3, v4, v7
	v_add_co_ci_u32_e64 v8, s3, v5, v8, s3
	global_load_b32 v2, v[7:8], off
	s_waitcnt vmcnt(0)
	v_cmp_ne_u32_e64 s3, s14, v2
	v_cmpx_eq_u32_e64 s14, v2
	s_cbranch_execz .LBB61_5
; %bb.7:                                ;   in Loop: Header=BB61_6 Depth=1
	v_mov_b32_e32 v3, 1
	ds_store_b32 v86, v6
	s_branch .LBB61_5
.LBB61_8:
	s_set_inst_prefetch_distance 0x2
	s_or_b32 exec_lo, exec_lo, s25
.LBB61_9:
	s_delay_alu instid0(SALU_CYCLE_1)
	s_or_b32 exec_lo, exec_lo, s24
.LBB61_10:
	s_delay_alu instid0(SALU_CYCLE_1)
	s_or_b32 exec_lo, exec_lo, s6
	s_sub_i32 s24, 0, s12
	s_and_saveexec_b32 s3, vcc_lo
	s_cbranch_execz .LBB61_12
; %bb.11:
	v_mov_b32_e32 v1, -1
	ds_store_b32 v86, v1 offset:16
.LBB61_12:
	s_or_b32 exec_lo, exec_lo, s3
	v_add_nc_u32_e32 v88, 4, v87
	s_mul_i32 s24, s24, s30
	s_delay_alu instid0(VALU_DEP_1) | instskip(NEXT) | instid1(VALU_DEP_1)
	v_add_nc_u32_e32 v1, s33, v88
	v_cmp_gt_i32_e64 s3, s17, v1
	s_delay_alu instid0(VALU_DEP_1)
	s_and_saveexec_b32 s25, s3
	s_cbranch_execz .LBB61_20
; %bb.13:
	s_and_saveexec_b32 s26, s5
	s_cbranch_execz .LBB61_19
; %bb.14:
	v_mul_lo_u32 v1, v88, s23
	v_mov_b32_e32 v6, v80
	s_lshl_b32 s34, s22, 5
	s_mov_b32 s27, 0
	s_delay_alu instid0(VALU_DEP_2) | instskip(NEXT) | instid1(VALU_DEP_1)
	v_ashrrev_i32_e32 v2, 31, v1
	v_lshlrev_b64 v[4:5], 2, v[1:2]
	v_mul_lo_u32 v1, v80, s22
	s_delay_alu instid0(VALU_DEP_2) | instskip(NEXT) | instid1(VALU_DEP_1)
	v_add_co_u32 v4, s4, s31, v4
	v_add_co_ci_u32_e64 v5, s4, s7, v5, s4
	s_set_inst_prefetch_distance 0x1
	s_branch .LBB61_16
	.p2align	6
.LBB61_15:                              ;   in Loop: Header=BB61_16 Depth=1
	s_or_b32 exec_lo, exec_lo, s35
	v_add_nc_u32_e32 v6, 32, v6
	s_xor_b32 s4, s4, -1
	v_add_nc_u32_e32 v1, s34, v1
	s_delay_alu instid0(VALU_DEP_2) | instskip(NEXT) | instid1(VALU_DEP_1)
	v_cmp_le_i32_e64 s6, s18, v6
	s_or_b32 s4, s4, s6
	s_delay_alu instid0(SALU_CYCLE_1) | instskip(NEXT) | instid1(SALU_CYCLE_1)
	s_and_b32 s4, exec_lo, s4
	s_or_b32 s27, s4, s27
	s_delay_alu instid0(SALU_CYCLE_1)
	s_and_not1_b32 exec_lo, exec_lo, s27
	s_cbranch_execz .LBB61_18
.LBB61_16:                              ; =>This Inner Loop Header: Depth=1
	s_delay_alu instid0(VALU_DEP_3) | instskip(SKIP_1) | instid1(VALU_DEP_1)
	v_ashrrev_i32_e32 v2, 31, v1
	s_mov_b32 s35, exec_lo
	v_lshlrev_b64 v[7:8], 2, v[1:2]
	s_delay_alu instid0(VALU_DEP_1) | instskip(NEXT) | instid1(VALU_DEP_1)
	v_add_co_u32 v7, s4, v4, v7
	v_add_co_ci_u32_e64 v8, s4, v5, v8, s4
	global_load_b32 v2, v[7:8], off
	s_waitcnt vmcnt(0)
	v_cmp_ne_u32_e64 s4, s14, v2
	v_cmpx_eq_u32_e64 s14, v2
	s_cbranch_execz .LBB61_15
; %bb.17:                               ;   in Loop: Header=BB61_16 Depth=1
	v_mov_b32_e32 v3, 1
	ds_store_b32 v86, v6 offset:16
	s_branch .LBB61_15
.LBB61_18:
	s_set_inst_prefetch_distance 0x2
	s_or_b32 exec_lo, exec_lo, s27
.LBB61_19:
	s_delay_alu instid0(SALU_CYCLE_1)
	s_or_b32 exec_lo, exec_lo, s26
.LBB61_20:
	s_delay_alu instid0(SALU_CYCLE_1)
	s_or_b32 exec_lo, exec_lo, s25
	s_mul_hi_u32 s6, s30, s24
	s_and_saveexec_b32 s4, vcc_lo
	s_cbranch_execz .LBB61_22
; %bb.21:
	v_mov_b32_e32 v1, -1
	ds_store_b32 v86, v1 offset:32
.LBB61_22:
	s_or_b32 exec_lo, exec_lo, s4
	s_load_b128 s[24:27], s[0:1], 0x54
	v_add_nc_u32_e32 v89, 8, v87
	s_waitcnt lgkmcnt(0)
	s_abs_i32 s27, s15
	s_add_i32 s34, s30, s6
	s_delay_alu instid0(VALU_DEP_1) | instskip(NEXT) | instid1(VALU_DEP_1)
	v_add_nc_u32_e32 v1, s33, v89
	v_cmp_gt_i32_e64 s4, s17, v1
	s_delay_alu instid0(VALU_DEP_1)
	s_and_saveexec_b32 s6, s4
	s_cbranch_execz .LBB61_30
; %bb.23:
	s_and_saveexec_b32 s30, s5
	s_cbranch_execz .LBB61_29
; %bb.24:
	v_mul_lo_u32 v1, v89, s23
	v_mov_b32_e32 v6, v80
	s_delay_alu instid0(VALU_DEP_2) | instskip(NEXT) | instid1(VALU_DEP_1)
	v_ashrrev_i32_e32 v2, 31, v1
	v_lshlrev_b64 v[4:5], 2, v[1:2]
	v_mul_lo_u32 v1, v80, s22
	s_lshl_b32 s22, s22, 5
	s_delay_alu instid0(VALU_DEP_2) | instskip(NEXT) | instid1(VALU_DEP_3)
	v_add_co_u32 v4, vcc_lo, s31, v4
	v_add_co_ci_u32_e32 v5, vcc_lo, s7, v5, vcc_lo
	s_mov_b32 s7, 0
	s_set_inst_prefetch_distance 0x1
	s_branch .LBB61_26
	.p2align	6
.LBB61_25:                              ;   in Loop: Header=BB61_26 Depth=1
	s_or_b32 exec_lo, exec_lo, s23
	v_add_nc_u32_e32 v6, 32, v6
	s_xor_b32 s23, vcc_lo, -1
	v_add_nc_u32_e32 v1, s22, v1
	s_delay_alu instid0(VALU_DEP_2) | instskip(NEXT) | instid1(VALU_DEP_1)
	v_cmp_le_i32_e64 s5, s18, v6
	s_or_b32 s5, s23, s5
	s_delay_alu instid0(SALU_CYCLE_1) | instskip(NEXT) | instid1(SALU_CYCLE_1)
	s_and_b32 s5, exec_lo, s5
	s_or_b32 s7, s5, s7
	s_delay_alu instid0(SALU_CYCLE_1)
	s_and_not1_b32 exec_lo, exec_lo, s7
	s_cbranch_execz .LBB61_28
.LBB61_26:                              ; =>This Inner Loop Header: Depth=1
	s_delay_alu instid0(VALU_DEP_3) | instskip(SKIP_1) | instid1(VALU_DEP_1)
	v_ashrrev_i32_e32 v2, 31, v1
	s_mov_b32 s23, exec_lo
	v_lshlrev_b64 v[7:8], 2, v[1:2]
	s_delay_alu instid0(VALU_DEP_1) | instskip(NEXT) | instid1(VALU_DEP_2)
	v_add_co_u32 v7, vcc_lo, v4, v7
	v_add_co_ci_u32_e32 v8, vcc_lo, v5, v8, vcc_lo
	global_load_b32 v2, v[7:8], off
	s_waitcnt vmcnt(0)
	v_cmp_ne_u32_e32 vcc_lo, s14, v2
	v_cmpx_eq_u32_e64 s14, v2
	s_cbranch_execz .LBB61_25
; %bb.27:                               ;   in Loop: Header=BB61_26 Depth=1
	v_mov_b32_e32 v3, 1
	ds_store_b32 v86, v6 offset:32
	s_branch .LBB61_25
.LBB61_28:
	s_set_inst_prefetch_distance 0x2
	s_or_b32 exec_lo, exec_lo, s7
.LBB61_29:
	s_delay_alu instid0(SALU_CYCLE_1)
	s_or_b32 exec_lo, exec_lo, s30
.LBB61_30:
	s_delay_alu instid0(SALU_CYCLE_1)
	s_or_b32 exec_lo, exec_lo, s6
	v_cmp_ne_u32_e32 vcc_lo, 0, v3
	s_load_b64 s[22:23], s[28:29], 0xc
	s_clause 0x1
	s_load_b128 s[28:31], s[0:1], 0x0
	s_load_b64 s[6:7], s[0:1], 0x18
	v_cndmask_b32_e64 v1, 0, 1, vcc_lo
	s_delay_alu instid0(VALU_DEP_1) | instskip(NEXT) | instid1(VALU_DEP_1)
	v_or_b32_dpp v1, v1, v1 row_shl:1 row_mask:0xf bank_mask:0xf bound_ctrl:1
	v_or_b32_dpp v1, v1, v1 row_shl:2 row_mask:0xf bank_mask:0xf bound_ctrl:1
	s_delay_alu instid0(VALU_DEP_1)
	v_or_b32_dpp v1, v1, v1 row_shl:4 row_mask:0xf bank_mask:0xf bound_ctrl:1
	s_waitcnt lgkmcnt(0)
	s_lshr_b32 s1, s22, 16
	s_and_b32 s0, s22, 0xffff
	s_and_b32 s18, s23, 0xffff
	s_mul_i32 s5, s1, s0
	v_or_b32_dpp v1, v1, v1 row_shl:8 row_mask:0xf bank_mask:0xf bound_ctrl:1
	s_bfe_i32 s5, s5, 0x180000
	s_delay_alu instid0(SALU_CYCLE_1) | instskip(SKIP_1) | instid1(VALU_DEP_1)
	s_mul_i32 s5, s5, s18
	s_mul_hi_u32 s18, s27, s34
	v_mov_b32_dpp v1, v1 row_share:0 row_mask:0xf bank_mask:0xf bound_ctrl:1
	s_add_i32 s5, s5, 31
	s_delay_alu instid0(SALU_CYCLE_1) | instskip(NEXT) | instid1(SALU_CYCLE_1)
	s_and_not1_b32 s5, s5, 31
	s_cmp_lg_u32 s5, 32
	s_delay_alu instid0(VALU_DEP_1) | instskip(NEXT) | instid1(VALU_DEP_1)
	v_permlanex16_b32 v2, v1, 0, 0 op_sel:[0,1]
	v_or_b32_e32 v2, v2, v1
	s_cbranch_scc0 .LBB61_39
; %bb.31:
	v_bfe_u32 v0, v0, 20, 10
	s_delay_alu instid0(VALU_DEP_1) | instskip(NEXT) | instid1(VALU_DEP_1)
	v_mad_u32_u24 v3, v0, s1, v87
	v_mad_u64_u32 v[0:1], null, v3, s0, v[80:81]
	v_mbcnt_lo_u32_b32 v1, -1, 0
	s_mov_b32 s0, exec_lo
	s_delay_alu instid0(VALU_DEP_2) | instskip(NEXT) | instid1(VALU_DEP_1)
	v_lshrrev_b32_e32 v3, 5, v0
	v_or_b32_e32 v3, v1, v3
	s_delay_alu instid0(VALU_DEP_1)
	v_cmpx_eq_u32_e32 0, v3
	s_cbranch_execz .LBB61_33
; %bb.32:
	v_mov_b32_e32 v3, 0
	ds_store_b32 v3, v2
.LBB61_33:
	s_or_b32 exec_lo, exec_lo, s0
	v_cmp_eq_u32_e32 vcc_lo, 0, v1
	v_cmp_lt_u32_e64 s0, 31, v0
	s_mov_b32 s1, 0
	s_waitcnt lgkmcnt(0)
	s_barrier
	buffer_gl0_inv
	s_and_b32 s5, s0, vcc_lo
	s_delay_alu instid0(SALU_CYCLE_1)
	s_and_saveexec_b32 s0, s5
	s_cbranch_execz .LBB61_38
; %bb.34:
	s_mov_b32 s5, exec_lo
.LBB61_35:                              ; =>This Inner Loop Header: Depth=1
	s_delay_alu instid0(SALU_CYCLE_1) | instskip(NEXT) | instid1(SALU_CYCLE_1)
	s_ctz_i32_b32 s22, s5
	v_readlane_b32 s23, v2, s22
	s_lshl_b32 s22, 1, s22
	s_delay_alu instid0(SALU_CYCLE_1) | instskip(NEXT) | instid1(VALU_DEP_1)
	s_and_not1_b32 s5, s5, s22
	s_or_b32 s1, s1, s23
	s_cmp_lg_u32 s5, 0
	s_cbranch_scc1 .LBB61_35
; %bb.36:
	v_mbcnt_lo_u32_b32 v0, exec_lo, 0
	s_mov_b32 s5, exec_lo
	s_delay_alu instid0(VALU_DEP_1)
	v_cmpx_eq_u32_e32 0, v0
	s_xor_b32 s5, exec_lo, s5
	s_cbranch_execz .LBB61_38
; %bb.37:
	v_dual_mov_b32 v0, 0 :: v_dual_mov_b32 v1, s1
	ds_or_b32 v0, v1
.LBB61_38:
	s_or_b32 exec_lo, exec_lo, s0
	v_mov_b32_e32 v0, 0
	s_waitcnt lgkmcnt(0)
	s_barrier
	buffer_gl0_inv
	ds_load_b32 v2, v0
	s_waitcnt lgkmcnt(0)
	s_barrier
	buffer_gl0_inv
.LBB61_39:
	s_ashr_i32 s0, s15, 31
	s_ashr_i32 s11, s11, 31
	s_mov_b32 s1, exec_lo
	v_cmpx_ne_u32_e32 0, v2
	s_cbranch_execz .LBB61_178
; %bb.40:
	v_lshlrev_b32_e32 v90, 5, v87
	v_and_b32_e32 v91, 15, v80
	s_mov_b32 s5, exec_lo
                                        ; implicit-def: $sgpr1
	s_delay_alu instid0(VALU_DEP_2) | instskip(NEXT) | instid1(VALU_DEP_1)
	v_add_nc_u32_e32 v92, v90, v80
	v_cmpx_le_i32_e64 s16, v92
	s_xor_b32 s5, exec_lo, s5
; %bb.41:
	v_and_b32_e32 v91, 15, v80
	s_mov_b32 s1, 0
                                        ; implicit-def: $vgpr92
; %bb.42:
	s_or_saveexec_b32 s5, s5
	v_dual_mov_b32 v15, s1 :: v_dual_mov_b32 v14, s1
	v_dual_mov_b32 v13, s1 :: v_dual_mov_b32 v12, s1
	;; [unrolled: 1-line block ×8, first 2 shown]
	s_lshl_b32 s1, s13, 5
	s_xor_b32 exec_lo, exec_lo, s5
	s_cbranch_execz .LBB61_167
; %bb.43:
	s_mul_i32 s13, s18, s12
	s_xor_b32 s0, s0, s11
	s_sub_i32 s11, s27, s13
	s_add_i32 s13, s18, 1
	s_sub_i32 s22, s11, s12
	s_cmp_ge_u32 s11, s12
	s_mul_hi_i32 s37, s25, s15
	s_cselect_b32 s13, s13, s18
	s_cselect_b32 s11, s22, s11
	s_add_i32 s18, s13, 1
	s_cmp_ge_u32 s11, s12
	s_mul_i32 s12, s14, s8
	s_cselect_b32 s11, s18, s13
	s_ashr_i32 s13, s12, 31
	s_xor_b32 s11, s11, s0
	s_mul_i32 s22, s1, s19
	s_sub_i32 s0, s11, s0
	s_mul_i32 s36, s25, s15
	s_mul_hi_i32 s35, s0, s24
	s_mul_i32 s34, s0, s24
	v_mul_u32_u24_e32 v0, 0x90, v91
	s_lshl_b64 s[42:43], s[34:35], 2
	s_mul_i32 s38, s20, 10
	s_add_u32 s0, s28, s42
	s_addc_u32 s8, s29, s43
	s_lshl_b64 s[44:45], s[12:13], 2
	s_mul_hi_i32 s13, s20, s33
	s_add_u32 s0, s0, s44
	s_addc_u32 s11, s8, s45
	s_ashr_i32 s23, s22, 31
	s_mul_i32 s12, s20, s33
	s_lshl_b64 s[46:47], s[22:23], 2
	s_mul_i32 s48, s19, 6
	s_add_u32 s8, s0, s46
	s_addc_u32 s11, s11, s47
	s_lshl_b64 s[22:23], s[36:37], 2
	s_lshl_b64 s[12:13], s[12:13], 3
	s_add_u32 s0, s30, s22
	s_addc_u32 s18, s31, s23
	s_add_u32 s14, s0, s12
	s_addc_u32 s18, s18, s13
	s_cmp_lt_i32 s33, s17
	s_movk_i32 s12, 0x900
	s_cselect_b32 s22, -1, 0
	s_add_i32 s0, s33, 1
	v_mad_u32_u24 v1, v87, s12, 0x100
	s_cmp_lt_i32 s0, s17
	v_mov_b32_e32 v94, 0
	s_cselect_b32 s23, -1, 0
	s_add_i32 s0, s33, 2
	v_add_nc_u32_e32 v95, v1, v0
	s_cmp_lt_i32 s0, s17
	v_lshlrev_b32_e32 v2, 1, v80
	s_cselect_b32 s24, -1, 0
	s_add_i32 s0, s33, 3
	s_lshl_b32 s25, s20, 2
	s_cmp_lt_i32 s0, s17
	s_mov_b32 s12, s19
	s_cselect_b32 s27, -1, 0
	s_add_i32 s0, s33, 4
	v_lshl_add_u32 v93, v80, 2, v1
	v_mov_b32_e32 v1, v94
	s_cmp_lt_i32 s0, s17
	v_lshl_add_u32 v81, v87, 6, v2
	s_cselect_b32 s30, -1, 0
	s_add_i32 s0, s33, 5
	s_lshl_b32 s31, s20, 3
	s_cmp_lt_i32 s0, s17
	v_dual_mov_b32 v3, v94 :: v_dual_lshlrev_b32 v2, 2, v92
	s_cselect_b32 s34, -1, 0
	s_add_i32 s0, s33, 6
	v_dual_mov_b32 v96, 0x100 :: v_dual_mov_b32 v5, v94
	s_cmp_lt_i32 s0, s17
	v_dual_mov_b32 v0, 0 :: v_dual_mov_b32 v7, v94
	s_cselect_b32 s35, -1, 0
	s_add_i32 s0, s33, 7
	v_mov_b32_e32 v4, v94
	s_cmp_lt_i32 s0, s17
	v_mov_b32_e32 v6, v94
	s_cselect_b32 s36, -1, 0
	s_add_i32 s0, s33, 8
	v_dual_mov_b32 v8, 0 :: v_dual_mov_b32 v9, v94
	s_cmp_lt_i32 s0, s17
	v_mov_b32_e32 v10, v94
	s_cselect_b32 s39, -1, 0
	s_add_i32 s0, s33, 9
	s_lshl_b32 s40, s20, 4
	s_cmp_lt_i32 s0, s17
	v_mov_b32_e32 v11, v94
	s_cselect_b32 s41, -1, 0
	s_add_i32 s0, s33, 10
	v_mov_b32_e32 v12, v94
	s_cmp_lt_i32 s0, s17
	v_mov_b32_e32 v13, v94
	s_cselect_b32 s17, -1, 0
	s_ashr_i32 s13, s19, 31
	v_mov_b32_e32 v14, v94
	s_lshl_b64 s[12:13], s[12:13], 2
	s_add_u32 s0, s42, s46
	s_addc_u32 s42, s43, s47
	s_add_u32 s0, s0, s44
	s_addc_u32 s42, s42, s45
	;; [unrolled: 2-line block ×3, first 2 shown]
	v_add_co_u32 v82, s0, s0, v2
	s_delay_alu instid0(VALU_DEP_1)
	v_add_co_ci_u32_e64 v83, null, s28, 0, s0
	v_mov_b32_e32 v2, v94
	v_mov_b32_e32 v15, v94
	s_mul_i32 s37, s20, 6
	s_mul_i32 s28, s20, 20
	;; [unrolled: 1-line block ×5, first 2 shown]
	s_lshl_b32 s20, s20, 1
	s_lshl_b32 s44, s19, 1
	s_mul_i32 s45, s19, 3
	s_lshl_b32 s46, s19, 2
	s_mul_i32 s47, s19, 5
	s_mul_i32 s49, s19, 7
	s_lshl_b32 s50, s19, 3
	s_mul_i32 s51, s19, 9
	s_mul_i32 s52, s19, 10
	;; [unrolled: 1-line block ×7, first 2 shown]
	s_lshl_b32 s58, s19, 4
	s_mul_i32 s59, s19, 17
	s_mul_i32 s60, s19, 18
	;; [unrolled: 1-line block ×15, first 2 shown]
	s_mov_b32 s19, 0
	s_branch .LBB61_45
.LBB61_44:                              ;   in Loop: Header=BB61_45 Depth=1
	s_or_b32 exec_lo, exec_lo, s0
	s_delay_alu instid0(VALU_DEP_1)
	v_perm_b32 v84, v84, v97, 0x7060302
	v_add_nc_u32_e32 v85, 0x400, v93
	v_add_nc_u32_e32 v97, 0x800, v93
	;; [unrolled: 1-line block ×3, first 2 shown]
	v_add_co_u32 v82, s0, 0x200, v82
	ds_store_2addr_b32 v85, v84, v94 offset0:120 offset1:156
	ds_store_2addr_b32 v85, v94, v94 offset0:192 offset1:228
	ds_store_2addr_b32 v97, v94, v94 offset0:8 offset1:44
	ds_load_b128 v[97:100], v95 offset:64
	ds_load_b128 v[101:104], v95 offset:80
	;; [unrolled: 1-line block ×6, first 2 shown]
	v_cmp_le_i32_e32 vcc_lo, s16, v92
	v_add_nc_u32_e32 v81, 0x100, v81
	v_add_co_ci_u32_e64 v83, s0, 0, v83, s0
	s_or_b32 s19, vcc_lo, s19
	s_waitcnt lgkmcnt(4)
	v_wmma_f32_16x16x16_bf16 v[8:15], v[56:63], v[97:104], v[8:15]
	ds_load_b128 v[56:59], v95 offset:160
	ds_load_b128 v[60:63], v95 offset:176
	v_wmma_f32_16x16x16_bf16 v[0:7], v[72:79], v[97:104], v[0:7]
	s_waitcnt lgkmcnt(4)
	v_wmma_f32_16x16x16_bf16 v[8:15], v[40:47], v[105:112], v[8:15]
	s_delay_alu instid0(VALU_DEP_2) | instskip(SKIP_1) | instid1(VALU_DEP_2)
	v_wmma_f32_16x16x16_bf16 v[0:7], v[64:71], v[105:112], v[0:7]
	s_waitcnt lgkmcnt(2)
	v_wmma_f32_16x16x16_bf16 v[8:15], v[24:31], v[113:120], v[8:15]
	s_delay_alu instid0(VALU_DEP_2) | instskip(SKIP_1) | instid1(VALU_DEP_2)
	v_wmma_f32_16x16x16_bf16 v[0:7], v[48:55], v[113:120], v[0:7]
	s_waitcnt lgkmcnt(0)
	v_wmma_f32_16x16x16_bf16 v[8:15], v[16:23], v[56:63], v[8:15]
	s_delay_alu instid0(VALU_DEP_2)
	v_wmma_f32_16x16x16_bf16 v[0:7], v[32:39], v[56:63], v[0:7]
	s_and_not1_b32 exec_lo, exec_lo, s19
	s_cbranch_execz .LBB61_166
.LBB61_45:                              ; =>This Inner Loop Header: Depth=1
	v_dual_mov_b32 v85, 0 :: v_dual_add_nc_u32 v16, s44, v92
	v_add_nc_u32_e32 v22, s46, v92
	v_add_nc_u32_e32 v18, s45, v92
	v_add_co_u32 v20, vcc_lo, v82, s12
	s_delay_alu instid0(VALU_DEP_4)
	v_ashrrev_i32_e32 v17, 31, v16
	v_add_co_ci_u32_e32 v21, vcc_lo, s13, v83, vcc_lo
	v_ashrrev_i32_e32 v23, 31, v22
	v_ashrrev_i32_e32 v19, 31, v18
	v_add_nc_u32_e32 v24, s47, v92
	v_lshlrev_b64 v[16:17], 2, v[16:17]
	s_clause 0x1
	global_load_b32 v38, v[82:83], off
	global_load_b32 v39, v[20:21], off
	v_lshlrev_b64 v[20:21], 2, v[22:23]
	v_add_nc_u32_e32 v22, s48, v92
	v_lshlrev_b64 v[18:19], 2, v[18:19]
	v_ashrrev_i32_e32 v25, 31, v24
	v_add_nc_u32_e32 v26, s49, v92
	v_add_co_u32 v16, vcc_lo, s8, v16
	v_ashrrev_i32_e32 v23, 31, v22
	v_add_co_ci_u32_e32 v17, vcc_lo, s11, v17, vcc_lo
	v_add_nc_u32_e32 v28, s50, v92
	v_add_co_u32 v18, vcc_lo, s8, v18
	v_lshlrev_b64 v[24:25], 2, v[24:25]
	v_ashrrev_i32_e32 v27, 31, v26
	v_add_co_ci_u32_e32 v19, vcc_lo, s11, v19, vcc_lo
	v_add_nc_u32_e32 v30, s51, v92
	v_add_co_u32 v20, vcc_lo, s8, v20
	v_lshlrev_b64 v[22:23], 2, v[22:23]
	v_ashrrev_i32_e32 v29, 31, v28
	v_add_co_ci_u32_e32 v21, vcc_lo, s11, v21, vcc_lo
	v_add_co_u32 v24, vcc_lo, s8, v24
	v_lshlrev_b64 v[26:27], 2, v[26:27]
	v_ashrrev_i32_e32 v31, 31, v30
	v_add_co_ci_u32_e32 v25, vcc_lo, s11, v25, vcc_lo
	v_add_co_u32 v22, vcc_lo, s8, v22
	v_lshlrev_b64 v[28:29], 2, v[28:29]
	v_add_co_ci_u32_e32 v23, vcc_lo, s11, v23, vcc_lo
	v_add_nc_u32_e32 v32, s52, v92
	v_add_co_u32 v26, vcc_lo, s8, v26
	v_lshlrev_b64 v[30:31], 2, v[30:31]
	v_add_co_ci_u32_e32 v27, vcc_lo, s11, v27, vcc_lo
	v_add_nc_u32_e32 v34, s53, v92
	v_add_co_u32 v28, vcc_lo, s8, v28
	v_ashrrev_i32_e32 v33, 31, v32
	v_add_co_ci_u32_e32 v29, vcc_lo, s11, v29, vcc_lo
	v_add_nc_u32_e32 v36, s54, v92
	v_add_co_u32 v30, vcc_lo, s8, v30
	v_ashrrev_i32_e32 v35, 31, v34
	v_add_co_ci_u32_e32 v31, vcc_lo, s11, v31, vcc_lo
	s_clause 0x7
	global_load_b32 v40, v[16:17], off
	global_load_b32 v41, v[18:19], off
	global_load_b32 v42, v[20:21], off
	global_load_b32 v43, v[24:25], off
	global_load_b32 v44, v[22:23], off
	global_load_b32 v45, v[26:27], off
	global_load_b32 v46, v[28:29], off
	global_load_b32 v47, v[30:31], off
	v_add_nc_u32_e32 v18, s55, v92
	v_lshlrev_b64 v[32:33], 2, v[32:33]
	v_ashrrev_i32_e32 v37, 31, v36
	v_add_nc_u32_e32 v24, s56, v92
	v_lshlrev_b64 v[16:17], 2, v[34:35]
	v_ashrrev_i32_e32 v19, 31, v18
	v_add_nc_u32_e32 v26, s57, v92
	v_add_co_u32 v20, vcc_lo, s8, v32
	v_lshlrev_b64 v[22:23], 2, v[36:37]
	v_ashrrev_i32_e32 v25, 31, v24
	v_add_co_ci_u32_e32 v21, vcc_lo, s11, v33, vcc_lo
	v_add_nc_u32_e32 v28, s58, v92
	v_add_co_u32 v16, vcc_lo, s8, v16
	v_lshlrev_b64 v[18:19], 2, v[18:19]
	v_ashrrev_i32_e32 v27, 31, v26
	v_add_co_ci_u32_e32 v17, vcc_lo, s11, v17, vcc_lo
	v_add_nc_u32_e32 v30, s59, v92
	v_add_co_u32 v22, vcc_lo, s8, v22
	v_lshlrev_b64 v[24:25], 2, v[24:25]
	v_ashrrev_i32_e32 v29, 31, v28
	v_add_co_ci_u32_e32 v23, vcc_lo, s11, v23, vcc_lo
	v_add_co_u32 v18, vcc_lo, s8, v18
	v_lshlrev_b64 v[26:27], 2, v[26:27]
	v_ashrrev_i32_e32 v31, 31, v30
	v_add_co_ci_u32_e32 v19, vcc_lo, s11, v19, vcc_lo
	v_add_co_u32 v24, vcc_lo, s8, v24
	v_lshlrev_b64 v[28:29], 2, v[28:29]
	v_add_co_ci_u32_e32 v25, vcc_lo, s11, v25, vcc_lo
	v_add_nc_u32_e32 v32, s60, v92
	v_add_co_u32 v26, vcc_lo, s8, v26
	v_lshlrev_b64 v[30:31], 2, v[30:31]
	v_add_co_ci_u32_e32 v27, vcc_lo, s11, v27, vcc_lo
	v_add_nc_u32_e32 v34, s61, v92
	v_add_co_u32 v28, vcc_lo, s8, v28
	v_ashrrev_i32_e32 v33, 31, v32
	v_add_co_ci_u32_e32 v29, vcc_lo, s11, v29, vcc_lo
	v_add_nc_u32_e32 v36, s62, v92
	v_add_co_u32 v30, vcc_lo, s8, v30
	v_ashrrev_i32_e32 v35, 31, v34
	v_add_co_ci_u32_e32 v31, vcc_lo, s11, v31, vcc_lo
	s_clause 0x7
	global_load_b32 v48, v[20:21], off
	global_load_b32 v49, v[16:17], off
	global_load_b32 v50, v[22:23], off
	global_load_b32 v51, v[18:19], off
	global_load_b32 v52, v[24:25], off
	global_load_b32 v53, v[26:27], off
	global_load_b32 v54, v[28:29], off
	global_load_b32 v55, v[30:31], off
	v_add_nc_u32_e32 v18, s63, v92
	v_lshlrev_b64 v[32:33], 2, v[32:33]
	v_ashrrev_i32_e32 v37, 31, v36
	v_add_nc_u32_e32 v24, s64, v92
	v_lshlrev_b64 v[16:17], 2, v[34:35]
	v_ashrrev_i32_e32 v19, 31, v18
	v_add_nc_u32_e32 v26, s65, v92
	v_add_co_u32 v20, vcc_lo, s8, v32
	v_lshlrev_b64 v[22:23], 2, v[36:37]
	;; [unrolled: 49-line block ×3, first 2 shown]
	v_ashrrev_i32_e32 v25, 31, v24
	v_add_co_ci_u32_e32 v21, vcc_lo, s11, v33, vcc_lo
	v_add_co_u32 v16, vcc_lo, s8, v16
	v_lshlrev_b64 v[18:19], 2, v[18:19]
	v_ashrrev_i32_e32 v27, 31, v26
	v_add_co_ci_u32_e32 v17, vcc_lo, s11, v17, vcc_lo
	v_add_co_u32 v22, vcc_lo, s8, v22
	v_lshlrev_b64 v[24:25], 2, v[24:25]
	v_add_co_ci_u32_e32 v23, vcc_lo, s11, v23, vcc_lo
	v_add_co_u32 v18, vcc_lo, s8, v18
	v_lshlrev_b64 v[26:27], 2, v[26:27]
	v_add_co_ci_u32_e32 v19, vcc_lo, s11, v19, vcc_lo
	v_add_co_u32 v24, vcc_lo, s8, v24
	v_add_co_ci_u32_e32 v25, vcc_lo, s11, v25, vcc_lo
	s_delay_alu instid0(VALU_DEP_4)
	v_add_co_u32 v26, vcc_lo, s8, v26
	v_add_co_ci_u32_e32 v27, vcc_lo, s11, v27, vcc_lo
	s_clause 0x5
	global_load_b32 v32, v[20:21], off
	global_load_b32 v33, v[16:17], off
	;; [unrolled: 1-line block ×6, first 2 shown]
	v_mov_b32_e32 v84, 0
	s_and_not1_b32 vcc_lo, exec_lo, s22
	s_waitcnt vmcnt(31)
	ds_store_b32 v93, v38 offset:64
	s_waitcnt vmcnt(30)
	ds_store_b32 v93, v39 offset:208
	;; [unrolled: 2-line block ×16, first 2 shown]
	ds_load_b128 v[56:59], v95 offset:64
	ds_load_b128 v[60:63], v95 offset:80
	;; [unrolled: 1-line block ×8, first 2 shown]
	s_waitcnt vmcnt(15)
	ds_store_b32 v93, v54 offset:64
	s_waitcnt vmcnt(14)
	ds_store_b32 v93, v55 offset:208
	;; [unrolled: 2-line block ×16, first 2 shown]
	ds_load_b128 v[72:75], v95 offset:64
	ds_load_b128 v[76:79], v95 offset:80
	;; [unrolled: 1-line block ×8, first 2 shown]
	s_cbranch_vccnz .LBB61_48
; %bb.46:                               ;   in Loop: Header=BB61_45 Depth=1
	ds_load_b32 v97, v96
	v_dual_mov_b32 v84, 0 :: v_dual_mov_b32 v85, 0
	s_waitcnt lgkmcnt(0)
	v_cmp_gt_i32_e32 vcc_lo, 0, v97
	s_cbranch_vccnz .LBB61_48
; %bb.47:                               ;   in Loop: Header=BB61_45 Depth=1
	v_mad_u64_u32 v[84:85], null, v97, s9, v[81:82]
	s_delay_alu instid0(VALU_DEP_1) | instskip(NEXT) | instid1(VALU_DEP_1)
	v_ashrrev_i32_e32 v85, 31, v84
	v_lshlrev_b64 v[84:85], 2, v[84:85]
	s_delay_alu instid0(VALU_DEP_1) | instskip(NEXT) | instid1(VALU_DEP_2)
	v_add_co_u32 v84, vcc_lo, s14, v84
	v_add_co_ci_u32_e32 v85, vcc_lo, s18, v85, vcc_lo
	global_load_b64 v[84:85], v[84:85], off
.LBB61_48:                              ;   in Loop: Header=BB61_45 Depth=1
	s_waitcnt vmcnt(0)
	v_and_b32_e32 v97, 0x7f800000, v84
	s_delay_alu instid0(VALU_DEP_1) | instskip(SKIP_1) | instid1(SALU_CYCLE_1)
	v_cmp_ne_u32_e32 vcc_lo, 0x7f800000, v97
                                        ; implicit-def: $vgpr97
	s_and_saveexec_b32 s0, vcc_lo
	s_xor_b32 s0, exec_lo, s0
; %bb.49:                               ;   in Loop: Header=BB61_45 Depth=1
	v_bfe_u32 v97, v84, 16, 1
	s_delay_alu instid0(VALU_DEP_1)
	v_add3_u32 v97, v84, v97, 0x7fff
; %bb.50:                               ;   in Loop: Header=BB61_45 Depth=1
	s_and_not1_saveexec_b32 s0, s0
; %bb.51:                               ;   in Loop: Header=BB61_45 Depth=1
	v_and_b32_e32 v97, 0xffff, v84
	v_or_b32_e32 v98, 0x10000, v84
	s_delay_alu instid0(VALU_DEP_2) | instskip(NEXT) | instid1(VALU_DEP_2)
	v_cmp_eq_u32_e32 vcc_lo, 0, v97
	v_cndmask_b32_e32 v97, v98, v84, vcc_lo
; %bb.52:                               ;   in Loop: Header=BB61_45 Depth=1
	s_or_b32 exec_lo, exec_lo, s0
	v_and_b32_e32 v84, 0x7f800000, v85
	s_delay_alu instid0(VALU_DEP_1) | instskip(SKIP_1) | instid1(SALU_CYCLE_1)
	v_cmp_ne_u32_e32 vcc_lo, 0x7f800000, v84
                                        ; implicit-def: $vgpr84
	s_and_saveexec_b32 s0, vcc_lo
	s_xor_b32 s0, exec_lo, s0
; %bb.53:                               ;   in Loop: Header=BB61_45 Depth=1
	v_bfe_u32 v84, v85, 16, 1
	s_delay_alu instid0(VALU_DEP_1)
	v_add3_u32 v84, v85, v84, 0x7fff
                                        ; implicit-def: $vgpr85
; %bb.54:                               ;   in Loop: Header=BB61_45 Depth=1
	s_and_not1_saveexec_b32 s0, s0
; %bb.55:                               ;   in Loop: Header=BB61_45 Depth=1
	v_and_b32_e32 v84, 0xffff, v85
	v_or_b32_e32 v98, 0x10000, v85
	s_delay_alu instid0(VALU_DEP_2) | instskip(NEXT) | instid1(VALU_DEP_2)
	v_cmp_eq_u32_e32 vcc_lo, 0, v84
	v_cndmask_b32_e32 v84, v98, v85, vcc_lo
; %bb.56:                               ;   in Loop: Header=BB61_45 Depth=1
	s_or_b32 exec_lo, exec_lo, s0
	s_delay_alu instid0(VALU_DEP_1)
	v_perm_b32 v97, v84, v97, 0x7060302
	v_dual_mov_b32 v85, 0 :: v_dual_mov_b32 v84, 0
	s_and_not1_b32 vcc_lo, exec_lo, s23
	ds_store_b32 v93, v97 offset:64
	s_cbranch_vccnz .LBB61_59
; %bb.57:                               ;   in Loop: Header=BB61_45 Depth=1
	ds_load_b32 v97, v96 offset:4
	v_dual_mov_b32 v84, 0 :: v_dual_mov_b32 v85, 0
	s_waitcnt lgkmcnt(0)
	v_cmp_gt_i32_e32 vcc_lo, 0, v97
	s_cbranch_vccnz .LBB61_59
; %bb.58:                               ;   in Loop: Header=BB61_45 Depth=1
	v_mul_lo_u32 v84, v97, s9
	s_delay_alu instid0(VALU_DEP_1) | instskip(NEXT) | instid1(VALU_DEP_1)
	v_add3_u32 v84, v84, s20, v81
	v_ashrrev_i32_e32 v85, 31, v84
	s_delay_alu instid0(VALU_DEP_1) | instskip(NEXT) | instid1(VALU_DEP_1)
	v_lshlrev_b64 v[84:85], 2, v[84:85]
	v_add_co_u32 v84, vcc_lo, s14, v84
	s_delay_alu instid0(VALU_DEP_2)
	v_add_co_ci_u32_e32 v85, vcc_lo, s18, v85, vcc_lo
	global_load_b64 v[84:85], v[84:85], off
.LBB61_59:                              ;   in Loop: Header=BB61_45 Depth=1
	s_waitcnt vmcnt(0)
	v_and_b32_e32 v97, 0x7f800000, v84
	s_delay_alu instid0(VALU_DEP_1) | instskip(SKIP_1) | instid1(SALU_CYCLE_1)
	v_cmp_ne_u32_e32 vcc_lo, 0x7f800000, v97
                                        ; implicit-def: $vgpr97
	s_and_saveexec_b32 s0, vcc_lo
	s_xor_b32 s0, exec_lo, s0
; %bb.60:                               ;   in Loop: Header=BB61_45 Depth=1
	v_bfe_u32 v97, v84, 16, 1
	s_delay_alu instid0(VALU_DEP_1)
	v_add3_u32 v97, v84, v97, 0x7fff
; %bb.61:                               ;   in Loop: Header=BB61_45 Depth=1
	s_and_not1_saveexec_b32 s0, s0
; %bb.62:                               ;   in Loop: Header=BB61_45 Depth=1
	v_and_b32_e32 v97, 0xffff, v84
	v_or_b32_e32 v98, 0x10000, v84
	s_delay_alu instid0(VALU_DEP_2) | instskip(NEXT) | instid1(VALU_DEP_2)
	v_cmp_eq_u32_e32 vcc_lo, 0, v97
	v_cndmask_b32_e32 v97, v98, v84, vcc_lo
; %bb.63:                               ;   in Loop: Header=BB61_45 Depth=1
	s_or_b32 exec_lo, exec_lo, s0
	v_and_b32_e32 v84, 0x7f800000, v85
	s_delay_alu instid0(VALU_DEP_1) | instskip(SKIP_1) | instid1(SALU_CYCLE_1)
	v_cmp_ne_u32_e32 vcc_lo, 0x7f800000, v84
                                        ; implicit-def: $vgpr84
	s_and_saveexec_b32 s0, vcc_lo
	s_xor_b32 s0, exec_lo, s0
; %bb.64:                               ;   in Loop: Header=BB61_45 Depth=1
	v_bfe_u32 v84, v85, 16, 1
	s_delay_alu instid0(VALU_DEP_1)
	v_add3_u32 v84, v85, v84, 0x7fff
                                        ; implicit-def: $vgpr85
; %bb.65:                               ;   in Loop: Header=BB61_45 Depth=1
	s_and_not1_saveexec_b32 s0, s0
; %bb.66:                               ;   in Loop: Header=BB61_45 Depth=1
	v_and_b32_e32 v84, 0xffff, v85
	v_or_b32_e32 v98, 0x10000, v85
	s_delay_alu instid0(VALU_DEP_2) | instskip(NEXT) | instid1(VALU_DEP_2)
	v_cmp_eq_u32_e32 vcc_lo, 0, v84
	v_cndmask_b32_e32 v84, v98, v85, vcc_lo
; %bb.67:                               ;   in Loop: Header=BB61_45 Depth=1
	s_or_b32 exec_lo, exec_lo, s0
	s_delay_alu instid0(VALU_DEP_1)
	v_perm_b32 v97, v84, v97, 0x7060302
	v_dual_mov_b32 v85, 0 :: v_dual_mov_b32 v84, 0
	s_and_not1_b32 vcc_lo, exec_lo, s24
	ds_store_b32 v93, v97 offset:208
	s_cbranch_vccnz .LBB61_70
; %bb.68:                               ;   in Loop: Header=BB61_45 Depth=1
	ds_load_b32 v97, v96 offset:8
	v_dual_mov_b32 v84, 0 :: v_dual_mov_b32 v85, 0
	s_waitcnt lgkmcnt(0)
	v_cmp_gt_i32_e32 vcc_lo, 0, v97
	s_cbranch_vccnz .LBB61_70
; %bb.69:                               ;   in Loop: Header=BB61_45 Depth=1
	v_mul_lo_u32 v84, v97, s9
	s_delay_alu instid0(VALU_DEP_1) | instskip(NEXT) | instid1(VALU_DEP_1)
	v_add3_u32 v84, v84, s25, v81
	v_ashrrev_i32_e32 v85, 31, v84
	s_delay_alu instid0(VALU_DEP_1) | instskip(NEXT) | instid1(VALU_DEP_1)
	v_lshlrev_b64 v[84:85], 2, v[84:85]
	v_add_co_u32 v84, vcc_lo, s14, v84
	s_delay_alu instid0(VALU_DEP_2)
	v_add_co_ci_u32_e32 v85, vcc_lo, s18, v85, vcc_lo
	global_load_b64 v[84:85], v[84:85], off
.LBB61_70:                              ;   in Loop: Header=BB61_45 Depth=1
	s_waitcnt vmcnt(0)
	v_and_b32_e32 v97, 0x7f800000, v84
	s_delay_alu instid0(VALU_DEP_1) | instskip(SKIP_1) | instid1(SALU_CYCLE_1)
	v_cmp_ne_u32_e32 vcc_lo, 0x7f800000, v97
                                        ; implicit-def: $vgpr97
	s_and_saveexec_b32 s0, vcc_lo
	s_xor_b32 s0, exec_lo, s0
; %bb.71:                               ;   in Loop: Header=BB61_45 Depth=1
	v_bfe_u32 v97, v84, 16, 1
	s_delay_alu instid0(VALU_DEP_1)
	v_add3_u32 v97, v84, v97, 0x7fff
; %bb.72:                               ;   in Loop: Header=BB61_45 Depth=1
	s_and_not1_saveexec_b32 s0, s0
; %bb.73:                               ;   in Loop: Header=BB61_45 Depth=1
	v_and_b32_e32 v97, 0xffff, v84
	v_or_b32_e32 v98, 0x10000, v84
	s_delay_alu instid0(VALU_DEP_2) | instskip(NEXT) | instid1(VALU_DEP_2)
	v_cmp_eq_u32_e32 vcc_lo, 0, v97
	v_cndmask_b32_e32 v97, v98, v84, vcc_lo
; %bb.74:                               ;   in Loop: Header=BB61_45 Depth=1
	s_or_b32 exec_lo, exec_lo, s0
	v_and_b32_e32 v84, 0x7f800000, v85
	s_delay_alu instid0(VALU_DEP_1) | instskip(SKIP_1) | instid1(SALU_CYCLE_1)
	v_cmp_ne_u32_e32 vcc_lo, 0x7f800000, v84
                                        ; implicit-def: $vgpr84
	s_and_saveexec_b32 s0, vcc_lo
	s_xor_b32 s0, exec_lo, s0
; %bb.75:                               ;   in Loop: Header=BB61_45 Depth=1
	v_bfe_u32 v84, v85, 16, 1
	s_delay_alu instid0(VALU_DEP_1)
	v_add3_u32 v84, v85, v84, 0x7fff
                                        ; implicit-def: $vgpr85
; %bb.76:                               ;   in Loop: Header=BB61_45 Depth=1
	s_and_not1_saveexec_b32 s0, s0
; %bb.77:                               ;   in Loop: Header=BB61_45 Depth=1
	v_and_b32_e32 v84, 0xffff, v85
	v_or_b32_e32 v98, 0x10000, v85
	s_delay_alu instid0(VALU_DEP_2) | instskip(NEXT) | instid1(VALU_DEP_2)
	v_cmp_eq_u32_e32 vcc_lo, 0, v84
	v_cndmask_b32_e32 v84, v98, v85, vcc_lo
; %bb.78:                               ;   in Loop: Header=BB61_45 Depth=1
	s_or_b32 exec_lo, exec_lo, s0
	s_delay_alu instid0(VALU_DEP_1)
	v_perm_b32 v97, v84, v97, 0x7060302
	v_dual_mov_b32 v85, 0 :: v_dual_mov_b32 v84, 0
	s_and_not1_b32 vcc_lo, exec_lo, s27
	ds_store_b32 v93, v97 offset:352
	s_cbranch_vccnz .LBB61_81
; %bb.79:                               ;   in Loop: Header=BB61_45 Depth=1
	ds_load_b32 v97, v96 offset:12
	v_dual_mov_b32 v84, 0 :: v_dual_mov_b32 v85, 0
	s_waitcnt lgkmcnt(0)
	v_cmp_gt_i32_e32 vcc_lo, 0, v97
	s_cbranch_vccnz .LBB61_81
; %bb.80:                               ;   in Loop: Header=BB61_45 Depth=1
	v_mul_lo_u32 v84, v97, s9
	s_delay_alu instid0(VALU_DEP_1) | instskip(NEXT) | instid1(VALU_DEP_1)
	v_add3_u32 v84, v84, s37, v81
	v_ashrrev_i32_e32 v85, 31, v84
	s_delay_alu instid0(VALU_DEP_1) | instskip(NEXT) | instid1(VALU_DEP_1)
	v_lshlrev_b64 v[84:85], 2, v[84:85]
	v_add_co_u32 v84, vcc_lo, s14, v84
	s_delay_alu instid0(VALU_DEP_2)
	v_add_co_ci_u32_e32 v85, vcc_lo, s18, v85, vcc_lo
	global_load_b64 v[84:85], v[84:85], off
.LBB61_81:                              ;   in Loop: Header=BB61_45 Depth=1
	s_waitcnt vmcnt(0)
	v_and_b32_e32 v97, 0x7f800000, v84
	s_delay_alu instid0(VALU_DEP_1) | instskip(SKIP_1) | instid1(SALU_CYCLE_1)
	v_cmp_ne_u32_e32 vcc_lo, 0x7f800000, v97
                                        ; implicit-def: $vgpr97
	s_and_saveexec_b32 s0, vcc_lo
	s_xor_b32 s0, exec_lo, s0
; %bb.82:                               ;   in Loop: Header=BB61_45 Depth=1
	v_bfe_u32 v97, v84, 16, 1
	s_delay_alu instid0(VALU_DEP_1)
	v_add3_u32 v97, v84, v97, 0x7fff
; %bb.83:                               ;   in Loop: Header=BB61_45 Depth=1
	s_and_not1_saveexec_b32 s0, s0
; %bb.84:                               ;   in Loop: Header=BB61_45 Depth=1
	v_and_b32_e32 v97, 0xffff, v84
	v_or_b32_e32 v98, 0x10000, v84
	s_delay_alu instid0(VALU_DEP_2) | instskip(NEXT) | instid1(VALU_DEP_2)
	v_cmp_eq_u32_e32 vcc_lo, 0, v97
	v_cndmask_b32_e32 v97, v98, v84, vcc_lo
; %bb.85:                               ;   in Loop: Header=BB61_45 Depth=1
	s_or_b32 exec_lo, exec_lo, s0
	v_and_b32_e32 v84, 0x7f800000, v85
	s_delay_alu instid0(VALU_DEP_1) | instskip(SKIP_1) | instid1(SALU_CYCLE_1)
	v_cmp_ne_u32_e32 vcc_lo, 0x7f800000, v84
                                        ; implicit-def: $vgpr84
	s_and_saveexec_b32 s0, vcc_lo
	s_xor_b32 s0, exec_lo, s0
; %bb.86:                               ;   in Loop: Header=BB61_45 Depth=1
	v_bfe_u32 v84, v85, 16, 1
	s_delay_alu instid0(VALU_DEP_1)
	v_add3_u32 v84, v85, v84, 0x7fff
                                        ; implicit-def: $vgpr85
; %bb.87:                               ;   in Loop: Header=BB61_45 Depth=1
	s_and_not1_saveexec_b32 s0, s0
; %bb.88:                               ;   in Loop: Header=BB61_45 Depth=1
	v_and_b32_e32 v84, 0xffff, v85
	v_or_b32_e32 v98, 0x10000, v85
	s_delay_alu instid0(VALU_DEP_2) | instskip(NEXT) | instid1(VALU_DEP_2)
	v_cmp_eq_u32_e32 vcc_lo, 0, v84
	v_cndmask_b32_e32 v84, v98, v85, vcc_lo
; %bb.89:                               ;   in Loop: Header=BB61_45 Depth=1
	s_or_b32 exec_lo, exec_lo, s0
	s_delay_alu instid0(VALU_DEP_1)
	v_perm_b32 v97, v84, v97, 0x7060302
	v_dual_mov_b32 v85, 0 :: v_dual_mov_b32 v84, 0
	s_and_not1_b32 vcc_lo, exec_lo, s30
	ds_store_b32 v93, v97 offset:496
	s_cbranch_vccnz .LBB61_92
; %bb.90:                               ;   in Loop: Header=BB61_45 Depth=1
	ds_load_b32 v97, v96 offset:16
	v_dual_mov_b32 v84, 0 :: v_dual_mov_b32 v85, 0
	s_waitcnt lgkmcnt(0)
	v_cmp_gt_i32_e32 vcc_lo, 0, v97
	s_cbranch_vccnz .LBB61_92
; %bb.91:                               ;   in Loop: Header=BB61_45 Depth=1
	v_mul_lo_u32 v84, v97, s9
	s_delay_alu instid0(VALU_DEP_1) | instskip(NEXT) | instid1(VALU_DEP_1)
	v_add3_u32 v84, v84, s31, v81
	v_ashrrev_i32_e32 v85, 31, v84
	s_delay_alu instid0(VALU_DEP_1) | instskip(NEXT) | instid1(VALU_DEP_1)
	v_lshlrev_b64 v[84:85], 2, v[84:85]
	v_add_co_u32 v84, vcc_lo, s14, v84
	s_delay_alu instid0(VALU_DEP_2)
	v_add_co_ci_u32_e32 v85, vcc_lo, s18, v85, vcc_lo
	global_load_b64 v[84:85], v[84:85], off
.LBB61_92:                              ;   in Loop: Header=BB61_45 Depth=1
	s_waitcnt vmcnt(0)
	v_and_b32_e32 v97, 0x7f800000, v84
	s_delay_alu instid0(VALU_DEP_1) | instskip(SKIP_1) | instid1(SALU_CYCLE_1)
	v_cmp_ne_u32_e32 vcc_lo, 0x7f800000, v97
                                        ; implicit-def: $vgpr97
	s_and_saveexec_b32 s0, vcc_lo
	s_xor_b32 s0, exec_lo, s0
; %bb.93:                               ;   in Loop: Header=BB61_45 Depth=1
	v_bfe_u32 v97, v84, 16, 1
	s_delay_alu instid0(VALU_DEP_1)
	v_add3_u32 v97, v84, v97, 0x7fff
; %bb.94:                               ;   in Loop: Header=BB61_45 Depth=1
	s_and_not1_saveexec_b32 s0, s0
; %bb.95:                               ;   in Loop: Header=BB61_45 Depth=1
	v_and_b32_e32 v97, 0xffff, v84
	v_or_b32_e32 v98, 0x10000, v84
	s_delay_alu instid0(VALU_DEP_2) | instskip(NEXT) | instid1(VALU_DEP_2)
	v_cmp_eq_u32_e32 vcc_lo, 0, v97
	v_cndmask_b32_e32 v97, v98, v84, vcc_lo
; %bb.96:                               ;   in Loop: Header=BB61_45 Depth=1
	s_or_b32 exec_lo, exec_lo, s0
	v_and_b32_e32 v84, 0x7f800000, v85
	s_delay_alu instid0(VALU_DEP_1) | instskip(SKIP_1) | instid1(SALU_CYCLE_1)
	v_cmp_ne_u32_e32 vcc_lo, 0x7f800000, v84
                                        ; implicit-def: $vgpr84
	s_and_saveexec_b32 s0, vcc_lo
	s_xor_b32 s0, exec_lo, s0
; %bb.97:                               ;   in Loop: Header=BB61_45 Depth=1
	v_bfe_u32 v84, v85, 16, 1
	s_delay_alu instid0(VALU_DEP_1)
	v_add3_u32 v84, v85, v84, 0x7fff
                                        ; implicit-def: $vgpr85
; %bb.98:                               ;   in Loop: Header=BB61_45 Depth=1
	s_and_not1_saveexec_b32 s0, s0
; %bb.99:                               ;   in Loop: Header=BB61_45 Depth=1
	v_and_b32_e32 v84, 0xffff, v85
	v_or_b32_e32 v98, 0x10000, v85
	s_delay_alu instid0(VALU_DEP_2) | instskip(NEXT) | instid1(VALU_DEP_2)
	v_cmp_eq_u32_e32 vcc_lo, 0, v84
	v_cndmask_b32_e32 v84, v98, v85, vcc_lo
; %bb.100:                              ;   in Loop: Header=BB61_45 Depth=1
	s_or_b32 exec_lo, exec_lo, s0
	s_delay_alu instid0(VALU_DEP_1)
	v_perm_b32 v97, v84, v97, 0x7060302
	v_dual_mov_b32 v85, 0 :: v_dual_mov_b32 v84, 0
	s_and_not1_b32 vcc_lo, exec_lo, s34
	ds_store_b32 v93, v97 offset:640
	s_cbranch_vccnz .LBB61_103
; %bb.101:                              ;   in Loop: Header=BB61_45 Depth=1
	ds_load_b32 v97, v96 offset:20
	v_dual_mov_b32 v84, 0 :: v_dual_mov_b32 v85, 0
	s_waitcnt lgkmcnt(0)
	v_cmp_gt_i32_e32 vcc_lo, 0, v97
	s_cbranch_vccnz .LBB61_103
; %bb.102:                              ;   in Loop: Header=BB61_45 Depth=1
	v_mul_lo_u32 v84, v97, s9
	s_delay_alu instid0(VALU_DEP_1) | instskip(NEXT) | instid1(VALU_DEP_1)
	v_add3_u32 v84, v84, s38, v81
	v_ashrrev_i32_e32 v85, 31, v84
	s_delay_alu instid0(VALU_DEP_1) | instskip(NEXT) | instid1(VALU_DEP_1)
	v_lshlrev_b64 v[84:85], 2, v[84:85]
	v_add_co_u32 v84, vcc_lo, s14, v84
	s_delay_alu instid0(VALU_DEP_2)
	v_add_co_ci_u32_e32 v85, vcc_lo, s18, v85, vcc_lo
	global_load_b64 v[84:85], v[84:85], off
.LBB61_103:                             ;   in Loop: Header=BB61_45 Depth=1
	s_waitcnt vmcnt(0)
	v_and_b32_e32 v97, 0x7f800000, v84
	s_delay_alu instid0(VALU_DEP_1) | instskip(SKIP_1) | instid1(SALU_CYCLE_1)
	v_cmp_ne_u32_e32 vcc_lo, 0x7f800000, v97
                                        ; implicit-def: $vgpr97
	s_and_saveexec_b32 s0, vcc_lo
	s_xor_b32 s0, exec_lo, s0
; %bb.104:                              ;   in Loop: Header=BB61_45 Depth=1
	v_bfe_u32 v97, v84, 16, 1
	s_delay_alu instid0(VALU_DEP_1)
	v_add3_u32 v97, v84, v97, 0x7fff
; %bb.105:                              ;   in Loop: Header=BB61_45 Depth=1
	s_and_not1_saveexec_b32 s0, s0
; %bb.106:                              ;   in Loop: Header=BB61_45 Depth=1
	v_and_b32_e32 v97, 0xffff, v84
	v_or_b32_e32 v98, 0x10000, v84
	s_delay_alu instid0(VALU_DEP_2) | instskip(NEXT) | instid1(VALU_DEP_2)
	v_cmp_eq_u32_e32 vcc_lo, 0, v97
	v_cndmask_b32_e32 v97, v98, v84, vcc_lo
; %bb.107:                              ;   in Loop: Header=BB61_45 Depth=1
	s_or_b32 exec_lo, exec_lo, s0
	v_and_b32_e32 v84, 0x7f800000, v85
	s_delay_alu instid0(VALU_DEP_1) | instskip(SKIP_1) | instid1(SALU_CYCLE_1)
	v_cmp_ne_u32_e32 vcc_lo, 0x7f800000, v84
                                        ; implicit-def: $vgpr84
	s_and_saveexec_b32 s0, vcc_lo
	s_xor_b32 s0, exec_lo, s0
; %bb.108:                              ;   in Loop: Header=BB61_45 Depth=1
	v_bfe_u32 v84, v85, 16, 1
	s_delay_alu instid0(VALU_DEP_1)
	v_add3_u32 v84, v85, v84, 0x7fff
                                        ; implicit-def: $vgpr85
; %bb.109:                              ;   in Loop: Header=BB61_45 Depth=1
	s_and_not1_saveexec_b32 s0, s0
; %bb.110:                              ;   in Loop: Header=BB61_45 Depth=1
	v_and_b32_e32 v84, 0xffff, v85
	v_or_b32_e32 v98, 0x10000, v85
	s_delay_alu instid0(VALU_DEP_2) | instskip(NEXT) | instid1(VALU_DEP_2)
	v_cmp_eq_u32_e32 vcc_lo, 0, v84
	v_cndmask_b32_e32 v84, v98, v85, vcc_lo
; %bb.111:                              ;   in Loop: Header=BB61_45 Depth=1
	s_or_b32 exec_lo, exec_lo, s0
	s_delay_alu instid0(VALU_DEP_1)
	v_perm_b32 v97, v84, v97, 0x7060302
	v_dual_mov_b32 v85, 0 :: v_dual_mov_b32 v84, 0
	s_and_not1_b32 vcc_lo, exec_lo, s35
	ds_store_b32 v93, v97 offset:784
	s_cbranch_vccnz .LBB61_114
; %bb.112:                              ;   in Loop: Header=BB61_45 Depth=1
	ds_load_b32 v97, v96 offset:24
	v_dual_mov_b32 v84, 0 :: v_dual_mov_b32 v85, 0
	s_waitcnt lgkmcnt(0)
	v_cmp_gt_i32_e32 vcc_lo, 0, v97
	s_cbranch_vccnz .LBB61_114
; %bb.113:                              ;   in Loop: Header=BB61_45 Depth=1
	v_mul_lo_u32 v84, v97, s9
	s_delay_alu instid0(VALU_DEP_1) | instskip(NEXT) | instid1(VALU_DEP_1)
	v_add3_u32 v84, v84, s43, v81
	v_ashrrev_i32_e32 v85, 31, v84
	s_delay_alu instid0(VALU_DEP_1) | instskip(NEXT) | instid1(VALU_DEP_1)
	v_lshlrev_b64 v[84:85], 2, v[84:85]
	v_add_co_u32 v84, vcc_lo, s14, v84
	s_delay_alu instid0(VALU_DEP_2)
	v_add_co_ci_u32_e32 v85, vcc_lo, s18, v85, vcc_lo
	global_load_b64 v[84:85], v[84:85], off
.LBB61_114:                             ;   in Loop: Header=BB61_45 Depth=1
	s_waitcnt vmcnt(0)
	v_and_b32_e32 v97, 0x7f800000, v84
	s_delay_alu instid0(VALU_DEP_1) | instskip(SKIP_1) | instid1(SALU_CYCLE_1)
	v_cmp_ne_u32_e32 vcc_lo, 0x7f800000, v97
                                        ; implicit-def: $vgpr97
	s_and_saveexec_b32 s0, vcc_lo
	s_xor_b32 s0, exec_lo, s0
; %bb.115:                              ;   in Loop: Header=BB61_45 Depth=1
	v_bfe_u32 v97, v84, 16, 1
	s_delay_alu instid0(VALU_DEP_1)
	v_add3_u32 v97, v84, v97, 0x7fff
; %bb.116:                              ;   in Loop: Header=BB61_45 Depth=1
	s_and_not1_saveexec_b32 s0, s0
; %bb.117:                              ;   in Loop: Header=BB61_45 Depth=1
	v_and_b32_e32 v97, 0xffff, v84
	v_or_b32_e32 v98, 0x10000, v84
	s_delay_alu instid0(VALU_DEP_2) | instskip(NEXT) | instid1(VALU_DEP_2)
	v_cmp_eq_u32_e32 vcc_lo, 0, v97
	v_cndmask_b32_e32 v97, v98, v84, vcc_lo
; %bb.118:                              ;   in Loop: Header=BB61_45 Depth=1
	s_or_b32 exec_lo, exec_lo, s0
	v_and_b32_e32 v84, 0x7f800000, v85
	s_delay_alu instid0(VALU_DEP_1) | instskip(SKIP_1) | instid1(SALU_CYCLE_1)
	v_cmp_ne_u32_e32 vcc_lo, 0x7f800000, v84
                                        ; implicit-def: $vgpr84
	s_and_saveexec_b32 s0, vcc_lo
	s_xor_b32 s0, exec_lo, s0
; %bb.119:                              ;   in Loop: Header=BB61_45 Depth=1
	v_bfe_u32 v84, v85, 16, 1
	s_delay_alu instid0(VALU_DEP_1)
	v_add3_u32 v84, v85, v84, 0x7fff
                                        ; implicit-def: $vgpr85
; %bb.120:                              ;   in Loop: Header=BB61_45 Depth=1
	s_and_not1_saveexec_b32 s0, s0
; %bb.121:                              ;   in Loop: Header=BB61_45 Depth=1
	v_and_b32_e32 v84, 0xffff, v85
	v_or_b32_e32 v98, 0x10000, v85
	s_delay_alu instid0(VALU_DEP_2) | instskip(NEXT) | instid1(VALU_DEP_2)
	v_cmp_eq_u32_e32 vcc_lo, 0, v84
	v_cndmask_b32_e32 v84, v98, v85, vcc_lo
; %bb.122:                              ;   in Loop: Header=BB61_45 Depth=1
	s_or_b32 exec_lo, exec_lo, s0
	s_delay_alu instid0(VALU_DEP_1)
	v_perm_b32 v97, v84, v97, 0x7060302
	v_dual_mov_b32 v85, 0 :: v_dual_mov_b32 v84, 0
	s_and_not1_b32 vcc_lo, exec_lo, s36
	ds_store_b32 v93, v97 offset:928
	s_cbranch_vccnz .LBB61_125
; %bb.123:                              ;   in Loop: Header=BB61_45 Depth=1
	ds_load_b32 v97, v96 offset:28
	v_dual_mov_b32 v84, 0 :: v_dual_mov_b32 v85, 0
	s_waitcnt lgkmcnt(0)
	v_cmp_gt_i32_e32 vcc_lo, 0, v97
	s_cbranch_vccnz .LBB61_125
; %bb.124:                              ;   in Loop: Header=BB61_45 Depth=1
	v_mul_lo_u32 v84, v97, s9
	s_delay_alu instid0(VALU_DEP_1) | instskip(NEXT) | instid1(VALU_DEP_1)
	v_add3_u32 v84, v84, s42, v81
	v_ashrrev_i32_e32 v85, 31, v84
	s_delay_alu instid0(VALU_DEP_1) | instskip(NEXT) | instid1(VALU_DEP_1)
	v_lshlrev_b64 v[84:85], 2, v[84:85]
	v_add_co_u32 v84, vcc_lo, s14, v84
	s_delay_alu instid0(VALU_DEP_2)
	v_add_co_ci_u32_e32 v85, vcc_lo, s18, v85, vcc_lo
	global_load_b64 v[84:85], v[84:85], off
.LBB61_125:                             ;   in Loop: Header=BB61_45 Depth=1
	s_waitcnt vmcnt(0)
	v_and_b32_e32 v97, 0x7f800000, v84
	s_delay_alu instid0(VALU_DEP_1) | instskip(SKIP_1) | instid1(SALU_CYCLE_1)
	v_cmp_ne_u32_e32 vcc_lo, 0x7f800000, v97
                                        ; implicit-def: $vgpr97
	s_and_saveexec_b32 s0, vcc_lo
	s_xor_b32 s0, exec_lo, s0
; %bb.126:                              ;   in Loop: Header=BB61_45 Depth=1
	v_bfe_u32 v97, v84, 16, 1
	s_delay_alu instid0(VALU_DEP_1)
	v_add3_u32 v97, v84, v97, 0x7fff
; %bb.127:                              ;   in Loop: Header=BB61_45 Depth=1
	s_and_not1_saveexec_b32 s0, s0
; %bb.128:                              ;   in Loop: Header=BB61_45 Depth=1
	v_and_b32_e32 v97, 0xffff, v84
	v_or_b32_e32 v98, 0x10000, v84
	s_delay_alu instid0(VALU_DEP_2) | instskip(NEXT) | instid1(VALU_DEP_2)
	v_cmp_eq_u32_e32 vcc_lo, 0, v97
	v_cndmask_b32_e32 v97, v98, v84, vcc_lo
; %bb.129:                              ;   in Loop: Header=BB61_45 Depth=1
	s_or_b32 exec_lo, exec_lo, s0
	v_and_b32_e32 v84, 0x7f800000, v85
	s_delay_alu instid0(VALU_DEP_1) | instskip(SKIP_1) | instid1(SALU_CYCLE_1)
	v_cmp_ne_u32_e32 vcc_lo, 0x7f800000, v84
                                        ; implicit-def: $vgpr84
	s_and_saveexec_b32 s0, vcc_lo
	s_xor_b32 s0, exec_lo, s0
; %bb.130:                              ;   in Loop: Header=BB61_45 Depth=1
	v_bfe_u32 v84, v85, 16, 1
	s_delay_alu instid0(VALU_DEP_1)
	v_add3_u32 v84, v85, v84, 0x7fff
                                        ; implicit-def: $vgpr85
; %bb.131:                              ;   in Loop: Header=BB61_45 Depth=1
	s_and_not1_saveexec_b32 s0, s0
; %bb.132:                              ;   in Loop: Header=BB61_45 Depth=1
	v_and_b32_e32 v84, 0xffff, v85
	v_or_b32_e32 v98, 0x10000, v85
	s_delay_alu instid0(VALU_DEP_2) | instskip(NEXT) | instid1(VALU_DEP_2)
	v_cmp_eq_u32_e32 vcc_lo, 0, v84
	v_cndmask_b32_e32 v84, v98, v85, vcc_lo
; %bb.133:                              ;   in Loop: Header=BB61_45 Depth=1
	s_or_b32 exec_lo, exec_lo, s0
	s_delay_alu instid0(VALU_DEP_1)
	v_perm_b32 v97, v84, v97, 0x7060302
	v_dual_mov_b32 v85, 0 :: v_dual_mov_b32 v84, 0
	s_and_not1_b32 vcc_lo, exec_lo, s39
	ds_store_b32 v93, v97 offset:1072
	s_cbranch_vccnz .LBB61_136
; %bb.134:                              ;   in Loop: Header=BB61_45 Depth=1
	ds_load_b32 v97, v96 offset:32
	v_dual_mov_b32 v84, 0 :: v_dual_mov_b32 v85, 0
	s_waitcnt lgkmcnt(0)
	v_cmp_gt_i32_e32 vcc_lo, 0, v97
	s_cbranch_vccnz .LBB61_136
; %bb.135:                              ;   in Loop: Header=BB61_45 Depth=1
	v_mul_lo_u32 v84, v97, s9
	s_delay_alu instid0(VALU_DEP_1) | instskip(NEXT) | instid1(VALU_DEP_1)
	v_add3_u32 v84, v84, s40, v81
	v_ashrrev_i32_e32 v85, 31, v84
	s_delay_alu instid0(VALU_DEP_1) | instskip(NEXT) | instid1(VALU_DEP_1)
	v_lshlrev_b64 v[84:85], 2, v[84:85]
	v_add_co_u32 v84, vcc_lo, s14, v84
	s_delay_alu instid0(VALU_DEP_2)
	v_add_co_ci_u32_e32 v85, vcc_lo, s18, v85, vcc_lo
	global_load_b64 v[84:85], v[84:85], off
.LBB61_136:                             ;   in Loop: Header=BB61_45 Depth=1
	s_waitcnt vmcnt(0)
	v_and_b32_e32 v97, 0x7f800000, v84
	s_delay_alu instid0(VALU_DEP_1) | instskip(SKIP_1) | instid1(SALU_CYCLE_1)
	v_cmp_ne_u32_e32 vcc_lo, 0x7f800000, v97
                                        ; implicit-def: $vgpr97
	s_and_saveexec_b32 s0, vcc_lo
	s_xor_b32 s0, exec_lo, s0
; %bb.137:                              ;   in Loop: Header=BB61_45 Depth=1
	v_bfe_u32 v97, v84, 16, 1
	s_delay_alu instid0(VALU_DEP_1)
	v_add3_u32 v97, v84, v97, 0x7fff
; %bb.138:                              ;   in Loop: Header=BB61_45 Depth=1
	s_and_not1_saveexec_b32 s0, s0
; %bb.139:                              ;   in Loop: Header=BB61_45 Depth=1
	v_and_b32_e32 v97, 0xffff, v84
	v_or_b32_e32 v98, 0x10000, v84
	s_delay_alu instid0(VALU_DEP_2) | instskip(NEXT) | instid1(VALU_DEP_2)
	v_cmp_eq_u32_e32 vcc_lo, 0, v97
	v_cndmask_b32_e32 v97, v98, v84, vcc_lo
; %bb.140:                              ;   in Loop: Header=BB61_45 Depth=1
	s_or_b32 exec_lo, exec_lo, s0
	v_and_b32_e32 v84, 0x7f800000, v85
	s_delay_alu instid0(VALU_DEP_1) | instskip(SKIP_1) | instid1(SALU_CYCLE_1)
	v_cmp_ne_u32_e32 vcc_lo, 0x7f800000, v84
                                        ; implicit-def: $vgpr84
	s_and_saveexec_b32 s0, vcc_lo
	s_xor_b32 s0, exec_lo, s0
; %bb.141:                              ;   in Loop: Header=BB61_45 Depth=1
	v_bfe_u32 v84, v85, 16, 1
	s_delay_alu instid0(VALU_DEP_1)
	v_add3_u32 v84, v85, v84, 0x7fff
                                        ; implicit-def: $vgpr85
; %bb.142:                              ;   in Loop: Header=BB61_45 Depth=1
	s_and_not1_saveexec_b32 s0, s0
; %bb.143:                              ;   in Loop: Header=BB61_45 Depth=1
	v_and_b32_e32 v84, 0xffff, v85
	v_or_b32_e32 v98, 0x10000, v85
	s_delay_alu instid0(VALU_DEP_2) | instskip(NEXT) | instid1(VALU_DEP_2)
	v_cmp_eq_u32_e32 vcc_lo, 0, v84
	v_cndmask_b32_e32 v84, v98, v85, vcc_lo
; %bb.144:                              ;   in Loop: Header=BB61_45 Depth=1
	s_or_b32 exec_lo, exec_lo, s0
	s_delay_alu instid0(VALU_DEP_1)
	v_perm_b32 v97, v84, v97, 0x7060302
	v_dual_mov_b32 v85, 0 :: v_dual_mov_b32 v84, 0
	s_and_not1_b32 vcc_lo, exec_lo, s41
	ds_store_b32 v93, v97 offset:1216
	s_cbranch_vccnz .LBB61_147
; %bb.145:                              ;   in Loop: Header=BB61_45 Depth=1
	ds_load_b32 v97, v96 offset:36
	v_dual_mov_b32 v84, 0 :: v_dual_mov_b32 v85, 0
	s_waitcnt lgkmcnt(0)
	v_cmp_gt_i32_e32 vcc_lo, 0, v97
	s_cbranch_vccnz .LBB61_147
; %bb.146:                              ;   in Loop: Header=BB61_45 Depth=1
	v_mul_lo_u32 v84, v97, s9
	s_delay_alu instid0(VALU_DEP_1) | instskip(NEXT) | instid1(VALU_DEP_1)
	v_add3_u32 v84, v84, s29, v81
	v_ashrrev_i32_e32 v85, 31, v84
	s_delay_alu instid0(VALU_DEP_1) | instskip(NEXT) | instid1(VALU_DEP_1)
	v_lshlrev_b64 v[84:85], 2, v[84:85]
	v_add_co_u32 v84, vcc_lo, s14, v84
	s_delay_alu instid0(VALU_DEP_2)
	v_add_co_ci_u32_e32 v85, vcc_lo, s18, v85, vcc_lo
	global_load_b64 v[84:85], v[84:85], off
.LBB61_147:                             ;   in Loop: Header=BB61_45 Depth=1
	s_waitcnt vmcnt(0)
	v_and_b32_e32 v97, 0x7f800000, v84
	s_delay_alu instid0(VALU_DEP_1) | instskip(SKIP_1) | instid1(SALU_CYCLE_1)
	v_cmp_ne_u32_e32 vcc_lo, 0x7f800000, v97
                                        ; implicit-def: $vgpr97
	s_and_saveexec_b32 s0, vcc_lo
	s_xor_b32 s0, exec_lo, s0
; %bb.148:                              ;   in Loop: Header=BB61_45 Depth=1
	v_bfe_u32 v97, v84, 16, 1
	s_delay_alu instid0(VALU_DEP_1)
	v_add3_u32 v97, v84, v97, 0x7fff
; %bb.149:                              ;   in Loop: Header=BB61_45 Depth=1
	s_and_not1_saveexec_b32 s0, s0
; %bb.150:                              ;   in Loop: Header=BB61_45 Depth=1
	v_and_b32_e32 v97, 0xffff, v84
	v_or_b32_e32 v98, 0x10000, v84
	s_delay_alu instid0(VALU_DEP_2) | instskip(NEXT) | instid1(VALU_DEP_2)
	v_cmp_eq_u32_e32 vcc_lo, 0, v97
	v_cndmask_b32_e32 v97, v98, v84, vcc_lo
; %bb.151:                              ;   in Loop: Header=BB61_45 Depth=1
	s_or_b32 exec_lo, exec_lo, s0
	v_and_b32_e32 v84, 0x7f800000, v85
	s_delay_alu instid0(VALU_DEP_1) | instskip(SKIP_1) | instid1(SALU_CYCLE_1)
	v_cmp_ne_u32_e32 vcc_lo, 0x7f800000, v84
                                        ; implicit-def: $vgpr84
	s_and_saveexec_b32 s0, vcc_lo
	s_xor_b32 s0, exec_lo, s0
; %bb.152:                              ;   in Loop: Header=BB61_45 Depth=1
	v_bfe_u32 v84, v85, 16, 1
	s_delay_alu instid0(VALU_DEP_1)
	v_add3_u32 v84, v85, v84, 0x7fff
                                        ; implicit-def: $vgpr85
; %bb.153:                              ;   in Loop: Header=BB61_45 Depth=1
	s_and_not1_saveexec_b32 s0, s0
; %bb.154:                              ;   in Loop: Header=BB61_45 Depth=1
	v_and_b32_e32 v84, 0xffff, v85
	v_or_b32_e32 v98, 0x10000, v85
	s_delay_alu instid0(VALU_DEP_2) | instskip(NEXT) | instid1(VALU_DEP_2)
	v_cmp_eq_u32_e32 vcc_lo, 0, v84
	v_cndmask_b32_e32 v84, v98, v85, vcc_lo
; %bb.155:                              ;   in Loop: Header=BB61_45 Depth=1
	s_or_b32 exec_lo, exec_lo, s0
	s_delay_alu instid0(VALU_DEP_1)
	v_perm_b32 v97, v84, v97, 0x7060302
	v_dual_mov_b32 v85, 0 :: v_dual_mov_b32 v84, 0
	s_and_not1_b32 vcc_lo, exec_lo, s17
	ds_store_b32 v93, v97 offset:1360
	s_cbranch_vccnz .LBB61_158
; %bb.156:                              ;   in Loop: Header=BB61_45 Depth=1
	ds_load_b32 v97, v96 offset:40
	v_dual_mov_b32 v84, 0 :: v_dual_mov_b32 v85, 0
	s_waitcnt lgkmcnt(0)
	v_cmp_gt_i32_e32 vcc_lo, 0, v97
	s_cbranch_vccnz .LBB61_158
; %bb.157:                              ;   in Loop: Header=BB61_45 Depth=1
	v_mul_lo_u32 v84, v97, s9
	s_delay_alu instid0(VALU_DEP_1) | instskip(NEXT) | instid1(VALU_DEP_1)
	v_add3_u32 v84, v84, s28, v81
	v_ashrrev_i32_e32 v85, 31, v84
	s_delay_alu instid0(VALU_DEP_1) | instskip(NEXT) | instid1(VALU_DEP_1)
	v_lshlrev_b64 v[84:85], 2, v[84:85]
	v_add_co_u32 v84, vcc_lo, s14, v84
	s_delay_alu instid0(VALU_DEP_2)
	v_add_co_ci_u32_e32 v85, vcc_lo, s18, v85, vcc_lo
	global_load_b64 v[84:85], v[84:85], off
.LBB61_158:                             ;   in Loop: Header=BB61_45 Depth=1
	s_waitcnt vmcnt(0)
	v_and_b32_e32 v97, 0x7f800000, v84
	s_delay_alu instid0(VALU_DEP_1) | instskip(SKIP_1) | instid1(SALU_CYCLE_1)
	v_cmp_ne_u32_e32 vcc_lo, 0x7f800000, v97
                                        ; implicit-def: $vgpr97
	s_and_saveexec_b32 s0, vcc_lo
	s_xor_b32 s0, exec_lo, s0
; %bb.159:                              ;   in Loop: Header=BB61_45 Depth=1
	v_bfe_u32 v97, v84, 16, 1
	s_delay_alu instid0(VALU_DEP_1)
	v_add3_u32 v97, v84, v97, 0x7fff
; %bb.160:                              ;   in Loop: Header=BB61_45 Depth=1
	s_and_not1_saveexec_b32 s0, s0
; %bb.161:                              ;   in Loop: Header=BB61_45 Depth=1
	v_and_b32_e32 v97, 0xffff, v84
	v_or_b32_e32 v98, 0x10000, v84
	s_delay_alu instid0(VALU_DEP_2) | instskip(NEXT) | instid1(VALU_DEP_2)
	v_cmp_eq_u32_e32 vcc_lo, 0, v97
	v_cndmask_b32_e32 v97, v98, v84, vcc_lo
; %bb.162:                              ;   in Loop: Header=BB61_45 Depth=1
	s_or_b32 exec_lo, exec_lo, s0
	v_and_b32_e32 v84, 0x7f800000, v85
	s_delay_alu instid0(VALU_DEP_1) | instskip(SKIP_1) | instid1(SALU_CYCLE_1)
	v_cmp_ne_u32_e32 vcc_lo, 0x7f800000, v84
                                        ; implicit-def: $vgpr84
	s_and_saveexec_b32 s0, vcc_lo
	s_xor_b32 s0, exec_lo, s0
; %bb.163:                              ;   in Loop: Header=BB61_45 Depth=1
	v_bfe_u32 v84, v85, 16, 1
	s_delay_alu instid0(VALU_DEP_1)
	v_add3_u32 v84, v85, v84, 0x7fff
                                        ; implicit-def: $vgpr85
; %bb.164:                              ;   in Loop: Header=BB61_45 Depth=1
	s_and_not1_saveexec_b32 s0, s0
	s_cbranch_execz .LBB61_44
; %bb.165:                              ;   in Loop: Header=BB61_45 Depth=1
	v_and_b32_e32 v84, 0xffff, v85
	v_or_b32_e32 v98, 0x10000, v85
	s_delay_alu instid0(VALU_DEP_2) | instskip(NEXT) | instid1(VALU_DEP_2)
	v_cmp_eq_u32_e32 vcc_lo, 0, v84
	v_cndmask_b32_e32 v84, v98, v85, vcc_lo
	s_branch .LBB61_44
.LBB61_166:
	s_or_b32 exec_lo, exec_lo, s19
.LBB61_167:
	s_delay_alu instid0(SALU_CYCLE_1) | instskip(SKIP_4) | instid1(VALU_DEP_3)
	s_or_b32 exec_lo, exec_lo, s5
	v_lshrrev_b32_e32 v16, 2, v80
	s_movk_i32 s0, 0x210
	v_lshlrev_b32_e32 v17, 2, v90
	v_mad_u32_u24 v18, v91, s0, 0x100
	v_and_b32_e32 v16, 0xfc, v16
	s_barrier
	buffer_gl0_inv
	s_mov_b32 s0, exec_lo
	v_add3_u32 v17, v18, v16, v17
	v_lshl_add_u32 v16, v80, 2, 0x100
	ds_store_2addr_b32 v17, v8, v9 offset0:16 offset1:18
	ds_store_2addr_b32 v17, v10, v11 offset0:20 offset1:22
	;; [unrolled: 1-line block ×7, first 2 shown]
	v_mad_u32_u24 v0, 0x210, v87, v16
	ds_store_2addr_b32 v17, v6, v7 offset0:44 offset1:46
	v_mov_b32_e32 v6, -1
	s_waitcnt lgkmcnt(0)
	s_barrier
	buffer_gl0_inv
	ds_load_2addr_b32 v[2:3], v0 offset0:16 offset1:48
	ds_load_2addr_b32 v[0:1], v0 offset0:80 offset1:112
	v_cmpx_gt_u32_e32 11, v87
	s_cbranch_execz .LBB61_169
; %bb.168:
	ds_load_b32 v6, v86
.LBB61_169:
	s_or_b32 exec_lo, exec_lo, s0
	s_mul_hi_i32 s9, s26, s15
	s_mul_i32 s8, s26, s15
	s_mul_hi_i32 s13, s33, s21
	s_lshl_b64 s[8:9], s[8:9], 2
	s_mul_i32 s12, s33, s21
	s_waitcnt lgkmcnt(0)
	v_cmp_lt_i32_e32 vcc_lo, -1, v6
	s_add_u32 s0, s6, s8
	v_mul_u32_u24_e32 v5, 0x210, v87
	s_addc_u32 s5, s7, s9
	s_lshl_b64 s[6:7], s[12:13], 2
	v_add_nc_u32_e32 v4, s1, v80
	s_add_u32 s0, s0, s6
	s_addc_u32 s1, s5, s7
	s_and_b32 s5, vcc_lo, s2
	s_delay_alu instid0(SALU_CYCLE_1)
	s_and_saveexec_b32 s2, s5
	s_cbranch_execz .LBB61_171
; %bb.170:
	v_mul_lo_u32 v6, v6, s10
	v_mul_lo_u32 v8, v87, s21
	v_dual_add_f32 v2, 0, v2 :: v_dual_mov_b32 v7, 0
	s_delay_alu instid0(VALU_DEP_1) | instskip(NEXT) | instid1(VALU_DEP_3)
	v_add_f32_e32 v2, v2, v3
	v_add3_u32 v6, v4, v8, v6
	s_delay_alu instid0(VALU_DEP_2) | instskip(NEXT) | instid1(VALU_DEP_2)
	v_add_f32_e32 v0, v2, v0
	v_lshlrev_b64 v[2:3], 2, v[6:7]
	s_delay_alu instid0(VALU_DEP_2) | instskip(NEXT) | instid1(VALU_DEP_2)
	v_add_f32_e32 v6, v0, v1
	v_add_co_u32 v0, vcc_lo, s0, v2
	s_delay_alu instid0(VALU_DEP_3)
	v_add_co_ci_u32_e32 v1, vcc_lo, s1, v3, vcc_lo
	global_store_b32 v[0:1], v6, off
.LBB61_171:
	s_or_b32 exec_lo, exec_lo, s2
	v_dual_mov_b32 v6, -1 :: v_dual_add_nc_u32 v5, v5, v16
	s_mov_b32 s2, exec_lo
	s_delay_alu instid0(VALU_DEP_1)
	v_add_nc_u32_e32 v0, 0x800, v5
	ds_load_2addr_b32 v[2:3], v0 offset0:32 offset1:64
	ds_load_2addr_b32 v[0:1], v0 offset0:96 offset1:128
	v_cmpx_gt_u32_e32 7, v87
	s_cbranch_execz .LBB61_173
; %bb.172:
	ds_load_b32 v6, v86 offset:16
.LBB61_173:
	s_or_b32 exec_lo, exec_lo, s2
	s_waitcnt lgkmcnt(0)
	v_cmp_lt_i32_e32 vcc_lo, -1, v6
	s_and_b32 s3, vcc_lo, s3
	s_delay_alu instid0(SALU_CYCLE_1)
	s_and_saveexec_b32 s2, s3
	s_cbranch_execz .LBB61_175
; %bb.174:
	v_mul_lo_u32 v6, v6, s10
	v_mul_lo_u32 v8, v88, s21
	v_dual_add_f32 v2, 0, v2 :: v_dual_mov_b32 v7, 0
	s_delay_alu instid0(VALU_DEP_1) | instskip(NEXT) | instid1(VALU_DEP_3)
	v_add_f32_e32 v2, v2, v3
	v_add3_u32 v6, v4, v8, v6
	s_delay_alu instid0(VALU_DEP_2) | instskip(NEXT) | instid1(VALU_DEP_2)
	v_add_f32_e32 v0, v2, v0
	v_lshlrev_b64 v[2:3], 2, v[6:7]
	s_delay_alu instid0(VALU_DEP_2) | instskip(NEXT) | instid1(VALU_DEP_2)
	v_add_f32_e32 v6, v0, v1
	v_add_co_u32 v0, vcc_lo, s0, v2
	s_delay_alu instid0(VALU_DEP_3)
	v_add_co_ci_u32_e32 v1, vcc_lo, s1, v3, vcc_lo
	global_store_b32 v[0:1], v6, off
.LBB61_175:
	s_or_b32 exec_lo, exec_lo, s2
	v_cmp_gt_u32_e32 vcc_lo, 3, v87
	s_and_b32 exec_lo, exec_lo, vcc_lo
	s_cbranch_execz .LBB61_178
; %bb.176:
	ds_load_b32 v0, v86 offset:32
	s_waitcnt lgkmcnt(0)
	v_cmp_lt_i32_e32 vcc_lo, -1, v0
	s_and_b32 s2, vcc_lo, s4
	s_delay_alu instid0(SALU_CYCLE_1)
	s_and_b32 exec_lo, exec_lo, s2
	s_cbranch_execz .LBB61_178
; %bb.177:
	v_add_nc_u32_e32 v3, 0x1000, v5
	v_mul_lo_u32 v0, v0, s10
	ds_load_2addr_b32 v[1:2], v3 offset0:48 offset1:80
	ds_load_2addr_b32 v[5:6], v3 offset0:112 offset1:144
	v_mul_lo_u32 v3, v89, s21
	s_delay_alu instid0(VALU_DEP_1) | instskip(SKIP_2) | instid1(VALU_DEP_1)
	v_add3_u32 v0, v4, v3, v0
	s_waitcnt lgkmcnt(1)
	v_add_f32_e32 v7, 0, v1
	v_dual_add_f32 v2, v7, v2 :: v_dual_mov_b32 v1, 0
	s_waitcnt lgkmcnt(0)
	s_delay_alu instid0(VALU_DEP_1) | instskip(NEXT) | instid1(VALU_DEP_2)
	v_add_f32_e32 v2, v2, v5
	v_lshlrev_b64 v[0:1], 2, v[0:1]
	s_delay_alu instid0(VALU_DEP_2) | instskip(NEXT) | instid1(VALU_DEP_2)
	v_add_f32_e32 v2, v2, v6
	v_add_co_u32 v0, vcc_lo, s0, v0
	s_delay_alu instid0(VALU_DEP_3)
	v_add_co_ci_u32_e32 v1, vcc_lo, s1, v1, vcc_lo
	global_store_b32 v[0:1], v2, off
.LBB61_178:
	s_nop 0
	s_sendmsg sendmsg(MSG_DEALLOC_VGPRS)
	s_endpgm
	.section	.rodata,"a",@progbits
	.p2align	6, 0x0
	.amdhsa_kernel _ZL9mul_mat_fI15__hip_bfloat162Li32ELi11ELi4ELb1EEvPKT_PKfPKiPfiiiiiiiiiiiiiiii
		.amdhsa_group_segment_fixed_size 256
		.amdhsa_private_segment_fixed_size 0
		.amdhsa_kernarg_size 352
		.amdhsa_user_sgpr_count 13
		.amdhsa_user_sgpr_dispatch_ptr 0
		.amdhsa_user_sgpr_queue_ptr 0
		.amdhsa_user_sgpr_kernarg_segment_ptr 1
		.amdhsa_user_sgpr_dispatch_id 0
		.amdhsa_user_sgpr_private_segment_size 0
		.amdhsa_wavefront_size32 1
		.amdhsa_uses_dynamic_stack 0
		.amdhsa_enable_private_segment 0
		.amdhsa_system_sgpr_workgroup_id_x 1
		.amdhsa_system_sgpr_workgroup_id_y 1
		.amdhsa_system_sgpr_workgroup_id_z 1
		.amdhsa_system_sgpr_workgroup_info 0
		.amdhsa_system_vgpr_workitem_id 2
		.amdhsa_next_free_vgpr 121
		.amdhsa_next_free_sgpr 74
		.amdhsa_reserve_vcc 1
		.amdhsa_float_round_mode_32 0
		.amdhsa_float_round_mode_16_64 0
		.amdhsa_float_denorm_mode_32 3
		.amdhsa_float_denorm_mode_16_64 3
		.amdhsa_dx10_clamp 1
		.amdhsa_ieee_mode 1
		.amdhsa_fp16_overflow 0
		.amdhsa_workgroup_processor_mode 1
		.amdhsa_memory_ordered 1
		.amdhsa_forward_progress 0
		.amdhsa_shared_vgpr_count 0
		.amdhsa_exception_fp_ieee_invalid_op 0
		.amdhsa_exception_fp_denorm_src 0
		.amdhsa_exception_fp_ieee_div_zero 0
		.amdhsa_exception_fp_ieee_overflow 0
		.amdhsa_exception_fp_ieee_underflow 0
		.amdhsa_exception_fp_ieee_inexact 0
		.amdhsa_exception_int_div_zero 0
	.end_amdhsa_kernel
	.section	.text._ZL9mul_mat_fI15__hip_bfloat162Li32ELi11ELi4ELb1EEvPKT_PKfPKiPfiiiiiiiiiiiiiiii,"axG",@progbits,_ZL9mul_mat_fI15__hip_bfloat162Li32ELi11ELi4ELb1EEvPKT_PKfPKiPfiiiiiiiiiiiiiiii,comdat
.Lfunc_end61:
	.size	_ZL9mul_mat_fI15__hip_bfloat162Li32ELi11ELi4ELb1EEvPKT_PKfPKiPfiiiiiiiiiiiiiiii, .Lfunc_end61-_ZL9mul_mat_fI15__hip_bfloat162Li32ELi11ELi4ELb1EEvPKT_PKfPKiPfiiiiiiiiiiiiiiii
                                        ; -- End function
	.section	.AMDGPU.csdata,"",@progbits
; Kernel info:
; codeLenInByte = 8552
; NumSgprs: 76
; NumVgprs: 121
; ScratchSize: 0
; MemoryBound: 0
; FloatMode: 240
; IeeeMode: 1
; LDSByteSize: 256 bytes/workgroup (compile time only)
; SGPRBlocks: 9
; VGPRBlocks: 15
; NumSGPRsForWavesPerEU: 76
; NumVGPRsForWavesPerEU: 121
; Occupancy: 10
; WaveLimiterHint : 0
; COMPUTE_PGM_RSRC2:SCRATCH_EN: 0
; COMPUTE_PGM_RSRC2:USER_SGPR: 13
; COMPUTE_PGM_RSRC2:TRAP_HANDLER: 0
; COMPUTE_PGM_RSRC2:TGID_X_EN: 1
; COMPUTE_PGM_RSRC2:TGID_Y_EN: 1
; COMPUTE_PGM_RSRC2:TGID_Z_EN: 1
; COMPUTE_PGM_RSRC2:TIDIG_COMP_CNT: 2
	.section	.text._ZL9mul_mat_fI15__hip_bfloat162Li32ELi11ELi4ELb0EEvPKT_PKfPKiPfiiiiiiiiiiiiiiii,"axG",@progbits,_ZL9mul_mat_fI15__hip_bfloat162Li32ELi11ELi4ELb0EEvPKT_PKfPKiPfiiiiiiiiiiiiiiii,comdat
	.globl	_ZL9mul_mat_fI15__hip_bfloat162Li32ELi11ELi4ELb0EEvPKT_PKfPKiPfiiiiiiiiiiiiiiii ; -- Begin function _ZL9mul_mat_fI15__hip_bfloat162Li32ELi11ELi4ELb0EEvPKT_PKfPKiPfiiiiiiiiiiiiiiii
	.p2align	8
	.type	_ZL9mul_mat_fI15__hip_bfloat162Li32ELi11ELi4ELb0EEvPKT_PKfPKiPfiiiiiiiiiiiiiiii,@function
_ZL9mul_mat_fI15__hip_bfloat162Li32ELi11ELi4ELb0EEvPKT_PKfPKiPfiiiiiiiiiiiiiiii: ; @_ZL9mul_mat_fI15__hip_bfloat162Li32ELi11ELi4ELb0EEvPKT_PKfPKiPfiiiiiiiiiiiiiiii
; %bb.0:
	s_clause 0x2
	s_load_b256 s[4:11], s[0:1], 0x40
	s_load_b32 s22, s[0:1], 0x20
	s_load_b128 s[16:19], s[0:1], 0x2c
	v_bfe_u32 v86, v0, 10, 10
	v_and_b32_e32 v87, 0x3ff, v0
	s_mov_b32 s12, 0
	s_ashr_i32 s24, s15, 31
	s_waitcnt lgkmcnt(0)
	s_mov_b32 s19, exec_lo
	v_lshlrev_b32_e32 v88, 5, v86
	v_and_b32_e32 v89, 15, v87
	s_delay_alu instid0(VALU_DEP_2) | instskip(SKIP_4) | instid1(VALU_DEP_2)
	v_add_nc_u32_e32 v90, v88, v87
	s_abs_i32 s2, s4
	s_abs_i32 s23, s8
	v_cvt_f32_u32_e32 v1, s2
	v_cvt_f32_u32_e32 v2, s23
	v_rcp_iflag_f32_e32 v1, v1
	s_delay_alu instid0(VALU_DEP_1) | instskip(SKIP_2) | instid1(VALU_DEP_1)
	v_rcp_iflag_f32_e32 v2, v2
	s_waitcnt_depctr 0xfff
	v_dual_mul_f32 v0, 0x4f7ffffe, v1 :: v_dual_mul_f32 v1, 0x4f7ffffe, v2
	v_cvt_u32_f32_e32 v0, v0
	s_delay_alu instid0(VALU_DEP_2) | instskip(NEXT) | instid1(VALU_DEP_2)
	v_cvt_u32_f32_e32 v1, v1
	v_readfirstlane_b32 s25, v0
	s_delay_alu instid0(VALU_DEP_2)
	v_readfirstlane_b32 s3, v1
	v_cmpx_le_i32_e64 s22, v90
	s_xor_b32 s19, exec_lo, s19
; %bb.1:
	v_and_b32_e32 v89, 15, v87
                                        ; implicit-def: $vgpr90
; %bb.2:
	s_or_saveexec_b32 s19, s19
	s_load_b64 s[20:21], s[0:1], 0x18
	v_dual_mov_b32 v15, s12 :: v_dual_mov_b32 v14, s12
	v_dual_mov_b32 v13, s12 :: v_dual_mov_b32 v12, s12
	;; [unrolled: 1-line block ×8, first 2 shown]
	s_lshl_b32 s12, s13, 5
	s_xor_b32 exec_lo, exec_lo, s19
	s_cbranch_execz .LBB62_94
; %bb.3:
	s_sub_i32 s13, 0, s2
	s_sub_i32 s26, 0, s23
	s_mul_i32 s13, s13, s25
	s_mul_i32 s26, s26, s3
	s_mul_hi_u32 s13, s25, s13
	s_mul_hi_u32 s26, s3, s26
	s_abs_i32 s27, s14
	s_add_i32 s25, s25, s13
	s_add_i32 s26, s3, s26
	s_mul_hi_u32 s3, s27, s25
	s_ashr_i32 s25, s14, 31
	s_ashr_i32 s4, s4, 31
	s_mul_i32 s28, s3, s2
	s_xor_b32 s4, s25, s4
	s_sub_i32 s25, s27, s28
	s_abs_i32 s13, s15
	s_ashr_i32 s8, s8, 31
	s_add_i32 s27, s3, 1
	s_sub_i32 s28, s25, s2
	s_cmp_ge_u32 s25, s2
	s_mul_hi_u32 s26, s13, s26
	s_cselect_b32 s3, s27, s3
	s_cselect_b32 s25, s28, s25
	s_add_i32 s27, s3, 1
	s_cmp_ge_u32 s25, s2
	s_mul_i32 s28, s14, s6
	s_cselect_b32 s25, s27, s3
	s_load_b128 s[0:3], s[0:1], 0x0
	s_xor_b32 s25, s25, s4
	s_xor_b32 s8, s24, s8
	s_sub_i32 s4, s25, s4
	s_mul_i32 s25, s26, s23
	s_add_i32 s24, s26, 1
	s_sub_i32 s13, s13, s25
	s_mul_i32 s4, s4, s5
	s_sub_i32 s25, s13, s23
	s_cmp_ge_u32 s13, s23
	s_mul_hi_i32 s27, s10, s15
	s_cselect_b32 s24, s24, s26
	s_cselect_b32 s13, s25, s13
	s_add_i32 s25, s24, 1
	s_cmp_ge_u32 s13, s23
	s_mul_i32 s26, s10, s15
	s_cselect_b32 s13, s25, s24
	s_ashr_i32 s5, s4, 31
	s_xor_b32 s13, s13, s8
	v_mad_u32_u24 v0, 0x900, v86, 0
	s_sub_i32 s8, s13, s8
	v_dual_mov_b32 v92, 0 :: v_dual_lshlrev_b32 v1, 2, v87
	s_mul_hi_i32 s25, s8, s9
	s_mul_i32 s24, s8, s9
	s_mul_i32 s8, s12, s16
	s_lshl_b64 s[24:25], s[24:25], 2
	v_mul_u32_u24_e32 v2, 0x90, v89
	s_waitcnt lgkmcnt(0)
	s_add_u32 s13, s0, s24
	s_addc_u32 s23, s1, s25
	s_ashr_i32 s9, s8, 31
	s_lshl_b64 s[4:5], s[4:5], 2
	s_lshl_b64 s[8:9], s[8:9], 2
	v_lshlrev_b32_e32 v3, 7, v86
	s_add_u32 s30, s4, s8
	s_addc_u32 s31, s5, s9
	s_add_u32 s6, s30, s13
	s_addc_u32 s8, s31, s23
	s_ashr_i32 s29, s28, 31
	s_lshl_b64 s[4:5], s[26:27], 2
	s_lshl_b64 s[26:27], s[28:29], 2
	v_dual_mov_b32 v8, 0 :: v_dual_add_nc_u32 v93, v0, v2
	s_add_u32 s13, s2, s26
	s_addc_u32 s23, s3, s27
	s_add_u32 s9, s13, s4
	s_addc_u32 s10, s23, s5
	s_ashr_i32 s3, s16, 31
	s_mov_b32 s2, s16
	s_ashr_i32 s27, s17, 31
	s_lshl_b64 s[2:3], s[2:3], 2
	s_add_u32 s24, s30, s24
	s_addc_u32 s25, s31, s25
	v_mov_b32_e32 v2, v92
	v_add_co_u32 v3, s24, s24, v3
	s_delay_alu instid0(VALU_DEP_1) | instskip(SKIP_2) | instid1(VALU_DEP_4)
	v_add_co_ci_u32_e64 v4, null, s25, 0, s24
	v_lshlrev_b32_e32 v5, 8, v86
	v_dual_mov_b32 v0, 0 :: v_dual_add_nc_u32 v91, v0, v1
	v_add_co_u32 v1, vcc_lo, v3, v1
	s_delay_alu instid0(VALU_DEP_4) | instskip(NEXT) | instid1(VALU_DEP_4)
	v_add_co_ci_u32_e32 v3, vcc_lo, 0, v4, vcc_lo
	v_add_co_u32 v4, s4, s4, v5
	v_lshlrev_b32_e32 v6, 3, v87
	v_add_co_ci_u32_e64 v5, null, s5, 0, s4
	v_add_co_u32 v80, vcc_lo, s0, v1
	v_add_co_ci_u32_e32 v81, vcc_lo, s1, v3, vcc_lo
	s_delay_alu instid0(VALU_DEP_4) | instskip(NEXT) | instid1(VALU_DEP_4)
	v_add_co_u32 v1, vcc_lo, v4, v6
	v_add_co_ci_u32_e32 v3, vcc_lo, 0, v5, vcc_lo
	v_mov_b32_e32 v4, v92
	s_delay_alu instid0(VALU_DEP_3) | instskip(SKIP_1) | instid1(VALU_DEP_4)
	v_add_co_u32 v82, vcc_lo, s13, v1
	v_mov_b32_e32 v1, v92
	v_add_co_ci_u32_e32 v83, vcc_lo, s23, v3, vcc_lo
	v_mov_b32_e32 v3, v92
	v_mov_b32_e32 v5, v92
	;; [unrolled: 1-line block ×11, first 2 shown]
	s_mov_b32 s26, s17
	s_mul_i32 s1, s16, 31
	s_lshl_b64 s[4:5], s[26:27], 3
	s_lshl_b32 s13, s17, 1
	s_mul_i32 s23, s17, 3
	s_lshl_b32 s24, s17, 2
	s_mul_i32 s25, s17, 5
	s_mul_i32 s26, s17, 6
	s_mul_i32 s27, s17, 7
	s_lshl_b32 s28, s17, 3
	s_mul_i32 s29, s17, 9
	s_mul_i32 s17, s17, 10
	s_lshl_b32 s30, s16, 1
	s_mul_i32 s31, s16, 3
	s_lshl_b32 s33, s16, 2
	s_mul_i32 s34, s16, 5
	s_mul_i32 s35, s16, 6
	;; [unrolled: 1-line block ×3, first 2 shown]
	s_lshl_b32 s37, s16, 3
	s_mul_i32 s38, s16, 9
	s_mul_i32 s39, s16, 10
	;; [unrolled: 1-line block ×7, first 2 shown]
	s_lshl_b32 s45, s16, 4
	s_mul_i32 s46, s16, 17
	s_mul_i32 s47, s16, 18
	;; [unrolled: 1-line block ×14, first 2 shown]
	s_mov_b32 s16, 0
	s_branch .LBB62_5
.LBB62_4:                               ;   in Loop: Header=BB62_5 Depth=1
	s_or_b32 exec_lo, exec_lo, s0
	s_delay_alu instid0(VALU_DEP_1)
	v_perm_b32 v84, v95, v94, 0x7060302
	v_add_nc_u32_e32 v85, 0x400, v91
	v_add_nc_u32_e32 v94, 0x600, v91
	;; [unrolled: 1-line block ×3, first 2 shown]
	v_add_co_u32 v80, vcc_lo, 0x200, v80
	ds_store_2addr_b32 v85, v84, v92 offset0:104 offset1:140
	ds_store_2addr_b32 v85, v92, v92 offset0:176 offset1:212
	;; [unrolled: 1-line block ×3, first 2 shown]
	ds_load_b128 v[94:97], v93
	ds_load_b128 v[98:101], v93 offset:16
	ds_load_b128 v[102:105], v93 offset:32
	;; [unrolled: 1-line block ×5, first 2 shown]
	v_add_co_ci_u32_e32 v81, vcc_lo, 0, v81, vcc_lo
	v_cmp_le_i32_e32 vcc_lo, s22, v90
	v_add_co_u32 v82, s0, 0x400, v82
	s_delay_alu instid0(VALU_DEP_1)
	v_add_co_ci_u32_e64 v83, s0, 0, v83, s0
	s_or_b32 s16, vcc_lo, s16
	s_waitcnt lgkmcnt(4)
	v_wmma_f32_16x16x16_bf16 v[8:15], v[72:79], v[94:101], v[8:15]
	ds_load_b128 v[72:75], v93 offset:96
	ds_load_b128 v[76:79], v93 offset:112
	v_wmma_f32_16x16x16_bf16 v[0:7], v[64:71], v[94:101], v[0:7]
	s_waitcnt lgkmcnt(4)
	v_wmma_f32_16x16x16_bf16 v[8:15], v[48:55], v[102:109], v[8:15]
	s_delay_alu instid0(VALU_DEP_2) | instskip(SKIP_1) | instid1(VALU_DEP_2)
	v_wmma_f32_16x16x16_bf16 v[0:7], v[56:63], v[102:109], v[0:7]
	s_waitcnt lgkmcnt(2)
	v_wmma_f32_16x16x16_bf16 v[8:15], v[24:31], v[110:117], v[8:15]
	s_delay_alu instid0(VALU_DEP_2) | instskip(SKIP_1) | instid1(VALU_DEP_2)
	v_wmma_f32_16x16x16_bf16 v[0:7], v[40:47], v[110:117], v[0:7]
	s_waitcnt lgkmcnt(0)
	v_wmma_f32_16x16x16_bf16 v[8:15], v[16:23], v[72:79], v[8:15]
	s_delay_alu instid0(VALU_DEP_2)
	v_wmma_f32_16x16x16_bf16 v[0:7], v[32:39], v[72:79], v[0:7]
	s_and_not1_b32 exec_lo, exec_lo, s16
	s_cbranch_execz .LBB62_93
.LBB62_5:                               ; =>This Inner Loop Header: Depth=1
	v_add_nc_u32_e32 v16, s30, v90
	v_add_nc_u32_e32 v22, s33, v90
	;; [unrolled: 1-line block ×3, first 2 shown]
	v_add_co_u32 v20, vcc_lo, v80, s2
	s_delay_alu instid0(VALU_DEP_4)
	v_ashrrev_i32_e32 v17, 31, v16
	v_add_co_ci_u32_e32 v21, vcc_lo, s3, v81, vcc_lo
	v_ashrrev_i32_e32 v23, 31, v22
	v_ashrrev_i32_e32 v19, 31, v18
	v_add_nc_u32_e32 v24, s34, v90
	v_lshlrev_b64 v[16:17], 2, v[16:17]
	s_clause 0x1
	global_load_b32 v38, v[80:81], off
	global_load_b32 v39, v[20:21], off
	v_lshlrev_b64 v[20:21], 2, v[22:23]
	v_add_nc_u32_e32 v22, s35, v90
	v_lshlrev_b64 v[18:19], 2, v[18:19]
	v_ashrrev_i32_e32 v25, 31, v24
	v_add_nc_u32_e32 v26, s36, v90
	v_add_co_u32 v16, vcc_lo, s6, v16
	v_ashrrev_i32_e32 v23, 31, v22
	v_add_co_ci_u32_e32 v17, vcc_lo, s8, v17, vcc_lo
	v_add_nc_u32_e32 v28, s37, v90
	v_add_co_u32 v18, vcc_lo, s6, v18
	v_lshlrev_b64 v[24:25], 2, v[24:25]
	v_ashrrev_i32_e32 v27, 31, v26
	v_add_co_ci_u32_e32 v19, vcc_lo, s8, v19, vcc_lo
	v_add_nc_u32_e32 v30, s38, v90
	v_add_co_u32 v20, vcc_lo, s6, v20
	v_lshlrev_b64 v[22:23], 2, v[22:23]
	v_ashrrev_i32_e32 v29, 31, v28
	v_add_co_ci_u32_e32 v21, vcc_lo, s8, v21, vcc_lo
	v_add_co_u32 v24, vcc_lo, s6, v24
	v_lshlrev_b64 v[26:27], 2, v[26:27]
	v_ashrrev_i32_e32 v31, 31, v30
	v_add_co_ci_u32_e32 v25, vcc_lo, s8, v25, vcc_lo
	v_add_co_u32 v22, vcc_lo, s6, v22
	v_lshlrev_b64 v[28:29], 2, v[28:29]
	v_add_co_ci_u32_e32 v23, vcc_lo, s8, v23, vcc_lo
	v_add_nc_u32_e32 v32, s39, v90
	v_add_co_u32 v26, vcc_lo, s6, v26
	v_lshlrev_b64 v[30:31], 2, v[30:31]
	v_add_co_ci_u32_e32 v27, vcc_lo, s8, v27, vcc_lo
	v_add_nc_u32_e32 v34, s40, v90
	v_add_co_u32 v28, vcc_lo, s6, v28
	v_ashrrev_i32_e32 v33, 31, v32
	v_add_co_ci_u32_e32 v29, vcc_lo, s8, v29, vcc_lo
	v_add_nc_u32_e32 v36, s41, v90
	v_add_co_u32 v30, vcc_lo, s6, v30
	v_ashrrev_i32_e32 v35, 31, v34
	v_add_co_ci_u32_e32 v31, vcc_lo, s8, v31, vcc_lo
	s_clause 0x7
	global_load_b32 v40, v[16:17], off
	global_load_b32 v41, v[18:19], off
	global_load_b32 v42, v[20:21], off
	global_load_b32 v43, v[24:25], off
	global_load_b32 v44, v[22:23], off
	global_load_b32 v45, v[26:27], off
	global_load_b32 v46, v[28:29], off
	global_load_b32 v47, v[30:31], off
	v_add_nc_u32_e32 v18, s42, v90
	v_lshlrev_b64 v[32:33], 2, v[32:33]
	v_ashrrev_i32_e32 v37, 31, v36
	v_add_nc_u32_e32 v24, s43, v90
	v_lshlrev_b64 v[16:17], 2, v[34:35]
	v_ashrrev_i32_e32 v19, 31, v18
	v_add_nc_u32_e32 v26, s44, v90
	v_add_co_u32 v20, vcc_lo, s6, v32
	v_lshlrev_b64 v[22:23], 2, v[36:37]
	v_ashrrev_i32_e32 v25, 31, v24
	v_add_co_ci_u32_e32 v21, vcc_lo, s8, v33, vcc_lo
	v_add_nc_u32_e32 v28, s45, v90
	v_add_co_u32 v16, vcc_lo, s6, v16
	v_lshlrev_b64 v[18:19], 2, v[18:19]
	v_ashrrev_i32_e32 v27, 31, v26
	v_add_co_ci_u32_e32 v17, vcc_lo, s8, v17, vcc_lo
	v_add_nc_u32_e32 v30, s46, v90
	v_add_co_u32 v22, vcc_lo, s6, v22
	v_lshlrev_b64 v[24:25], 2, v[24:25]
	v_ashrrev_i32_e32 v29, 31, v28
	v_add_co_ci_u32_e32 v23, vcc_lo, s8, v23, vcc_lo
	v_add_co_u32 v18, vcc_lo, s6, v18
	v_lshlrev_b64 v[26:27], 2, v[26:27]
	v_ashrrev_i32_e32 v31, 31, v30
	v_add_co_ci_u32_e32 v19, vcc_lo, s8, v19, vcc_lo
	v_add_co_u32 v24, vcc_lo, s6, v24
	v_lshlrev_b64 v[28:29], 2, v[28:29]
	v_add_co_ci_u32_e32 v25, vcc_lo, s8, v25, vcc_lo
	v_add_nc_u32_e32 v32, s47, v90
	v_add_co_u32 v26, vcc_lo, s6, v26
	v_lshlrev_b64 v[30:31], 2, v[30:31]
	v_add_co_ci_u32_e32 v27, vcc_lo, s8, v27, vcc_lo
	v_add_nc_u32_e32 v34, s48, v90
	v_add_co_u32 v28, vcc_lo, s6, v28
	v_ashrrev_i32_e32 v33, 31, v32
	v_add_co_ci_u32_e32 v29, vcc_lo, s8, v29, vcc_lo
	v_add_nc_u32_e32 v36, s49, v90
	v_add_co_u32 v30, vcc_lo, s6, v30
	v_ashrrev_i32_e32 v35, 31, v34
	v_add_co_ci_u32_e32 v31, vcc_lo, s8, v31, vcc_lo
	s_clause 0x7
	global_load_b32 v48, v[20:21], off
	global_load_b32 v49, v[16:17], off
	global_load_b32 v50, v[22:23], off
	global_load_b32 v51, v[18:19], off
	global_load_b32 v52, v[24:25], off
	global_load_b32 v53, v[26:27], off
	global_load_b32 v56, v[28:29], off
	global_load_b32 v57, v[30:31], off
	v_add_nc_u32_e32 v18, s50, v90
	v_lshlrev_b64 v[32:33], 2, v[32:33]
	v_ashrrev_i32_e32 v37, 31, v36
	v_add_nc_u32_e32 v24, s51, v90
	v_lshlrev_b64 v[16:17], 2, v[34:35]
	v_ashrrev_i32_e32 v19, 31, v18
	v_add_nc_u32_e32 v26, s52, v90
	v_add_co_u32 v20, vcc_lo, s6, v32
	v_lshlrev_b64 v[22:23], 2, v[36:37]
	;; [unrolled: 49-line block ×3, first 2 shown]
	v_ashrrev_i32_e32 v25, 31, v24
	v_add_co_ci_u32_e32 v21, vcc_lo, s8, v33, vcc_lo
	v_add_co_u32 v16, vcc_lo, s6, v16
	v_lshlrev_b64 v[18:19], 2, v[18:19]
	v_ashrrev_i32_e32 v27, 31, v26
	v_add_co_ci_u32_e32 v17, vcc_lo, s8, v17, vcc_lo
	v_add_co_u32 v22, vcc_lo, s6, v22
	v_lshlrev_b64 v[24:25], 2, v[24:25]
	v_add_co_ci_u32_e32 v23, vcc_lo, s8, v23, vcc_lo
	v_add_co_u32 v18, vcc_lo, s6, v18
	v_lshlrev_b64 v[26:27], 2, v[26:27]
	v_add_co_ci_u32_e32 v19, vcc_lo, s8, v19, vcc_lo
	v_add_co_u32 v24, vcc_lo, s6, v24
	v_add_co_ci_u32_e32 v25, vcc_lo, s8, v25, vcc_lo
	s_delay_alu instid0(VALU_DEP_4)
	v_add_co_u32 v26, vcc_lo, s6, v26
	v_add_co_ci_u32_e32 v27, vcc_lo, s8, v27, vcc_lo
	s_clause 0x5
	global_load_b32 v32, v[20:21], off
	global_load_b32 v33, v[16:17], off
	;; [unrolled: 1-line block ×6, first 2 shown]
	global_load_b64 v[84:85], v[82:83], off
	s_waitcnt vmcnt(32)
	ds_store_b32 v91, v38
	s_waitcnt vmcnt(31)
	ds_store_b32 v91, v39 offset:144
	s_waitcnt vmcnt(30)
	ds_store_b32 v91, v40 offset:288
	s_waitcnt vmcnt(29)
	ds_store_b32 v91, v41 offset:432
	s_waitcnt vmcnt(28)
	ds_store_b32 v91, v42 offset:576
	s_waitcnt vmcnt(27)
	ds_store_b32 v91, v43 offset:720
	s_waitcnt vmcnt(26)
	ds_store_b32 v91, v44 offset:864
	s_waitcnt vmcnt(25)
	ds_store_b32 v91, v45 offset:1008
	s_waitcnt vmcnt(24)
	ds_store_b32 v91, v46 offset:1152
	s_waitcnt vmcnt(23)
	ds_store_b32 v91, v47 offset:1296
	s_waitcnt vmcnt(22)
	ds_store_b32 v91, v48 offset:1440
	s_waitcnt vmcnt(21)
	ds_store_b32 v91, v49 offset:1584
	s_waitcnt vmcnt(20)
	ds_store_b32 v91, v50 offset:1728
	s_waitcnt vmcnt(19)
	ds_store_b32 v91, v51 offset:1872
	s_waitcnt vmcnt(18)
	ds_store_b32 v91, v52 offset:2016
	s_waitcnt vmcnt(17)
	ds_store_b32 v91, v53 offset:2160
	ds_load_b128 v[72:75], v93
	ds_load_b128 v[76:79], v93 offset:16
	ds_load_b128 v[48:51], v93 offset:32
	;; [unrolled: 1-line block ×7, first 2 shown]
	s_waitcnt vmcnt(16)
	ds_store_b32 v91, v56
	s_waitcnt vmcnt(15)
	ds_store_b32 v91, v57 offset:144
	s_waitcnt vmcnt(14)
	ds_store_b32 v91, v58 offset:288
	;; [unrolled: 2-line block ×15, first 2 shown]
	ds_load_b128 v[64:67], v93
	ds_load_b128 v[68:71], v93 offset:16
	ds_load_b128 v[56:59], v93 offset:32
	;; [unrolled: 1-line block ×7, first 2 shown]
	s_waitcnt vmcnt(0)
	v_and_b32_e32 v94, 0x7f800000, v84
	s_delay_alu instid0(VALU_DEP_1) | instskip(SKIP_1) | instid1(SALU_CYCLE_1)
	v_cmp_ne_u32_e32 vcc_lo, 0x7f800000, v94
                                        ; implicit-def: $vgpr94
	s_and_saveexec_b32 s0, vcc_lo
	s_xor_b32 s0, exec_lo, s0
; %bb.6:                                ;   in Loop: Header=BB62_5 Depth=1
	v_bfe_u32 v94, v84, 16, 1
	s_delay_alu instid0(VALU_DEP_1)
	v_add3_u32 v94, v84, v94, 0x7fff
; %bb.7:                                ;   in Loop: Header=BB62_5 Depth=1
	s_and_not1_saveexec_b32 s0, s0
; %bb.8:                                ;   in Loop: Header=BB62_5 Depth=1
	v_and_b32_e32 v94, 0xffff, v84
	v_or_b32_e32 v95, 0x10000, v84
	s_delay_alu instid0(VALU_DEP_2) | instskip(NEXT) | instid1(VALU_DEP_2)
	v_cmp_eq_u32_e32 vcc_lo, 0, v94
	v_cndmask_b32_e32 v94, v95, v84, vcc_lo
; %bb.9:                                ;   in Loop: Header=BB62_5 Depth=1
	s_or_b32 exec_lo, exec_lo, s0
	v_and_b32_e32 v84, 0x7f800000, v85
	s_mov_b32 s0, exec_lo
                                        ; implicit-def: $vgpr95
	s_delay_alu instid0(VALU_DEP_1)
	v_cmpx_ne_u32_e32 0x7f800000, v84
	s_xor_b32 s0, exec_lo, s0
; %bb.10:                               ;   in Loop: Header=BB62_5 Depth=1
	v_bfe_u32 v84, v85, 16, 1
	s_delay_alu instid0(VALU_DEP_1)
	v_add3_u32 v95, v85, v84, 0x7fff
                                        ; implicit-def: $vgpr84_vgpr85
; %bb.11:                               ;   in Loop: Header=BB62_5 Depth=1
	s_and_not1_saveexec_b32 s0, s0
; %bb.12:                               ;   in Loop: Header=BB62_5 Depth=1
	v_and_b32_e32 v84, 0xffff, v85
	v_or_b32_e32 v95, 0x10000, v85
	s_delay_alu instid0(VALU_DEP_2) | instskip(NEXT) | instid1(VALU_DEP_2)
	v_cmp_eq_u32_e32 vcc_lo, 0, v84
	v_cndmask_b32_e32 v95, v95, v85, vcc_lo
; %bb.13:                               ;   in Loop: Header=BB62_5 Depth=1
	s_or_b32 exec_lo, exec_lo, s0
	s_delay_alu instid0(VALU_DEP_1)
	v_perm_b32 v84, v95, v94, 0x7060302
	ds_store_b32 v91, v84
	v_add_co_u32 v84, vcc_lo, v82, s4
	v_add_co_ci_u32_e32 v85, vcc_lo, s5, v83, vcc_lo
	global_load_b64 v[84:85], v[84:85], off
	s_waitcnt vmcnt(0)
	v_and_b32_e32 v94, 0x7f800000, v84
	s_delay_alu instid0(VALU_DEP_1) | instskip(SKIP_1) | instid1(SALU_CYCLE_1)
	v_cmp_ne_u32_e32 vcc_lo, 0x7f800000, v94
                                        ; implicit-def: $vgpr94
	s_and_saveexec_b32 s0, vcc_lo
	s_xor_b32 s0, exec_lo, s0
; %bb.14:                               ;   in Loop: Header=BB62_5 Depth=1
	v_bfe_u32 v94, v84, 16, 1
	s_delay_alu instid0(VALU_DEP_1)
	v_add3_u32 v94, v84, v94, 0x7fff
; %bb.15:                               ;   in Loop: Header=BB62_5 Depth=1
	s_and_not1_saveexec_b32 s0, s0
; %bb.16:                               ;   in Loop: Header=BB62_5 Depth=1
	v_and_b32_e32 v94, 0xffff, v84
	v_or_b32_e32 v95, 0x10000, v84
	s_delay_alu instid0(VALU_DEP_2) | instskip(NEXT) | instid1(VALU_DEP_2)
	v_cmp_eq_u32_e32 vcc_lo, 0, v94
	v_cndmask_b32_e32 v94, v95, v84, vcc_lo
; %bb.17:                               ;   in Loop: Header=BB62_5 Depth=1
	s_or_b32 exec_lo, exec_lo, s0
	v_and_b32_e32 v84, 0x7f800000, v85
	s_mov_b32 s0, exec_lo
                                        ; implicit-def: $vgpr95
	s_delay_alu instid0(VALU_DEP_1)
	v_cmpx_ne_u32_e32 0x7f800000, v84
	s_xor_b32 s0, exec_lo, s0
; %bb.18:                               ;   in Loop: Header=BB62_5 Depth=1
	v_bfe_u32 v84, v85, 16, 1
	s_delay_alu instid0(VALU_DEP_1)
	v_add3_u32 v95, v85, v84, 0x7fff
                                        ; implicit-def: $vgpr84_vgpr85
; %bb.19:                               ;   in Loop: Header=BB62_5 Depth=1
	s_and_not1_saveexec_b32 s0, s0
; %bb.20:                               ;   in Loop: Header=BB62_5 Depth=1
	v_and_b32_e32 v84, 0xffff, v85
	v_or_b32_e32 v95, 0x10000, v85
	s_delay_alu instid0(VALU_DEP_2) | instskip(NEXT) | instid1(VALU_DEP_2)
	v_cmp_eq_u32_e32 vcc_lo, 0, v84
	v_cndmask_b32_e32 v95, v95, v85, vcc_lo
; %bb.21:                               ;   in Loop: Header=BB62_5 Depth=1
	s_or_b32 exec_lo, exec_lo, s0
	s_delay_alu instid0(VALU_DEP_1) | instskip(SKIP_2) | instid1(VALU_DEP_1)
	v_perm_b32 v84, v95, v94, 0x7060302
	ds_store_b32 v91, v84 offset:144
	v_add_nc_u32_e32 v84, s13, v90
	v_ashrrev_i32_e32 v85, 31, v84
	s_delay_alu instid0(VALU_DEP_1) | instskip(NEXT) | instid1(VALU_DEP_1)
	v_lshlrev_b64 v[84:85], 3, v[84:85]
	v_add_co_u32 v84, vcc_lo, s9, v84
	s_delay_alu instid0(VALU_DEP_2) | instskip(SKIP_3) | instid1(VALU_DEP_1)
	v_add_co_ci_u32_e32 v85, vcc_lo, s10, v85, vcc_lo
	global_load_b64 v[84:85], v[84:85], off
	s_waitcnt vmcnt(0)
	v_and_b32_e32 v94, 0x7f800000, v84
	v_cmp_ne_u32_e32 vcc_lo, 0x7f800000, v94
                                        ; implicit-def: $vgpr94
	s_and_saveexec_b32 s0, vcc_lo
	s_delay_alu instid0(SALU_CYCLE_1)
	s_xor_b32 s0, exec_lo, s0
; %bb.22:                               ;   in Loop: Header=BB62_5 Depth=1
	v_bfe_u32 v94, v84, 16, 1
	s_delay_alu instid0(VALU_DEP_1)
	v_add3_u32 v94, v84, v94, 0x7fff
; %bb.23:                               ;   in Loop: Header=BB62_5 Depth=1
	s_and_not1_saveexec_b32 s0, s0
; %bb.24:                               ;   in Loop: Header=BB62_5 Depth=1
	v_and_b32_e32 v94, 0xffff, v84
	v_or_b32_e32 v95, 0x10000, v84
	s_delay_alu instid0(VALU_DEP_2) | instskip(NEXT) | instid1(VALU_DEP_2)
	v_cmp_eq_u32_e32 vcc_lo, 0, v94
	v_cndmask_b32_e32 v94, v95, v84, vcc_lo
; %bb.25:                               ;   in Loop: Header=BB62_5 Depth=1
	s_or_b32 exec_lo, exec_lo, s0
	v_and_b32_e32 v84, 0x7f800000, v85
	s_mov_b32 s0, exec_lo
                                        ; implicit-def: $vgpr95
	s_delay_alu instid0(VALU_DEP_1)
	v_cmpx_ne_u32_e32 0x7f800000, v84
	s_xor_b32 s0, exec_lo, s0
; %bb.26:                               ;   in Loop: Header=BB62_5 Depth=1
	v_bfe_u32 v84, v85, 16, 1
	s_delay_alu instid0(VALU_DEP_1)
	v_add3_u32 v95, v85, v84, 0x7fff
                                        ; implicit-def: $vgpr84_vgpr85
; %bb.27:                               ;   in Loop: Header=BB62_5 Depth=1
	s_and_not1_saveexec_b32 s0, s0
; %bb.28:                               ;   in Loop: Header=BB62_5 Depth=1
	v_and_b32_e32 v84, 0xffff, v85
	v_or_b32_e32 v95, 0x10000, v85
	s_delay_alu instid0(VALU_DEP_2) | instskip(NEXT) | instid1(VALU_DEP_2)
	v_cmp_eq_u32_e32 vcc_lo, 0, v84
	v_cndmask_b32_e32 v95, v95, v85, vcc_lo
; %bb.29:                               ;   in Loop: Header=BB62_5 Depth=1
	s_or_b32 exec_lo, exec_lo, s0
	s_delay_alu instid0(VALU_DEP_1) | instskip(SKIP_2) | instid1(VALU_DEP_1)
	v_perm_b32 v84, v95, v94, 0x7060302
	ds_store_b32 v91, v84 offset:288
	v_add_nc_u32_e32 v84, s23, v90
	v_ashrrev_i32_e32 v85, 31, v84
	s_delay_alu instid0(VALU_DEP_1) | instskip(NEXT) | instid1(VALU_DEP_1)
	v_lshlrev_b64 v[84:85], 3, v[84:85]
	v_add_co_u32 v84, vcc_lo, s9, v84
	s_delay_alu instid0(VALU_DEP_2) | instskip(SKIP_3) | instid1(VALU_DEP_1)
	v_add_co_ci_u32_e32 v85, vcc_lo, s10, v85, vcc_lo
	global_load_b64 v[84:85], v[84:85], off
	s_waitcnt vmcnt(0)
	v_and_b32_e32 v94, 0x7f800000, v84
	v_cmp_ne_u32_e32 vcc_lo, 0x7f800000, v94
                                        ; implicit-def: $vgpr94
	s_and_saveexec_b32 s0, vcc_lo
	s_delay_alu instid0(SALU_CYCLE_1)
	;; [unrolled: 53-line block ×9, first 2 shown]
	s_xor_b32 s0, exec_lo, s0
; %bb.86:                               ;   in Loop: Header=BB62_5 Depth=1
	v_bfe_u32 v94, v84, 16, 1
	s_delay_alu instid0(VALU_DEP_1)
	v_add3_u32 v94, v84, v94, 0x7fff
; %bb.87:                               ;   in Loop: Header=BB62_5 Depth=1
	s_and_not1_saveexec_b32 s0, s0
; %bb.88:                               ;   in Loop: Header=BB62_5 Depth=1
	v_and_b32_e32 v94, 0xffff, v84
	v_or_b32_e32 v95, 0x10000, v84
	s_delay_alu instid0(VALU_DEP_2) | instskip(NEXT) | instid1(VALU_DEP_2)
	v_cmp_eq_u32_e32 vcc_lo, 0, v94
	v_cndmask_b32_e32 v94, v95, v84, vcc_lo
; %bb.89:                               ;   in Loop: Header=BB62_5 Depth=1
	s_or_b32 exec_lo, exec_lo, s0
	v_and_b32_e32 v84, 0x7f800000, v85
	s_mov_b32 s0, exec_lo
                                        ; implicit-def: $vgpr95
	s_delay_alu instid0(VALU_DEP_1)
	v_cmpx_ne_u32_e32 0x7f800000, v84
	s_xor_b32 s0, exec_lo, s0
; %bb.90:                               ;   in Loop: Header=BB62_5 Depth=1
	v_bfe_u32 v84, v85, 16, 1
	s_delay_alu instid0(VALU_DEP_1)
	v_add3_u32 v95, v85, v84, 0x7fff
                                        ; implicit-def: $vgpr84_vgpr85
; %bb.91:                               ;   in Loop: Header=BB62_5 Depth=1
	s_and_not1_saveexec_b32 s0, s0
	s_cbranch_execz .LBB62_4
; %bb.92:                               ;   in Loop: Header=BB62_5 Depth=1
	v_and_b32_e32 v84, 0xffff, v85
	v_or_b32_e32 v95, 0x10000, v85
	s_delay_alu instid0(VALU_DEP_2) | instskip(NEXT) | instid1(VALU_DEP_2)
	v_cmp_eq_u32_e32 vcc_lo, 0, v84
	v_cndmask_b32_e32 v95, v95, v85, vcc_lo
	s_branch .LBB62_4
.LBB62_93:
	s_or_b32 exec_lo, exec_lo, s16
.LBB62_94:
	s_delay_alu instid0(SALU_CYCLE_1)
	s_or_b32 exec_lo, exec_lo, s19
	v_lshrrev_b32_e32 v16, 2, v87
	v_mad_u32_u24 v17, 0x210, v89, 0
	v_lshlrev_b32_e32 v18, 2, v88
	s_waitcnt lgkmcnt(0)
	s_barrier
	v_and_b32_e32 v16, 0xfc, v16
	buffer_gl0_inv
	s_mul_hi_i32 s1, s11, s15
	s_mul_i32 s0, s11, s15
	s_mul_i32 s2, s14, s7
	v_add3_u32 v17, v17, v16, v18
	v_lshl_add_u32 v16, v87, 2, 0
	s_lshl_b64 s[0:1], s[0:1], 2
	ds_store_2addr_b32 v17, v8, v9 offset1:2
	ds_store_2addr_b32 v17, v10, v11 offset0:4 offset1:6
	ds_store_2addr_b32 v17, v12, v13 offset0:8 offset1:10
	ds_store_2addr_b32 v17, v14, v15 offset0:12 offset1:14
	ds_store_2addr_b32 v17, v0, v1 offset0:16 offset1:18
	ds_store_2addr_b32 v17, v2, v3 offset0:20 offset1:22
	ds_store_2addr_b32 v17, v4, v5 offset0:24 offset1:26
	v_mad_u32_u24 v0, 0x210, v86, v16
	ds_store_2addr_b32 v17, v6, v7 offset0:28 offset1:30
	s_waitcnt lgkmcnt(0)
	s_barrier
	buffer_gl0_inv
	v_add_nc_u32_e32 v1, 0x800, v0
	s_add_u32 s4, s20, s0
	s_addc_u32 s5, s21, s1
	ds_load_2addr_b32 v[3:4], v0 offset1:32
	ds_load_2addr_b32 v[5:6], v1 offset0:16 offset1:48
	ds_load_2addr_b32 v[7:8], v0 offset0:64 offset1:96
	;; [unrolled: 1-line block ×3, first 2 shown]
	s_ashr_i32 s3, s2, 31
	s_delay_alu instid0(SALU_CYCLE_1)
	s_lshl_b64 s[0:1], s[2:3], 2
	s_mov_b32 s2, exec_lo
	s_add_u32 s0, s4, s0
	s_addc_u32 s1, s5, s1
	s_waitcnt lgkmcnt(3)
	v_add_f32_e32 v3, 0, v3
	s_waitcnt lgkmcnt(2)
	v_dual_add_f32 v5, 0, v5 :: v_dual_add_nc_u32 v0, s12, v87
	s_delay_alu instid0(VALU_DEP_2) | instskip(NEXT) | instid1(VALU_DEP_2)
	v_add_f32_e32 v11, v3, v4
	v_mad_u64_u32 v[1:2], null, v86, s18, v[0:1]
	v_mov_b32_e32 v2, 0
	s_waitcnt lgkmcnt(1)
	s_delay_alu instid0(VALU_DEP_3) | instskip(NEXT) | instid1(VALU_DEP_2)
	v_dual_add_f32 v12, v5, v6 :: v_dual_add_f32 v7, v11, v7
	v_lshlrev_b64 v[3:4], 2, v[1:2]
	v_lshl_add_u32 v1, s18, 2, v1
	s_delay_alu instid0(VALU_DEP_3) | instskip(NEXT) | instid1(VALU_DEP_2)
	v_add_f32_e32 v7, v7, v8
	v_lshlrev_b64 v[5:6], 2, v[1:2]
	s_waitcnt lgkmcnt(0)
	v_add_f32_e32 v1, v12, v9
	v_add_co_u32 v3, vcc_lo, s0, v3
	v_add_co_ci_u32_e32 v4, vcc_lo, s1, v4, vcc_lo
	s_delay_alu instid0(VALU_DEP_4) | instskip(NEXT) | instid1(VALU_DEP_4)
	v_add_co_u32 v5, vcc_lo, s0, v5
	v_add_f32_e32 v1, v1, v10
	v_add_co_ci_u32_e32 v6, vcc_lo, s1, v6, vcc_lo
	s_clause 0x1
	global_store_b32 v[3:4], v7, off
	global_store_b32 v[5:6], v1, off
	v_cmpx_gt_u32_e32 3, v86
	s_cbranch_execz .LBB62_96
; %bb.95:
	v_or_b32_e32 v1, 8, v86
	s_delay_alu instid0(VALU_DEP_1)
	v_mad_u32_u24 v5, 0x210, v1, v16
	v_mad_u64_u32 v[7:8], null, v1, s18, v[0:1]
	ds_load_2addr_b32 v[3:4], v5 offset1:32
	ds_load_2addr_b32 v[5:6], v5 offset0:64 offset1:96
	s_waitcnt lgkmcnt(1)
	v_dual_mov_b32 v8, v2 :: v_dual_add_f32 v3, 0, v3
	s_delay_alu instid0(VALU_DEP_1) | instskip(SKIP_1) | instid1(VALU_DEP_1)
	v_add_f32_e32 v0, v3, v4
	s_waitcnt lgkmcnt(0)
	v_add_f32_e32 v2, v0, v5
	s_delay_alu instid0(VALU_DEP_3) | instskip(NEXT) | instid1(VALU_DEP_2)
	v_lshlrev_b64 v[0:1], 2, v[7:8]
	v_add_f32_e32 v2, v2, v6
	s_delay_alu instid0(VALU_DEP_2) | instskip(NEXT) | instid1(VALU_DEP_3)
	v_add_co_u32 v0, vcc_lo, s0, v0
	v_add_co_ci_u32_e32 v1, vcc_lo, s1, v1, vcc_lo
	global_store_b32 v[0:1], v2, off
.LBB62_96:
	s_nop 0
	s_sendmsg sendmsg(MSG_DEALLOC_VGPRS)
	s_endpgm
	.section	.rodata,"a",@progbits
	.p2align	6, 0x0
	.amdhsa_kernel _ZL9mul_mat_fI15__hip_bfloat162Li32ELi11ELi4ELb0EEvPKT_PKfPKiPfiiiiiiiiiiiiiiii
		.amdhsa_group_segment_fixed_size 0
		.amdhsa_private_segment_fixed_size 0
		.amdhsa_kernarg_size 96
		.amdhsa_user_sgpr_count 13
		.amdhsa_user_sgpr_dispatch_ptr 0
		.amdhsa_user_sgpr_queue_ptr 0
		.amdhsa_user_sgpr_kernarg_segment_ptr 1
		.amdhsa_user_sgpr_dispatch_id 0
		.amdhsa_user_sgpr_private_segment_size 0
		.amdhsa_wavefront_size32 1
		.amdhsa_uses_dynamic_stack 0
		.amdhsa_enable_private_segment 0
		.amdhsa_system_sgpr_workgroup_id_x 1
		.amdhsa_system_sgpr_workgroup_id_y 1
		.amdhsa_system_sgpr_workgroup_id_z 1
		.amdhsa_system_sgpr_workgroup_info 0
		.amdhsa_system_vgpr_workitem_id 1
		.amdhsa_next_free_vgpr 118
		.amdhsa_next_free_sgpr 60
		.amdhsa_reserve_vcc 1
		.amdhsa_float_round_mode_32 0
		.amdhsa_float_round_mode_16_64 0
		.amdhsa_float_denorm_mode_32 3
		.amdhsa_float_denorm_mode_16_64 3
		.amdhsa_dx10_clamp 1
		.amdhsa_ieee_mode 1
		.amdhsa_fp16_overflow 0
		.amdhsa_workgroup_processor_mode 1
		.amdhsa_memory_ordered 1
		.amdhsa_forward_progress 0
		.amdhsa_shared_vgpr_count 0
		.amdhsa_exception_fp_ieee_invalid_op 0
		.amdhsa_exception_fp_denorm_src 0
		.amdhsa_exception_fp_ieee_div_zero 0
		.amdhsa_exception_fp_ieee_overflow 0
		.amdhsa_exception_fp_ieee_underflow 0
		.amdhsa_exception_fp_ieee_inexact 0
		.amdhsa_exception_int_div_zero 0
	.end_amdhsa_kernel
	.section	.text._ZL9mul_mat_fI15__hip_bfloat162Li32ELi11ELi4ELb0EEvPKT_PKfPKiPfiiiiiiiiiiiiiiii,"axG",@progbits,_ZL9mul_mat_fI15__hip_bfloat162Li32ELi11ELi4ELb0EEvPKT_PKfPKiPfiiiiiiiiiiiiiiii,comdat
.Lfunc_end62:
	.size	_ZL9mul_mat_fI15__hip_bfloat162Li32ELi11ELi4ELb0EEvPKT_PKfPKiPfiiiiiiiiiiiiiiii, .Lfunc_end62-_ZL9mul_mat_fI15__hip_bfloat162Li32ELi11ELi4ELb0EEvPKT_PKfPKiPfiiiiiiiiiiiiiiii
                                        ; -- End function
	.section	.AMDGPU.csdata,"",@progbits
; Kernel info:
; codeLenInByte = 6036
; NumSgprs: 62
; NumVgprs: 118
; ScratchSize: 0
; MemoryBound: 0
; FloatMode: 240
; IeeeMode: 1
; LDSByteSize: 0 bytes/workgroup (compile time only)
; SGPRBlocks: 7
; VGPRBlocks: 14
; NumSGPRsForWavesPerEU: 62
; NumVGPRsForWavesPerEU: 118
; Occupancy: 12
; WaveLimiterHint : 0
; COMPUTE_PGM_RSRC2:SCRATCH_EN: 0
; COMPUTE_PGM_RSRC2:USER_SGPR: 13
; COMPUTE_PGM_RSRC2:TRAP_HANDLER: 0
; COMPUTE_PGM_RSRC2:TGID_X_EN: 1
; COMPUTE_PGM_RSRC2:TGID_Y_EN: 1
; COMPUTE_PGM_RSRC2:TGID_Z_EN: 1
; COMPUTE_PGM_RSRC2:TIDIG_COMP_CNT: 1
	.section	.text._ZL13mul_mat_f_idsI15__hip_bfloat162Li32ELi11ELi5EEvPKT_PKfPKiS7_S7_Pfiiiiiiiiiiiiii15HIP_vector_typeIjLj3EESA_,"axG",@progbits,_ZL13mul_mat_f_idsI15__hip_bfloat162Li32ELi11ELi5EEvPKT_PKfPKiS7_S7_Pfiiiiiiiiiiiiii15HIP_vector_typeIjLj3EESA_,comdat
	.globl	_ZL13mul_mat_f_idsI15__hip_bfloat162Li32ELi11ELi5EEvPKT_PKfPKiS7_S7_Pfiiiiiiiiiiiiii15HIP_vector_typeIjLj3EESA_ ; -- Begin function _ZL13mul_mat_f_idsI15__hip_bfloat162Li32ELi11ELi5EEvPKT_PKfPKiS7_S7_Pfiiiiiiiiiiiiii15HIP_vector_typeIjLj3EESA_
	.p2align	8
	.type	_ZL13mul_mat_f_idsI15__hip_bfloat162Li32ELi11ELi5EEvPKT_PKfPKiS7_S7_Pfiiiiiiiiiiiiii15HIP_vector_typeIjLj3EESA_,@function
_ZL13mul_mat_f_idsI15__hip_bfloat162Li32ELi11ELi5EEvPKT_PKfPKiS7_S7_Pfiiiiiiiiiiiiii15HIP_vector_typeIjLj3EESA_: ; @_ZL13mul_mat_f_idsI15__hip_bfloat162Li32ELi11ELi5EEvPKT_PKfPKiS7_S7_Pfiiiiiiiiiiiiii15HIP_vector_typeIjLj3EESA_
; %bb.0:
	s_load_b64 s[4:5], s[0:1], 0x20
	s_mov_b32 s2, s15
	s_ashr_i32 s15, s14, 31
	s_delay_alu instid0(SALU_CYCLE_1)
	s_lshl_b64 s[6:7], s[14:15], 2
	s_waitcnt lgkmcnt(0)
	s_add_u32 s4, s4, s6
	s_addc_u32 s5, s5, s7
	s_load_b64 s[30:31], s[4:5], 0x0
	s_waitcnt lgkmcnt(0)
	s_sub_i32 s33, s31, s30
	s_delay_alu instid0(SALU_CYCLE_1) | instskip(NEXT) | instid1(SALU_CYCLE_1)
	s_add_i32 s3, s33, 10
	s_mul_hi_i32 s3, s3, 0x2e8ba2e9
	s_delay_alu instid0(SALU_CYCLE_1) | instskip(SKIP_1) | instid1(SALU_CYCLE_1)
	s_lshr_b32 s4, s3, 31
	s_ashr_i32 s3, s3, 1
	s_add_i32 s3, s3, s4
	s_delay_alu instid0(SALU_CYCLE_1)
	s_cmp_ge_i32 s2, s3
	s_cbranch_scc1 .LBB63_138
; %bb.1:
	s_clause 0x4
	s_load_b128 s[8:11], s[0:1], 0x30
	s_load_b64 s[24:25], s[0:1], 0x40
	s_load_b128 s[4:7], s[0:1], 0x4c
	s_load_b128 s[16:19], s[0:1], 0x68
	s_load_b64 s[26:27], s[0:1], 0x78
	v_bfe_u32 v105, v0, 10, 10
	v_and_b32_e32 v106, 0x3ff, v0
	s_ashr_i32 s31, s30, 31
	s_waitcnt lgkmcnt(0)
	s_mov_b32 s7, exec_lo
                                        ; implicit-def: $sgpr3
	v_lshlrev_b32_e32 v107, 5, v105
	v_and_b32_e32 v108, 15, v106
	s_delay_alu instid0(VALU_DEP_2) | instskip(NEXT) | instid1(VALU_DEP_1)
	v_add_nc_u32_e32 v80, v107, v106
	v_cmpx_le_i32_e64 s8, v80
	s_xor_b32 s7, exec_lo, s7
; %bb.2:
	v_and_b32_e32 v108, 15, v106
	s_mov_b32 s3, 0
                                        ; implicit-def: $vgpr80
; %bb.3:
	s_or_saveexec_b32 s36, s7
	s_clause 0x1
	s_load_b64 s[34:35], s[0:1], 0x18
	s_load_b64 s[28:29], s[0:1], 0x28
	v_dual_mov_b32 v7, s3 :: v_dual_mov_b32 v6, s3
	v_dual_mov_b32 v5, s3 :: v_dual_mov_b32 v4, s3
	;; [unrolled: 1-line block ×8, first 2 shown]
	s_lshl_b32 s7, s13, 5
	s_mul_i32 s2, s2, 11
	s_xor_b32 exec_lo, exec_lo, s36
	s_cbranch_execz .LBB63_128
; %bb.4:
	s_clause 0x1
	s_load_b128 s[20:23], s[0:1], 0x0
	s_load_b64 s[12:13], s[0:1], 0x10
	s_mul_i32 s0, s7, s11
	s_mul_i32 s14, s14, s4
	s_ashr_i32 s1, s0, 31
	s_ashr_i32 s15, s14, 31
	s_lshl_b64 s[0:1], s[0:1], 2
	s_lshl_b64 s[14:15], s[14:15], 2
	v_dual_mov_b32 v8, 0 :: v_dual_lshlrev_b32 v3, 7, v105
	s_add_u32 s0, s14, s0
	s_addc_u32 s47, s15, s1
	v_mad_u32_u24 v0, 0x900, v105, 0
	v_dual_mov_b32 v110, 0 :: v_dual_lshlrev_b32 v1, 2, v106
	v_mul_u32_u24_e32 v2, 0x90, v108
	s_mov_b32 s41, 0
	s_mul_i32 s45, s11, 3
	s_delay_alu instid0(VALU_DEP_2)
	v_dual_mov_b32 v10, v110 :: v_dual_add_nc_u32 v109, v0, v1
	s_waitcnt lgkmcnt(0)
	s_add_u32 s1, s0, s20
	s_addc_u32 s4, s47, s21
	s_lshl_b64 s[14:15], s[30:31], 2
	v_add_co_u32 v3, s0, s0, v3
	s_add_u32 s14, s12, s14
	s_addc_u32 s15, s13, s15
	s_cmp_lt_i32 s2, s33
	v_add_co_ci_u32_e64 v4, null, s47, 0, s0
	s_cselect_b32 s37, -1, 0
	s_ashr_i32 s3, s2, 31
	v_add_co_u32 v1, vcc_lo, v3, v1
	s_lshl_b64 s[12:13], s[2:3], 2
	v_add_co_ci_u32_e32 v3, vcc_lo, 0, v4, vcc_lo
	s_add_u32 s12, s14, s12
	s_addc_u32 s13, s15, s13
	s_add_i32 s3, s2, 1
	v_add_co_u32 v81, vcc_lo, s20, v1
	s_cmp_lt_i32 s3, s33
	v_add_co_ci_u32_e32 v82, vcc_lo, s21, v3, vcc_lo
	s_cselect_b32 s3, -1, 0
	s_add_i32 s14, s2, 2
	v_dual_mov_b32 v12, v110 :: v_dual_add_nc_u32 v111, v0, v2
	s_cmp_lt_i32 s14, s33
	v_dual_mov_b32 v9, v110 :: v_dual_mov_b32 v0, 0
	s_cselect_b32 s38, -1, 0
	s_add_i32 s14, s2, 3
	v_mov_b32_e32 v11, v110
	s_cmp_lt_i32 s14, s33
	v_mov_b32_e32 v13, v110
	s_cselect_b32 s39, -1, 0
	s_add_i32 s14, s2, 4
	v_mov_b32_e32 v14, v110
	s_cmp_lt_i32 s14, s33
	v_mov_b32_e32 v15, v110
	;; [unrolled: 5-line block ×5, first 2 shown]
	s_cselect_b32 s44, -1, 0
	s_add_i32 s15, s2, 8
	v_mov_b32_e32 v7, v110
	s_cmp_lt_i32 s15, s33
	s_mov_b32 s14, s11
	s_cselect_b32 s46, -1, 0
	s_add_i32 s15, s2, 9
	s_mul_i32 s49, s11, 5
	s_cmp_lt_i32 s15, s33
	s_mul_i32 s50, s11, 6
	s_cselect_b32 s47, -1, 0
	s_add_i32 s0, s2, 10
	s_mul_i32 s51, s11, 7
	s_cmp_lt_i32 s0, s33
	s_mul_i32 s53, s11, 9
	s_cselect_b32 s20, -1, 0
	s_ashr_i32 s15, s11, 31
	s_lshl_b32 s21, s11, 1
	s_lshl_b32 s48, s11, 2
	s_lshl_b64 s[14:15], s[14:15], 2
	s_lshl_b32 s52, s11, 3
	s_mul_i32 s54, s11, 10
	s_mul_i32 s55, s11, 11
	;; [unrolled: 1-line block ×6, first 2 shown]
	s_lshl_b32 s60, s11, 4
	s_mul_i32 s61, s11, 17
	s_mul_i32 s62, s11, 18
	;; [unrolled: 1-line block ×15, first 2 shown]
	s_branch .LBB63_6
.LBB63_5:                               ;   in Loop: Header=BB63_6 Depth=1
	s_or_b32 exec_lo, exec_lo, s0
	s_delay_alu instid0(VALU_DEP_1)
	v_perm_b32 v83, v83, v85, 0x7060302
	v_add_nc_u32_e32 v84, 0x400, v109
	v_add_nc_u32_e32 v85, 0x600, v109
	;; [unrolled: 1-line block ×3, first 2 shown]
	v_add_co_u32 v81, s0, 0x280, v81
	ds_store_2addr_b32 v84, v83, v110 offset0:104 offset1:140
	ds_store_2addr_b32 v84, v110, v110 offset0:176 offset1:212
	;; [unrolled: 1-line block ×3, first 2 shown]
	ds_load_b128 v[83:86], v111
	ds_load_b128 v[87:90], v111 offset:16
	ds_load_b128 v[91:94], v111 offset:32
	;; [unrolled: 1-line block ×5, first 2 shown]
	v_cmp_le_i32_e32 vcc_lo, s8, v80
	v_add_co_ci_u32_e64 v82, s0, 0, v82, s0
	s_or_b32 s41, vcc_lo, s41
	s_waitcnt lgkmcnt(4)
	v_wmma_f32_16x16x16_bf16 v[8:15], v[56:63], v[83:90], v[8:15]
	ds_load_b128 v[56:59], v111 offset:96
	ds_load_b128 v[60:63], v111 offset:112
	v_wmma_f32_16x16x16_bf16 v[0:7], v[72:79], v[83:90], v[0:7]
	s_waitcnt lgkmcnt(4)
	v_wmma_f32_16x16x16_bf16 v[8:15], v[40:47], v[91:98], v[8:15]
	s_delay_alu instid0(VALU_DEP_2) | instskip(SKIP_1) | instid1(VALU_DEP_2)
	v_wmma_f32_16x16x16_bf16 v[0:7], v[64:71], v[91:98], v[0:7]
	s_waitcnt lgkmcnt(2)
	v_wmma_f32_16x16x16_bf16 v[8:15], v[24:31], v[112:119], v[8:15]
	s_delay_alu instid0(VALU_DEP_2) | instskip(SKIP_1) | instid1(VALU_DEP_2)
	v_wmma_f32_16x16x16_bf16 v[0:7], v[48:55], v[112:119], v[0:7]
	s_waitcnt lgkmcnt(0)
	v_wmma_f32_16x16x16_bf16 v[8:15], v[16:23], v[56:63], v[8:15]
	s_delay_alu instid0(VALU_DEP_2)
	v_wmma_f32_16x16x16_bf16 v[0:7], v[32:39], v[56:63], v[0:7]
	s_and_not1_b32 exec_lo, exec_lo, s41
	s_cbranch_execz .LBB63_127
.LBB63_6:                               ; =>This Inner Loop Header: Depth=1
	v_dual_mov_b32 v103, 0 :: v_dual_add_nc_u32 v16, s21, v80
	v_add_nc_u32_e32 v22, s48, v80
	v_add_nc_u32_e32 v18, s45, v80
	v_add_co_u32 v20, vcc_lo, v81, s14
	s_delay_alu instid0(VALU_DEP_4)
	v_ashrrev_i32_e32 v17, 31, v16
	v_add_co_ci_u32_e32 v21, vcc_lo, s15, v82, vcc_lo
	v_ashrrev_i32_e32 v23, 31, v22
	v_ashrrev_i32_e32 v19, 31, v18
	v_add_nc_u32_e32 v24, s49, v80
	v_lshlrev_b64 v[16:17], 2, v[16:17]
	s_clause 0x1
	global_load_b32 v38, v[81:82], off
	global_load_b32 v39, v[20:21], off
	v_lshlrev_b64 v[20:21], 2, v[22:23]
	v_add_nc_u32_e32 v22, s50, v80
	v_lshlrev_b64 v[18:19], 2, v[18:19]
	v_ashrrev_i32_e32 v25, 31, v24
	v_add_nc_u32_e32 v26, s51, v80
	v_add_co_u32 v16, vcc_lo, s1, v16
	v_ashrrev_i32_e32 v23, 31, v22
	v_add_co_ci_u32_e32 v17, vcc_lo, s4, v17, vcc_lo
	v_add_nc_u32_e32 v28, s52, v80
	v_add_co_u32 v18, vcc_lo, s1, v18
	v_lshlrev_b64 v[24:25], 2, v[24:25]
	v_ashrrev_i32_e32 v27, 31, v26
	v_add_co_ci_u32_e32 v19, vcc_lo, s4, v19, vcc_lo
	v_add_nc_u32_e32 v30, s53, v80
	v_add_co_u32 v20, vcc_lo, s1, v20
	v_lshlrev_b64 v[22:23], 2, v[22:23]
	v_ashrrev_i32_e32 v29, 31, v28
	v_add_co_ci_u32_e32 v21, vcc_lo, s4, v21, vcc_lo
	v_add_co_u32 v24, vcc_lo, s1, v24
	v_lshlrev_b64 v[26:27], 2, v[26:27]
	v_ashrrev_i32_e32 v31, 31, v30
	v_add_co_ci_u32_e32 v25, vcc_lo, s4, v25, vcc_lo
	v_add_co_u32 v22, vcc_lo, s1, v22
	v_lshlrev_b64 v[28:29], 2, v[28:29]
	v_add_co_ci_u32_e32 v23, vcc_lo, s4, v23, vcc_lo
	v_add_nc_u32_e32 v32, s54, v80
	v_add_co_u32 v26, vcc_lo, s1, v26
	v_lshlrev_b64 v[30:31], 2, v[30:31]
	v_add_co_ci_u32_e32 v27, vcc_lo, s4, v27, vcc_lo
	v_add_nc_u32_e32 v34, s55, v80
	v_add_co_u32 v28, vcc_lo, s1, v28
	v_ashrrev_i32_e32 v33, 31, v32
	v_add_co_ci_u32_e32 v29, vcc_lo, s4, v29, vcc_lo
	v_add_nc_u32_e32 v36, s56, v80
	v_add_co_u32 v30, vcc_lo, s1, v30
	v_ashrrev_i32_e32 v35, 31, v34
	v_add_co_ci_u32_e32 v31, vcc_lo, s4, v31, vcc_lo
	s_clause 0x7
	global_load_b32 v40, v[16:17], off
	global_load_b32 v41, v[18:19], off
	global_load_b32 v42, v[20:21], off
	global_load_b32 v43, v[24:25], off
	global_load_b32 v44, v[22:23], off
	global_load_b32 v45, v[26:27], off
	global_load_b32 v46, v[28:29], off
	global_load_b32 v47, v[30:31], off
	v_add_nc_u32_e32 v18, s57, v80
	v_lshlrev_b64 v[32:33], 2, v[32:33]
	v_ashrrev_i32_e32 v37, 31, v36
	v_add_nc_u32_e32 v24, s58, v80
	v_lshlrev_b64 v[16:17], 2, v[34:35]
	v_ashrrev_i32_e32 v19, 31, v18
	v_add_nc_u32_e32 v26, s59, v80
	v_add_co_u32 v20, vcc_lo, s1, v32
	v_lshlrev_b64 v[22:23], 2, v[36:37]
	v_ashrrev_i32_e32 v25, 31, v24
	v_add_co_ci_u32_e32 v21, vcc_lo, s4, v33, vcc_lo
	v_add_nc_u32_e32 v28, s60, v80
	v_add_co_u32 v16, vcc_lo, s1, v16
	v_lshlrev_b64 v[18:19], 2, v[18:19]
	v_ashrrev_i32_e32 v27, 31, v26
	v_add_co_ci_u32_e32 v17, vcc_lo, s4, v17, vcc_lo
	v_add_nc_u32_e32 v30, s61, v80
	v_add_co_u32 v22, vcc_lo, s1, v22
	v_lshlrev_b64 v[24:25], 2, v[24:25]
	v_ashrrev_i32_e32 v29, 31, v28
	v_add_co_ci_u32_e32 v23, vcc_lo, s4, v23, vcc_lo
	v_add_co_u32 v18, vcc_lo, s1, v18
	v_lshlrev_b64 v[26:27], 2, v[26:27]
	v_ashrrev_i32_e32 v31, 31, v30
	v_add_co_ci_u32_e32 v19, vcc_lo, s4, v19, vcc_lo
	v_add_co_u32 v24, vcc_lo, s1, v24
	v_lshlrev_b64 v[28:29], 2, v[28:29]
	v_add_co_ci_u32_e32 v25, vcc_lo, s4, v25, vcc_lo
	v_add_nc_u32_e32 v32, s62, v80
	v_add_co_u32 v26, vcc_lo, s1, v26
	v_lshlrev_b64 v[30:31], 2, v[30:31]
	v_add_co_ci_u32_e32 v27, vcc_lo, s4, v27, vcc_lo
	v_add_nc_u32_e32 v34, s63, v80
	v_add_co_u32 v28, vcc_lo, s1, v28
	v_ashrrev_i32_e32 v33, 31, v32
	v_add_co_ci_u32_e32 v29, vcc_lo, s4, v29, vcc_lo
	v_add_nc_u32_e32 v36, s64, v80
	v_add_co_u32 v30, vcc_lo, s1, v30
	v_ashrrev_i32_e32 v35, 31, v34
	v_add_co_ci_u32_e32 v31, vcc_lo, s4, v31, vcc_lo
	s_clause 0x7
	global_load_b32 v48, v[20:21], off
	global_load_b32 v49, v[16:17], off
	global_load_b32 v50, v[22:23], off
	global_load_b32 v51, v[18:19], off
	global_load_b32 v52, v[24:25], off
	global_load_b32 v53, v[26:27], off
	global_load_b32 v54, v[28:29], off
	global_load_b32 v55, v[30:31], off
	v_add_nc_u32_e32 v18, s65, v80
	v_lshlrev_b64 v[32:33], 2, v[32:33]
	v_ashrrev_i32_e32 v37, 31, v36
	v_add_nc_u32_e32 v24, s66, v80
	v_lshlrev_b64 v[16:17], 2, v[34:35]
	v_ashrrev_i32_e32 v19, 31, v18
	v_add_nc_u32_e32 v26, s67, v80
	v_add_co_u32 v20, vcc_lo, s1, v32
	v_lshlrev_b64 v[22:23], 2, v[36:37]
	;; [unrolled: 49-line block ×3, first 2 shown]
	v_ashrrev_i32_e32 v25, 31, v24
	v_add_co_ci_u32_e32 v21, vcc_lo, s4, v33, vcc_lo
	v_add_co_u32 v16, vcc_lo, s1, v16
	v_lshlrev_b64 v[18:19], 2, v[18:19]
	v_ashrrev_i32_e32 v27, 31, v26
	v_add_co_ci_u32_e32 v17, vcc_lo, s4, v17, vcc_lo
	v_add_co_u32 v22, vcc_lo, s1, v22
	v_lshlrev_b64 v[24:25], 2, v[24:25]
	v_add_co_ci_u32_e32 v23, vcc_lo, s4, v23, vcc_lo
	v_add_co_u32 v18, vcc_lo, s1, v18
	v_lshlrev_b64 v[26:27], 2, v[26:27]
	v_add_co_ci_u32_e32 v19, vcc_lo, s4, v19, vcc_lo
	v_add_co_u32 v24, vcc_lo, s1, v24
	v_add_co_ci_u32_e32 v25, vcc_lo, s4, v25, vcc_lo
	s_delay_alu instid0(VALU_DEP_4)
	v_add_co_u32 v26, vcc_lo, s1, v26
	v_add_co_ci_u32_e32 v27, vcc_lo, s4, v27, vcc_lo
	s_clause 0x5
	global_load_b32 v32, v[20:21], off
	global_load_b32 v33, v[16:17], off
	;; [unrolled: 1-line block ×6, first 2 shown]
	v_mov_b32_e32 v104, 0
	s_and_not1_b32 vcc_lo, exec_lo, s37
	s_waitcnt vmcnt(31)
	ds_store_b32 v109, v38
	s_waitcnt vmcnt(30)
	ds_store_b32 v109, v39 offset:144
	s_waitcnt vmcnt(29)
	ds_store_b32 v109, v40 offset:288
	;; [unrolled: 2-line block ×15, first 2 shown]
	ds_load_b128 v[56:59], v111
	ds_load_b128 v[60:63], v111 offset:16
	ds_load_b128 v[40:43], v111 offset:32
	;; [unrolled: 1-line block ×7, first 2 shown]
	s_waitcnt vmcnt(15)
	ds_store_b32 v109, v54
	s_waitcnt vmcnt(14)
	ds_store_b32 v109, v55 offset:144
	s_waitcnt vmcnt(13)
	ds_store_b32 v109, v64 offset:288
	;; [unrolled: 2-line block ×15, first 2 shown]
	ds_load_b128 v[72:75], v111
	ds_load_b128 v[76:79], v111 offset:16
	ds_load_b128 v[64:67], v111 offset:32
	;; [unrolled: 1-line block ×7, first 2 shown]
	s_cbranch_vccnz .LBB63_9
; %bb.7:                                ;   in Loop: Header=BB63_6 Depth=1
	s_load_b32 s0, s[12:13], 0x0
	v_dual_mov_b32 v104, 0 :: v_dual_mov_b32 v103, 0
	s_waitcnt lgkmcnt(0)
	s_mul_hi_u32 s75, s0, s16
	s_delay_alu instid0(SALU_CYCLE_1) | instskip(NEXT) | instid1(SALU_CYCLE_1)
	s_add_i32 s75, s0, s75
	s_lshr_b32 s75, s75, s17
	s_delay_alu instid0(SALU_CYCLE_1)
	s_cmp_ge_i32 s75, s9
	s_cbranch_scc1 .LBB63_9
; %bb.8:                                ;   in Loop: Header=BB63_6 Depth=1
	v_mad_u64_u32 v[83:84], null, s75, s24, v[80:81]
	s_mul_i32 s75, s75, s18
	s_delay_alu instid0(SALU_CYCLE_1) | instskip(NEXT) | instid1(SALU_CYCLE_1)
	s_sub_i32 s0, s0, s75
	s_mul_i32 s0, s0, s5
	s_delay_alu instid0(VALU_DEP_1) | instid1(SALU_CYCLE_1)
	v_lshl_add_u32 v83, v83, 1, s0
	s_delay_alu instid0(VALU_DEP_1) | instskip(NEXT) | instid1(VALU_DEP_1)
	v_ashrrev_i32_e32 v84, 31, v83
	v_lshlrev_b64 v[83:84], 2, v[83:84]
	s_delay_alu instid0(VALU_DEP_1) | instskip(NEXT) | instid1(VALU_DEP_2)
	v_add_co_u32 v83, vcc_lo, s22, v83
	v_add_co_ci_u32_e32 v84, vcc_lo, s23, v84, vcc_lo
	global_load_b64 v[103:104], v[83:84], off
.LBB63_9:                               ;   in Loop: Header=BB63_6 Depth=1
	v_dual_mov_b32 v97, 0 :: v_dual_mov_b32 v102, 0
	v_mov_b32_e32 v101, 0
	s_and_not1_b32 vcc_lo, exec_lo, s3
	s_cbranch_vccnz .LBB63_12
; %bb.10:                               ;   in Loop: Header=BB63_6 Depth=1
	s_load_b32 s0, s[12:13], 0x4
	v_dual_mov_b32 v102, 0 :: v_dual_mov_b32 v101, 0
	s_waitcnt lgkmcnt(0)
	s_mul_hi_u32 s75, s0, s16
	s_delay_alu instid0(SALU_CYCLE_1) | instskip(NEXT) | instid1(SALU_CYCLE_1)
	s_add_i32 s75, s0, s75
	s_lshr_b32 s75, s75, s17
	s_delay_alu instid0(SALU_CYCLE_1)
	s_cmp_ge_i32 s75, s9
	s_cbranch_scc1 .LBB63_12
; %bb.11:                               ;   in Loop: Header=BB63_6 Depth=1
	v_mad_u64_u32 v[83:84], null, s75, s24, v[80:81]
	s_mul_i32 s75, s75, s18
	s_delay_alu instid0(SALU_CYCLE_1) | instskip(NEXT) | instid1(SALU_CYCLE_1)
	s_sub_i32 s0, s0, s75
	s_mul_i32 s0, s0, s5
	s_delay_alu instid0(VALU_DEP_1) | instid1(SALU_CYCLE_1)
	v_lshl_add_u32 v83, v83, 1, s0
	s_delay_alu instid0(VALU_DEP_1) | instskip(NEXT) | instid1(VALU_DEP_1)
	v_ashrrev_i32_e32 v84, 31, v83
	v_lshlrev_b64 v[83:84], 2, v[83:84]
	s_delay_alu instid0(VALU_DEP_1) | instskip(NEXT) | instid1(VALU_DEP_2)
	v_add_co_u32 v83, vcc_lo, s22, v83
	v_add_co_ci_u32_e32 v84, vcc_lo, s23, v84, vcc_lo
	global_load_b64 v[101:102], v[83:84], off
.LBB63_12:                              ;   in Loop: Header=BB63_6 Depth=1
	v_mov_b32_e32 v98, 0
	s_and_not1_b32 vcc_lo, exec_lo, s38
	s_cbranch_vccnz .LBB63_15
; %bb.13:                               ;   in Loop: Header=BB63_6 Depth=1
	s_load_b32 s0, s[12:13], 0x8
	v_dual_mov_b32 v98, 0 :: v_dual_mov_b32 v97, 0
	s_waitcnt lgkmcnt(0)
	s_mul_hi_u32 s75, s0, s16
	s_delay_alu instid0(SALU_CYCLE_1) | instskip(NEXT) | instid1(SALU_CYCLE_1)
	s_add_i32 s75, s0, s75
	s_lshr_b32 s75, s75, s17
	s_delay_alu instid0(SALU_CYCLE_1)
	s_cmp_ge_i32 s75, s9
	s_cbranch_scc1 .LBB63_15
; %bb.14:                               ;   in Loop: Header=BB63_6 Depth=1
	v_mad_u64_u32 v[83:84], null, s75, s24, v[80:81]
	s_mul_i32 s75, s75, s18
	s_delay_alu instid0(SALU_CYCLE_1) | instskip(NEXT) | instid1(SALU_CYCLE_1)
	s_sub_i32 s0, s0, s75
	s_mul_i32 s0, s0, s5
	s_delay_alu instid0(VALU_DEP_1) | instid1(SALU_CYCLE_1)
	v_lshl_add_u32 v83, v83, 1, s0
	s_delay_alu instid0(VALU_DEP_1) | instskip(NEXT) | instid1(VALU_DEP_1)
	v_ashrrev_i32_e32 v84, 31, v83
	v_lshlrev_b64 v[83:84], 2, v[83:84]
	s_delay_alu instid0(VALU_DEP_1) | instskip(NEXT) | instid1(VALU_DEP_2)
	v_add_co_u32 v83, vcc_lo, s22, v83
	v_add_co_ci_u32_e32 v84, vcc_lo, s23, v84, vcc_lo
	global_load_b64 v[97:98], v[83:84], off
.LBB63_15:                              ;   in Loop: Header=BB63_6 Depth=1
	v_dual_mov_b32 v93, 0 :: v_dual_mov_b32 v100, 0
	v_mov_b32_e32 v99, 0
	s_and_not1_b32 vcc_lo, exec_lo, s39
	s_cbranch_vccnz .LBB63_18
; %bb.16:                               ;   in Loop: Header=BB63_6 Depth=1
	s_load_b32 s0, s[12:13], 0xc
	v_dual_mov_b32 v100, 0 :: v_dual_mov_b32 v99, 0
	s_waitcnt lgkmcnt(0)
	s_mul_hi_u32 s75, s0, s16
	s_delay_alu instid0(SALU_CYCLE_1) | instskip(NEXT) | instid1(SALU_CYCLE_1)
	s_add_i32 s75, s0, s75
	s_lshr_b32 s75, s75, s17
	s_delay_alu instid0(SALU_CYCLE_1)
	s_cmp_ge_i32 s75, s9
	s_cbranch_scc1 .LBB63_18
; %bb.17:                               ;   in Loop: Header=BB63_6 Depth=1
	v_mad_u64_u32 v[83:84], null, s75, s24, v[80:81]
	s_mul_i32 s75, s75, s18
	s_delay_alu instid0(SALU_CYCLE_1) | instskip(NEXT) | instid1(SALU_CYCLE_1)
	s_sub_i32 s0, s0, s75
	s_mul_i32 s0, s0, s5
	s_delay_alu instid0(VALU_DEP_1) | instid1(SALU_CYCLE_1)
	v_lshl_add_u32 v83, v83, 1, s0
	s_delay_alu instid0(VALU_DEP_1) | instskip(NEXT) | instid1(VALU_DEP_1)
	v_ashrrev_i32_e32 v84, 31, v83
	v_lshlrev_b64 v[83:84], 2, v[83:84]
	s_delay_alu instid0(VALU_DEP_1) | instskip(NEXT) | instid1(VALU_DEP_2)
	v_add_co_u32 v83, vcc_lo, s22, v83
	v_add_co_ci_u32_e32 v84, vcc_lo, s23, v84, vcc_lo
	global_load_b64 v[99:100], v[83:84], off
.LBB63_18:                              ;   in Loop: Header=BB63_6 Depth=1
	v_mov_b32_e32 v94, 0
	s_and_not1_b32 vcc_lo, exec_lo, s40
	s_cbranch_vccnz .LBB63_21
; %bb.19:                               ;   in Loop: Header=BB63_6 Depth=1
	s_load_b32 s0, s[12:13], 0x10
	v_dual_mov_b32 v94, 0 :: v_dual_mov_b32 v93, 0
	s_waitcnt lgkmcnt(0)
	s_mul_hi_u32 s75, s0, s16
	s_delay_alu instid0(SALU_CYCLE_1) | instskip(NEXT) | instid1(SALU_CYCLE_1)
	s_add_i32 s75, s0, s75
	s_lshr_b32 s75, s75, s17
	s_delay_alu instid0(SALU_CYCLE_1)
	s_cmp_ge_i32 s75, s9
	s_cbranch_scc1 .LBB63_21
; %bb.20:                               ;   in Loop: Header=BB63_6 Depth=1
	v_mad_u64_u32 v[83:84], null, s75, s24, v[80:81]
	s_mul_i32 s75, s75, s18
	s_delay_alu instid0(SALU_CYCLE_1) | instskip(NEXT) | instid1(SALU_CYCLE_1)
	s_sub_i32 s0, s0, s75
	s_mul_i32 s0, s0, s5
	s_delay_alu instid0(VALU_DEP_1) | instid1(SALU_CYCLE_1)
	v_lshl_add_u32 v83, v83, 1, s0
	s_delay_alu instid0(VALU_DEP_1) | instskip(NEXT) | instid1(VALU_DEP_1)
	v_ashrrev_i32_e32 v84, 31, v83
	v_lshlrev_b64 v[83:84], 2, v[83:84]
	s_delay_alu instid0(VALU_DEP_1) | instskip(NEXT) | instid1(VALU_DEP_2)
	v_add_co_u32 v83, vcc_lo, s22, v83
	v_add_co_ci_u32_e32 v84, vcc_lo, s23, v84, vcc_lo
	global_load_b64 v[93:94], v[83:84], off
.LBB63_21:                              ;   in Loop: Header=BB63_6 Depth=1
	;; [unrolled: 61-line block ×5, first 2 shown]
	s_waitcnt vmcnt(0)
	v_and_b32_e32 v112, 0x7f800000, v103
	s_delay_alu instid0(VALU_DEP_1) | instskip(SKIP_1) | instid1(SALU_CYCLE_1)
	v_cmp_ne_u32_e32 vcc_lo, 0x7f800000, v112
                                        ; implicit-def: $vgpr112
	s_and_saveexec_b32 s0, vcc_lo
	s_xor_b32 s0, exec_lo, s0
; %bb.40:                               ;   in Loop: Header=BB63_6 Depth=1
	v_bfe_u32 v112, v103, 16, 1
	s_delay_alu instid0(VALU_DEP_1)
	v_add3_u32 v112, v103, v112, 0x7fff
; %bb.41:                               ;   in Loop: Header=BB63_6 Depth=1
	s_and_not1_saveexec_b32 s0, s0
; %bb.42:                               ;   in Loop: Header=BB63_6 Depth=1
	v_and_b32_e32 v112, 0xffff, v103
	v_or_b32_e32 v113, 0x10000, v103
	s_delay_alu instid0(VALU_DEP_2) | instskip(NEXT) | instid1(VALU_DEP_2)
	v_cmp_eq_u32_e32 vcc_lo, 0, v112
	v_cndmask_b32_e32 v112, v113, v103, vcc_lo
; %bb.43:                               ;   in Loop: Header=BB63_6 Depth=1
	s_or_b32 exec_lo, exec_lo, s0
	v_and_b32_e32 v103, 0x7f800000, v104
	s_delay_alu instid0(VALU_DEP_1) | instskip(SKIP_1) | instid1(SALU_CYCLE_1)
	v_cmp_ne_u32_e32 vcc_lo, 0x7f800000, v103
                                        ; implicit-def: $vgpr103
	s_and_saveexec_b32 s0, vcc_lo
	s_xor_b32 s0, exec_lo, s0
; %bb.44:                               ;   in Loop: Header=BB63_6 Depth=1
	v_bfe_u32 v103, v104, 16, 1
	s_delay_alu instid0(VALU_DEP_1)
	v_add3_u32 v103, v104, v103, 0x7fff
                                        ; implicit-def: $vgpr104
; %bb.45:                               ;   in Loop: Header=BB63_6 Depth=1
	s_and_not1_saveexec_b32 s0, s0
; %bb.46:                               ;   in Loop: Header=BB63_6 Depth=1
	v_and_b32_e32 v103, 0xffff, v104
	v_or_b32_e32 v113, 0x10000, v104
	s_delay_alu instid0(VALU_DEP_2) | instskip(NEXT) | instid1(VALU_DEP_2)
	v_cmp_eq_u32_e32 vcc_lo, 0, v103
	v_cndmask_b32_e32 v103, v113, v104, vcc_lo
; %bb.47:                               ;   in Loop: Header=BB63_6 Depth=1
	s_or_b32 exec_lo, exec_lo, s0
	v_and_b32_e32 v104, 0x7f800000, v101
	s_delay_alu instid0(VALU_DEP_2)
	v_perm_b32 v103, v103, v112, 0x7060302
	s_mov_b32 s0, exec_lo
	ds_store_b32 v109, v103
                                        ; implicit-def: $vgpr103
	v_cmpx_ne_u32_e32 0x7f800000, v104
	s_xor_b32 s0, exec_lo, s0
; %bb.48:                               ;   in Loop: Header=BB63_6 Depth=1
	v_bfe_u32 v103, v101, 16, 1
	s_delay_alu instid0(VALU_DEP_1)
	v_add3_u32 v103, v101, v103, 0x7fff
; %bb.49:                               ;   in Loop: Header=BB63_6 Depth=1
	s_and_not1_saveexec_b32 s0, s0
; %bb.50:                               ;   in Loop: Header=BB63_6 Depth=1
	v_and_b32_e32 v103, 0xffff, v101
	v_or_b32_e32 v104, 0x10000, v101
	s_delay_alu instid0(VALU_DEP_2) | instskip(NEXT) | instid1(VALU_DEP_2)
	v_cmp_eq_u32_e32 vcc_lo, 0, v103
	v_cndmask_b32_e32 v103, v104, v101, vcc_lo
; %bb.51:                               ;   in Loop: Header=BB63_6 Depth=1
	s_or_b32 exec_lo, exec_lo, s0
	v_and_b32_e32 v101, 0x7f800000, v102
	s_delay_alu instid0(VALU_DEP_1) | instskip(SKIP_1) | instid1(SALU_CYCLE_1)
	v_cmp_ne_u32_e32 vcc_lo, 0x7f800000, v101
                                        ; implicit-def: $vgpr101
	s_and_saveexec_b32 s0, vcc_lo
	s_xor_b32 s0, exec_lo, s0
; %bb.52:                               ;   in Loop: Header=BB63_6 Depth=1
	v_bfe_u32 v101, v102, 16, 1
	s_delay_alu instid0(VALU_DEP_1)
	v_add3_u32 v101, v102, v101, 0x7fff
                                        ; implicit-def: $vgpr102
; %bb.53:                               ;   in Loop: Header=BB63_6 Depth=1
	s_and_not1_saveexec_b32 s0, s0
; %bb.54:                               ;   in Loop: Header=BB63_6 Depth=1
	v_and_b32_e32 v101, 0xffff, v102
	v_or_b32_e32 v104, 0x10000, v102
	s_delay_alu instid0(VALU_DEP_2) | instskip(NEXT) | instid1(VALU_DEP_2)
	v_cmp_eq_u32_e32 vcc_lo, 0, v101
	v_cndmask_b32_e32 v101, v104, v102, vcc_lo
; %bb.55:                               ;   in Loop: Header=BB63_6 Depth=1
	s_or_b32 exec_lo, exec_lo, s0
	v_and_b32_e32 v102, 0x7f800000, v97
	s_delay_alu instid0(VALU_DEP_2)
	v_perm_b32 v101, v101, v103, 0x7060302
	s_mov_b32 s0, exec_lo
	ds_store_b32 v109, v101 offset:144
                                        ; implicit-def: $vgpr101
	v_cmpx_ne_u32_e32 0x7f800000, v102
	s_xor_b32 s0, exec_lo, s0
; %bb.56:                               ;   in Loop: Header=BB63_6 Depth=1
	v_bfe_u32 v101, v97, 16, 1
	s_delay_alu instid0(VALU_DEP_1)
	v_add3_u32 v101, v97, v101, 0x7fff
; %bb.57:                               ;   in Loop: Header=BB63_6 Depth=1
	s_and_not1_saveexec_b32 s0, s0
; %bb.58:                               ;   in Loop: Header=BB63_6 Depth=1
	v_and_b32_e32 v101, 0xffff, v97
	v_or_b32_e32 v102, 0x10000, v97
	s_delay_alu instid0(VALU_DEP_2) | instskip(NEXT) | instid1(VALU_DEP_2)
	v_cmp_eq_u32_e32 vcc_lo, 0, v101
	v_cndmask_b32_e32 v101, v102, v97, vcc_lo
; %bb.59:                               ;   in Loop: Header=BB63_6 Depth=1
	s_or_b32 exec_lo, exec_lo, s0
	v_and_b32_e32 v97, 0x7f800000, v98
	s_delay_alu instid0(VALU_DEP_1) | instskip(SKIP_1) | instid1(SALU_CYCLE_1)
	v_cmp_ne_u32_e32 vcc_lo, 0x7f800000, v97
                                        ; implicit-def: $vgpr97
	s_and_saveexec_b32 s0, vcc_lo
	s_xor_b32 s0, exec_lo, s0
; %bb.60:                               ;   in Loop: Header=BB63_6 Depth=1
	v_bfe_u32 v97, v98, 16, 1
	s_delay_alu instid0(VALU_DEP_1)
	v_add3_u32 v97, v98, v97, 0x7fff
                                        ; implicit-def: $vgpr98
; %bb.61:                               ;   in Loop: Header=BB63_6 Depth=1
	s_and_not1_saveexec_b32 s0, s0
; %bb.62:                               ;   in Loop: Header=BB63_6 Depth=1
	v_and_b32_e32 v97, 0xffff, v98
	v_or_b32_e32 v102, 0x10000, v98
	s_delay_alu instid0(VALU_DEP_2) | instskip(NEXT) | instid1(VALU_DEP_2)
	v_cmp_eq_u32_e32 vcc_lo, 0, v97
	v_cndmask_b32_e32 v97, v102, v98, vcc_lo
; %bb.63:                               ;   in Loop: Header=BB63_6 Depth=1
	s_or_b32 exec_lo, exec_lo, s0
	v_and_b32_e32 v98, 0x7f800000, v99
	s_delay_alu instid0(VALU_DEP_2)
	v_perm_b32 v97, v97, v101, 0x7060302
	s_mov_b32 s0, exec_lo
	ds_store_b32 v109, v97 offset:288
                                        ; implicit-def: $vgpr97
	v_cmpx_ne_u32_e32 0x7f800000, v98
	s_xor_b32 s0, exec_lo, s0
; %bb.64:                               ;   in Loop: Header=BB63_6 Depth=1
	v_bfe_u32 v97, v99, 16, 1
	s_delay_alu instid0(VALU_DEP_1)
	v_add3_u32 v97, v99, v97, 0x7fff
; %bb.65:                               ;   in Loop: Header=BB63_6 Depth=1
	s_and_not1_saveexec_b32 s0, s0
; %bb.66:                               ;   in Loop: Header=BB63_6 Depth=1
	v_and_b32_e32 v97, 0xffff, v99
	v_or_b32_e32 v98, 0x10000, v99
	s_delay_alu instid0(VALU_DEP_2) | instskip(NEXT) | instid1(VALU_DEP_2)
	v_cmp_eq_u32_e32 vcc_lo, 0, v97
	v_cndmask_b32_e32 v97, v98, v99, vcc_lo
; %bb.67:                               ;   in Loop: Header=BB63_6 Depth=1
	s_or_b32 exec_lo, exec_lo, s0
	v_and_b32_e32 v98, 0x7f800000, v100
	s_delay_alu instid0(VALU_DEP_1) | instskip(SKIP_1) | instid1(SALU_CYCLE_1)
	v_cmp_ne_u32_e32 vcc_lo, 0x7f800000, v98
                                        ; implicit-def: $vgpr98
	s_and_saveexec_b32 s0, vcc_lo
	s_xor_b32 s0, exec_lo, s0
; %bb.68:                               ;   in Loop: Header=BB63_6 Depth=1
	v_bfe_u32 v98, v100, 16, 1
	s_delay_alu instid0(VALU_DEP_1)
	v_add3_u32 v98, v100, v98, 0x7fff
                                        ; implicit-def: $vgpr100
; %bb.69:                               ;   in Loop: Header=BB63_6 Depth=1
	s_and_not1_saveexec_b32 s0, s0
; %bb.70:                               ;   in Loop: Header=BB63_6 Depth=1
	v_and_b32_e32 v98, 0xffff, v100
	v_or_b32_e32 v99, 0x10000, v100
	s_delay_alu instid0(VALU_DEP_2) | instskip(NEXT) | instid1(VALU_DEP_2)
	v_cmp_eq_u32_e32 vcc_lo, 0, v98
	v_cndmask_b32_e32 v98, v99, v100, vcc_lo
; %bb.71:                               ;   in Loop: Header=BB63_6 Depth=1
	s_or_b32 exec_lo, exec_lo, s0
	v_and_b32_e32 v99, 0x7f800000, v93
	s_delay_alu instid0(VALU_DEP_2)
	v_perm_b32 v97, v98, v97, 0x7060302
	s_mov_b32 s0, exec_lo
	ds_store_b32 v109, v97 offset:432
                                        ; implicit-def: $vgpr97
	v_cmpx_ne_u32_e32 0x7f800000, v99
	s_xor_b32 s0, exec_lo, s0
; %bb.72:                               ;   in Loop: Header=BB63_6 Depth=1
	v_bfe_u32 v97, v93, 16, 1
	s_delay_alu instid0(VALU_DEP_1)
	v_add3_u32 v97, v93, v97, 0x7fff
; %bb.73:                               ;   in Loop: Header=BB63_6 Depth=1
	s_and_not1_saveexec_b32 s0, s0
; %bb.74:                               ;   in Loop: Header=BB63_6 Depth=1
	v_and_b32_e32 v97, 0xffff, v93
	v_or_b32_e32 v98, 0x10000, v93
	s_delay_alu instid0(VALU_DEP_2) | instskip(NEXT) | instid1(VALU_DEP_2)
	v_cmp_eq_u32_e32 vcc_lo, 0, v97
	v_cndmask_b32_e32 v97, v98, v93, vcc_lo
; %bb.75:                               ;   in Loop: Header=BB63_6 Depth=1
	s_or_b32 exec_lo, exec_lo, s0
	v_and_b32_e32 v93, 0x7f800000, v94
	s_delay_alu instid0(VALU_DEP_1) | instskip(SKIP_1) | instid1(SALU_CYCLE_1)
	v_cmp_ne_u32_e32 vcc_lo, 0x7f800000, v93
                                        ; implicit-def: $vgpr93
	s_and_saveexec_b32 s0, vcc_lo
	s_xor_b32 s0, exec_lo, s0
; %bb.76:                               ;   in Loop: Header=BB63_6 Depth=1
	v_bfe_u32 v93, v94, 16, 1
	s_delay_alu instid0(VALU_DEP_1)
	v_add3_u32 v93, v94, v93, 0x7fff
                                        ; implicit-def: $vgpr94
; %bb.77:                               ;   in Loop: Header=BB63_6 Depth=1
	s_and_not1_saveexec_b32 s0, s0
; %bb.78:                               ;   in Loop: Header=BB63_6 Depth=1
	v_and_b32_e32 v93, 0xffff, v94
	v_or_b32_e32 v98, 0x10000, v94
	s_delay_alu instid0(VALU_DEP_2) | instskip(NEXT) | instid1(VALU_DEP_2)
	v_cmp_eq_u32_e32 vcc_lo, 0, v93
	v_cndmask_b32_e32 v93, v98, v94, vcc_lo
; %bb.79:                               ;   in Loop: Header=BB63_6 Depth=1
	s_or_b32 exec_lo, exec_lo, s0
	v_and_b32_e32 v94, 0x7f800000, v95
	s_delay_alu instid0(VALU_DEP_2)
	v_perm_b32 v93, v93, v97, 0x7060302
	s_mov_b32 s0, exec_lo
	ds_store_b32 v109, v93 offset:576
                                        ; implicit-def: $vgpr93
	v_cmpx_ne_u32_e32 0x7f800000, v94
	s_xor_b32 s0, exec_lo, s0
; %bb.80:                               ;   in Loop: Header=BB63_6 Depth=1
	v_bfe_u32 v93, v95, 16, 1
	s_delay_alu instid0(VALU_DEP_1)
	v_add3_u32 v93, v95, v93, 0x7fff
; %bb.81:                               ;   in Loop: Header=BB63_6 Depth=1
	s_and_not1_saveexec_b32 s0, s0
; %bb.82:                               ;   in Loop: Header=BB63_6 Depth=1
	v_and_b32_e32 v93, 0xffff, v95
	v_or_b32_e32 v94, 0x10000, v95
	s_delay_alu instid0(VALU_DEP_2) | instskip(NEXT) | instid1(VALU_DEP_2)
	v_cmp_eq_u32_e32 vcc_lo, 0, v93
	v_cndmask_b32_e32 v93, v94, v95, vcc_lo
; %bb.83:                               ;   in Loop: Header=BB63_6 Depth=1
	s_or_b32 exec_lo, exec_lo, s0
	v_and_b32_e32 v94, 0x7f800000, v96
	s_delay_alu instid0(VALU_DEP_1) | instskip(SKIP_1) | instid1(SALU_CYCLE_1)
	v_cmp_ne_u32_e32 vcc_lo, 0x7f800000, v94
                                        ; implicit-def: $vgpr94
	s_and_saveexec_b32 s0, vcc_lo
	s_xor_b32 s0, exec_lo, s0
; %bb.84:                               ;   in Loop: Header=BB63_6 Depth=1
	v_bfe_u32 v94, v96, 16, 1
	s_delay_alu instid0(VALU_DEP_1)
	v_add3_u32 v94, v96, v94, 0x7fff
                                        ; implicit-def: $vgpr96
; %bb.85:                               ;   in Loop: Header=BB63_6 Depth=1
	s_and_not1_saveexec_b32 s0, s0
; %bb.86:                               ;   in Loop: Header=BB63_6 Depth=1
	v_and_b32_e32 v94, 0xffff, v96
	v_or_b32_e32 v95, 0x10000, v96
	s_delay_alu instid0(VALU_DEP_2) | instskip(NEXT) | instid1(VALU_DEP_2)
	v_cmp_eq_u32_e32 vcc_lo, 0, v94
	v_cndmask_b32_e32 v94, v95, v96, vcc_lo
; %bb.87:                               ;   in Loop: Header=BB63_6 Depth=1
	s_or_b32 exec_lo, exec_lo, s0
	v_and_b32_e32 v95, 0x7f800000, v89
	s_delay_alu instid0(VALU_DEP_2)
	v_perm_b32 v93, v94, v93, 0x7060302
	s_mov_b32 s0, exec_lo
	ds_store_b32 v109, v93 offset:720
                                        ; implicit-def: $vgpr93
	v_cmpx_ne_u32_e32 0x7f800000, v95
	s_xor_b32 s0, exec_lo, s0
; %bb.88:                               ;   in Loop: Header=BB63_6 Depth=1
	v_bfe_u32 v93, v89, 16, 1
	s_delay_alu instid0(VALU_DEP_1)
	v_add3_u32 v93, v89, v93, 0x7fff
; %bb.89:                               ;   in Loop: Header=BB63_6 Depth=1
	s_and_not1_saveexec_b32 s0, s0
; %bb.90:                               ;   in Loop: Header=BB63_6 Depth=1
	v_and_b32_e32 v93, 0xffff, v89
	v_or_b32_e32 v94, 0x10000, v89
	s_delay_alu instid0(VALU_DEP_2) | instskip(NEXT) | instid1(VALU_DEP_2)
	v_cmp_eq_u32_e32 vcc_lo, 0, v93
	v_cndmask_b32_e32 v93, v94, v89, vcc_lo
; %bb.91:                               ;   in Loop: Header=BB63_6 Depth=1
	s_or_b32 exec_lo, exec_lo, s0
	v_and_b32_e32 v89, 0x7f800000, v90
	s_delay_alu instid0(VALU_DEP_1) | instskip(SKIP_1) | instid1(SALU_CYCLE_1)
	v_cmp_ne_u32_e32 vcc_lo, 0x7f800000, v89
                                        ; implicit-def: $vgpr89
	s_and_saveexec_b32 s0, vcc_lo
	s_xor_b32 s0, exec_lo, s0
; %bb.92:                               ;   in Loop: Header=BB63_6 Depth=1
	v_bfe_u32 v89, v90, 16, 1
	s_delay_alu instid0(VALU_DEP_1)
	v_add3_u32 v89, v90, v89, 0x7fff
                                        ; implicit-def: $vgpr90
; %bb.93:                               ;   in Loop: Header=BB63_6 Depth=1
	s_and_not1_saveexec_b32 s0, s0
; %bb.94:                               ;   in Loop: Header=BB63_6 Depth=1
	v_and_b32_e32 v89, 0xffff, v90
	v_or_b32_e32 v94, 0x10000, v90
	s_delay_alu instid0(VALU_DEP_2) | instskip(NEXT) | instid1(VALU_DEP_2)
	v_cmp_eq_u32_e32 vcc_lo, 0, v89
	v_cndmask_b32_e32 v89, v94, v90, vcc_lo
; %bb.95:                               ;   in Loop: Header=BB63_6 Depth=1
	s_or_b32 exec_lo, exec_lo, s0
	v_and_b32_e32 v90, 0x7f800000, v91
	s_delay_alu instid0(VALU_DEP_2)
	v_perm_b32 v89, v89, v93, 0x7060302
	s_mov_b32 s0, exec_lo
	ds_store_b32 v109, v89 offset:864
                                        ; implicit-def: $vgpr89
	v_cmpx_ne_u32_e32 0x7f800000, v90
	s_xor_b32 s0, exec_lo, s0
; %bb.96:                               ;   in Loop: Header=BB63_6 Depth=1
	v_bfe_u32 v89, v91, 16, 1
	s_delay_alu instid0(VALU_DEP_1)
	v_add3_u32 v89, v91, v89, 0x7fff
; %bb.97:                               ;   in Loop: Header=BB63_6 Depth=1
	s_and_not1_saveexec_b32 s0, s0
; %bb.98:                               ;   in Loop: Header=BB63_6 Depth=1
	v_and_b32_e32 v89, 0xffff, v91
	v_or_b32_e32 v90, 0x10000, v91
	s_delay_alu instid0(VALU_DEP_2) | instskip(NEXT) | instid1(VALU_DEP_2)
	v_cmp_eq_u32_e32 vcc_lo, 0, v89
	v_cndmask_b32_e32 v89, v90, v91, vcc_lo
; %bb.99:                               ;   in Loop: Header=BB63_6 Depth=1
	s_or_b32 exec_lo, exec_lo, s0
	v_and_b32_e32 v90, 0x7f800000, v92
	s_delay_alu instid0(VALU_DEP_1) | instskip(SKIP_1) | instid1(SALU_CYCLE_1)
	v_cmp_ne_u32_e32 vcc_lo, 0x7f800000, v90
                                        ; implicit-def: $vgpr90
	s_and_saveexec_b32 s0, vcc_lo
	s_xor_b32 s0, exec_lo, s0
; %bb.100:                              ;   in Loop: Header=BB63_6 Depth=1
	v_bfe_u32 v90, v92, 16, 1
	s_delay_alu instid0(VALU_DEP_1)
	v_add3_u32 v90, v92, v90, 0x7fff
                                        ; implicit-def: $vgpr92
; %bb.101:                              ;   in Loop: Header=BB63_6 Depth=1
	s_and_not1_saveexec_b32 s0, s0
; %bb.102:                              ;   in Loop: Header=BB63_6 Depth=1
	v_and_b32_e32 v90, 0xffff, v92
	v_or_b32_e32 v91, 0x10000, v92
	s_delay_alu instid0(VALU_DEP_2) | instskip(NEXT) | instid1(VALU_DEP_2)
	v_cmp_eq_u32_e32 vcc_lo, 0, v90
	v_cndmask_b32_e32 v90, v91, v92, vcc_lo
; %bb.103:                              ;   in Loop: Header=BB63_6 Depth=1
	s_or_b32 exec_lo, exec_lo, s0
	v_and_b32_e32 v91, 0x7f800000, v85
	s_delay_alu instid0(VALU_DEP_2)
	v_perm_b32 v89, v90, v89, 0x7060302
	s_mov_b32 s0, exec_lo
	ds_store_b32 v109, v89 offset:1008
                                        ; implicit-def: $vgpr89
	v_cmpx_ne_u32_e32 0x7f800000, v91
	s_xor_b32 s0, exec_lo, s0
; %bb.104:                              ;   in Loop: Header=BB63_6 Depth=1
	v_bfe_u32 v89, v85, 16, 1
	s_delay_alu instid0(VALU_DEP_1)
	v_add3_u32 v89, v85, v89, 0x7fff
; %bb.105:                              ;   in Loop: Header=BB63_6 Depth=1
	s_and_not1_saveexec_b32 s0, s0
; %bb.106:                              ;   in Loop: Header=BB63_6 Depth=1
	v_and_b32_e32 v89, 0xffff, v85
	v_or_b32_e32 v90, 0x10000, v85
	s_delay_alu instid0(VALU_DEP_2) | instskip(NEXT) | instid1(VALU_DEP_2)
	v_cmp_eq_u32_e32 vcc_lo, 0, v89
	v_cndmask_b32_e32 v89, v90, v85, vcc_lo
; %bb.107:                              ;   in Loop: Header=BB63_6 Depth=1
	s_or_b32 exec_lo, exec_lo, s0
	v_and_b32_e32 v85, 0x7f800000, v86
	s_delay_alu instid0(VALU_DEP_1) | instskip(SKIP_1) | instid1(SALU_CYCLE_1)
	v_cmp_ne_u32_e32 vcc_lo, 0x7f800000, v85
                                        ; implicit-def: $vgpr85
	s_and_saveexec_b32 s0, vcc_lo
	s_xor_b32 s0, exec_lo, s0
; %bb.108:                              ;   in Loop: Header=BB63_6 Depth=1
	v_bfe_u32 v85, v86, 16, 1
	s_delay_alu instid0(VALU_DEP_1)
	v_add3_u32 v85, v86, v85, 0x7fff
                                        ; implicit-def: $vgpr86
; %bb.109:                              ;   in Loop: Header=BB63_6 Depth=1
	s_and_not1_saveexec_b32 s0, s0
; %bb.110:                              ;   in Loop: Header=BB63_6 Depth=1
	v_and_b32_e32 v85, 0xffff, v86
	v_or_b32_e32 v90, 0x10000, v86
	s_delay_alu instid0(VALU_DEP_2) | instskip(NEXT) | instid1(VALU_DEP_2)
	v_cmp_eq_u32_e32 vcc_lo, 0, v85
	v_cndmask_b32_e32 v85, v90, v86, vcc_lo
; %bb.111:                              ;   in Loop: Header=BB63_6 Depth=1
	s_or_b32 exec_lo, exec_lo, s0
	v_and_b32_e32 v86, 0x7f800000, v87
	s_delay_alu instid0(VALU_DEP_2)
	v_perm_b32 v85, v85, v89, 0x7060302
	s_mov_b32 s0, exec_lo
	ds_store_b32 v109, v85 offset:1152
                                        ; implicit-def: $vgpr85
	v_cmpx_ne_u32_e32 0x7f800000, v86
	s_xor_b32 s0, exec_lo, s0
; %bb.112:                              ;   in Loop: Header=BB63_6 Depth=1
	v_bfe_u32 v85, v87, 16, 1
	s_delay_alu instid0(VALU_DEP_1)
	v_add3_u32 v85, v87, v85, 0x7fff
; %bb.113:                              ;   in Loop: Header=BB63_6 Depth=1
	s_and_not1_saveexec_b32 s0, s0
; %bb.114:                              ;   in Loop: Header=BB63_6 Depth=1
	v_and_b32_e32 v85, 0xffff, v87
	v_or_b32_e32 v86, 0x10000, v87
	s_delay_alu instid0(VALU_DEP_2) | instskip(NEXT) | instid1(VALU_DEP_2)
	v_cmp_eq_u32_e32 vcc_lo, 0, v85
	v_cndmask_b32_e32 v85, v86, v87, vcc_lo
; %bb.115:                              ;   in Loop: Header=BB63_6 Depth=1
	s_or_b32 exec_lo, exec_lo, s0
	v_and_b32_e32 v86, 0x7f800000, v88
	s_delay_alu instid0(VALU_DEP_1) | instskip(SKIP_1) | instid1(SALU_CYCLE_1)
	v_cmp_ne_u32_e32 vcc_lo, 0x7f800000, v86
                                        ; implicit-def: $vgpr86
	s_and_saveexec_b32 s0, vcc_lo
	s_xor_b32 s0, exec_lo, s0
; %bb.116:                              ;   in Loop: Header=BB63_6 Depth=1
	v_bfe_u32 v86, v88, 16, 1
	s_delay_alu instid0(VALU_DEP_1)
	v_add3_u32 v86, v88, v86, 0x7fff
                                        ; implicit-def: $vgpr88
; %bb.117:                              ;   in Loop: Header=BB63_6 Depth=1
	s_and_not1_saveexec_b32 s0, s0
; %bb.118:                              ;   in Loop: Header=BB63_6 Depth=1
	v_and_b32_e32 v86, 0xffff, v88
	v_or_b32_e32 v87, 0x10000, v88
	s_delay_alu instid0(VALU_DEP_2) | instskip(NEXT) | instid1(VALU_DEP_2)
	v_cmp_eq_u32_e32 vcc_lo, 0, v86
	v_cndmask_b32_e32 v86, v87, v88, vcc_lo
; %bb.119:                              ;   in Loop: Header=BB63_6 Depth=1
	s_or_b32 exec_lo, exec_lo, s0
	v_and_b32_e32 v87, 0x7f800000, v83
	s_delay_alu instid0(VALU_DEP_2)
	v_perm_b32 v85, v86, v85, 0x7060302
	s_mov_b32 s0, exec_lo
	ds_store_b32 v109, v85 offset:1296
                                        ; implicit-def: $vgpr85
	v_cmpx_ne_u32_e32 0x7f800000, v87
	s_xor_b32 s0, exec_lo, s0
; %bb.120:                              ;   in Loop: Header=BB63_6 Depth=1
	v_bfe_u32 v85, v83, 16, 1
	s_delay_alu instid0(VALU_DEP_1)
	v_add3_u32 v85, v83, v85, 0x7fff
; %bb.121:                              ;   in Loop: Header=BB63_6 Depth=1
	s_and_not1_saveexec_b32 s0, s0
; %bb.122:                              ;   in Loop: Header=BB63_6 Depth=1
	v_and_b32_e32 v85, 0xffff, v83
	v_or_b32_e32 v86, 0x10000, v83
	s_delay_alu instid0(VALU_DEP_2) | instskip(NEXT) | instid1(VALU_DEP_2)
	v_cmp_eq_u32_e32 vcc_lo, 0, v85
	v_cndmask_b32_e32 v85, v86, v83, vcc_lo
; %bb.123:                              ;   in Loop: Header=BB63_6 Depth=1
	s_or_b32 exec_lo, exec_lo, s0
	v_and_b32_e32 v83, 0x7f800000, v84
	s_delay_alu instid0(VALU_DEP_1) | instskip(SKIP_1) | instid1(SALU_CYCLE_1)
	v_cmp_ne_u32_e32 vcc_lo, 0x7f800000, v83
                                        ; implicit-def: $vgpr83
	s_and_saveexec_b32 s0, vcc_lo
	s_xor_b32 s0, exec_lo, s0
; %bb.124:                              ;   in Loop: Header=BB63_6 Depth=1
	v_bfe_u32 v83, v84, 16, 1
	s_delay_alu instid0(VALU_DEP_1)
	v_add3_u32 v83, v84, v83, 0x7fff
                                        ; implicit-def: $vgpr84
; %bb.125:                              ;   in Loop: Header=BB63_6 Depth=1
	s_and_not1_saveexec_b32 s0, s0
	s_cbranch_execz .LBB63_5
; %bb.126:                              ;   in Loop: Header=BB63_6 Depth=1
	v_and_b32_e32 v83, 0xffff, v84
	v_or_b32_e32 v86, 0x10000, v84
	s_delay_alu instid0(VALU_DEP_2) | instskip(NEXT) | instid1(VALU_DEP_2)
	v_cmp_eq_u32_e32 vcc_lo, 0, v83
	v_cndmask_b32_e32 v83, v86, v84, vcc_lo
	s_branch .LBB63_5
.LBB63_127:
	s_or_b32 exec_lo, exec_lo, s41
.LBB63_128:
	s_delay_alu instid0(SALU_CYCLE_1)
	s_or_b32 exec_lo, exec_lo, s36
	v_lshrrev_b32_e32 v16, 2, v106
	v_mad_u32_u24 v17, 0x290, v108, 0
	v_lshlrev_b32_e32 v18, 2, v107
	s_waitcnt lgkmcnt(0)
	s_barrier
	v_and_b32_e32 v16, 0xfc, v16
	buffer_gl0_inv
	s_lshl_b64 s[4:5], s[30:31], 2
	v_cmp_gt_u32_e64 s0, 11, v105
	s_add_u32 s1, s34, s4
	v_add3_u32 v16, v17, v16, v18
	s_addc_u32 s4, s35, s5
	s_cmp_gt_i32 s10, 0
	ds_store_2addr_b32 v16, v8, v9 offset1:2
	ds_store_2addr_b32 v16, v10, v11 offset0:4 offset1:6
	ds_store_2addr_b32 v16, v12, v13 offset0:8 offset1:10
	;; [unrolled: 1-line block ×6, first 2 shown]
	v_add_nc_u32_e32 v0, s2, v105
	s_cselect_b32 s3, -1, 0
	v_lshl_add_u32 v3, v106, 2, 0
	v_add_nc_u32_e32 v2, s7, v106
	v_mul_u32_u24_e32 v4, 0x290, v105
	v_cmp_gt_i32_e32 vcc_lo, s33, v0
	ds_store_2addr_b32 v16, v6, v7 offset0:28 offset1:30
	s_waitcnt lgkmcnt(0)
	s_barrier
	buffer_gl0_inv
	s_and_b32 s5, s3, vcc_lo
	s_delay_alu instid0(SALU_CYCLE_1) | instskip(NEXT) | instid1(SALU_CYCLE_1)
	s_and_b32 s5, s0, s5
	s_and_saveexec_b32 s0, s5
	s_cbranch_execz .LBB63_131
; %bb.129:
	v_ashrrev_i32_e32 v1, 31, v0
	s_delay_alu instid0(VALU_DEP_1) | instskip(NEXT) | instid1(VALU_DEP_1)
	v_lshlrev_b64 v[5:6], 2, v[0:1]
	v_add_co_u32 v5, vcc_lo, s1, v5
	s_delay_alu instid0(VALU_DEP_2) | instskip(SKIP_3) | instid1(VALU_DEP_1)
	v_add_co_ci_u32_e32 v6, vcc_lo, s4, v6, vcc_lo
	global_load_b32 v5, v[5:6], off
	s_waitcnt vmcnt(0)
	v_mul_hi_u32 v1, v5, s19
	v_add_nc_u32_e32 v1, v5, v1
	s_delay_alu instid0(VALU_DEP_1) | instskip(NEXT) | instid1(VALU_DEP_1)
	v_lshrrev_b32_e32 v1, s26, v1
	v_cmp_gt_i32_e32 vcc_lo, s9, v1
	s_and_b32 exec_lo, exec_lo, vcc_lo
	s_cbranch_execz .LBB63_131
; %bb.130:
	v_add_nc_u32_e32 v10, v3, v4
	v_mul_lo_u32 v11, v1, s27
	v_mul_lo_u32 v1, v1, s25
	ds_load_2addr_b32 v[6:7], v10 offset1:32
	v_sub_nc_u32_e32 v5, v5, v11
	s_delay_alu instid0(VALU_DEP_1) | instskip(NEXT) | instid1(VALU_DEP_1)
	v_mul_lo_u32 v5, v5, s6
	v_add3_u32 v5, v2, v1, v5
	s_waitcnt lgkmcnt(0)
	v_add_f32_e32 v6, 0, v6
	s_delay_alu instid0(VALU_DEP_1) | instskip(SKIP_4) | instid1(VALU_DEP_1)
	v_add_f32_e32 v7, v6, v7
	ds_load_2addr_b32 v[8:9], v10 offset0:64 offset1:96
	ds_load_b32 v10, v10 offset:512
	s_waitcnt lgkmcnt(1)
	v_dual_add_f32 v7, v7, v8 :: v_dual_mov_b32 v6, 0
	v_add_f32_e32 v1, v7, v9
	s_delay_alu instid0(VALU_DEP_2) | instskip(SKIP_1) | instid1(VALU_DEP_2)
	v_lshlrev_b64 v[5:6], 2, v[5:6]
	s_waitcnt lgkmcnt(0)
	v_add_f32_e32 v1, v1, v10
	s_delay_alu instid0(VALU_DEP_2) | instskip(NEXT) | instid1(VALU_DEP_3)
	v_add_co_u32 v5, vcc_lo, s28, v5
	v_add_co_ci_u32_e32 v6, vcc_lo, s29, v6, vcc_lo
	global_store_b32 v[5:6], v1, off
.LBB63_131:
	s_or_b32 exec_lo, exec_lo, s0
	v_add_nc_u32_e32 v0, 5, v0
	v_cmp_gt_u32_e64 s0, 6, v105
	s_delay_alu instid0(VALU_DEP_2)
	v_cmp_gt_i32_e32 vcc_lo, s33, v0
	s_and_b32 s5, s3, vcc_lo
	s_delay_alu instid0(VALU_DEP_2) | instid1(SALU_CYCLE_1)
	s_and_b32 s5, s0, s5
	s_delay_alu instid0(SALU_CYCLE_1)
	s_and_saveexec_b32 s0, s5
	s_cbranch_execz .LBB63_134
; %bb.132:
	s_ashr_i32 s5, s2, 31
	v_add_co_u32 v0, s7, v105, s2
	s_delay_alu instid0(VALU_DEP_1) | instskip(NEXT) | instid1(VALU_DEP_1)
	v_add_co_ci_u32_e64 v1, null, 0, s5, s7
	v_lshlrev_b64 v[0:1], 2, v[0:1]
	s_delay_alu instid0(VALU_DEP_1) | instskip(NEXT) | instid1(VALU_DEP_2)
	v_add_co_u32 v0, vcc_lo, s1, v0
	v_add_co_ci_u32_e32 v1, vcc_lo, s4, v1, vcc_lo
	global_load_b32 v5, v[0:1], off offset:20
	v_mov_b32_e32 v1, 0
	s_waitcnt vmcnt(0)
	v_mul_hi_u32 v0, v5, s19
	s_delay_alu instid0(VALU_DEP_1) | instskip(NEXT) | instid1(VALU_DEP_1)
	v_add_nc_u32_e32 v0, v5, v0
	v_lshrrev_b32_e32 v0, s26, v0
	s_delay_alu instid0(VALU_DEP_1)
	v_cmp_gt_i32_e32 vcc_lo, s9, v0
	s_and_b32 exec_lo, exec_lo, vcc_lo
	s_cbranch_execz .LBB63_134
; %bb.133:
	v_add_nc_u32_e32 v4, v4, v3
	v_mul_lo_u32 v10, v0, s27
	v_mul_lo_u32 v0, v0, s25
	s_delay_alu instid0(VALU_DEP_3) | instskip(NEXT) | instid1(VALU_DEP_3)
	v_add_nc_u32_e32 v8, 0xc00, v4
	v_sub_nc_u32_e32 v5, v5, v10
	ds_load_2addr_b32 v[6:7], v8 offset0:52 offset1:84
	ds_load_2addr_b32 v[8:9], v8 offset0:116 offset1:148
	v_mul_lo_u32 v5, v5, s6
	s_delay_alu instid0(VALU_DEP_1) | instskip(NEXT) | instid1(VALU_DEP_1)
	v_add3_u32 v0, v2, v0, v5
	v_lshlrev_b64 v[0:1], 2, v[0:1]
	s_waitcnt lgkmcnt(1)
	v_add_f32_e32 v6, 0, v6
	s_delay_alu instid0(VALU_DEP_2) | instskip(NEXT) | instid1(VALU_DEP_2)
	v_add_co_u32 v0, vcc_lo, s28, v0
	v_add_f32_e32 v6, v6, v7
	s_delay_alu instid0(VALU_DEP_4) | instskip(SKIP_1) | instid1(VALU_DEP_2)
	v_add_co_ci_u32_e32 v1, vcc_lo, s29, v1, vcc_lo
	s_waitcnt lgkmcnt(0)
	v_add_f32_e32 v6, v6, v8
	s_delay_alu instid0(VALU_DEP_1)
	v_add_f32_e32 v5, v6, v9
	ds_load_b32 v4, v4 offset:3792
	s_waitcnt lgkmcnt(0)
	v_add_f32_e32 v4, v5, v4
	global_store_b32 v[0:1], v4, off
.LBB63_134:
	s_or_b32 exec_lo, exec_lo, s0
	s_delay_alu instid0(SALU_CYCLE_1)
	s_mov_b32 s0, exec_lo
	v_cmpx_eq_u32_e32 0, v105
	s_cbranch_execz .LBB63_138
; %bb.135:
	s_add_i32 s0, s2, 10
	s_delay_alu instid0(SALU_CYCLE_1) | instskip(SKIP_2) | instid1(SALU_CYCLE_1)
	s_cmp_ge_i32 s0, s33
	s_cselect_b32 s0, -1, 0
	s_xor_b32 s3, s3, -1
	s_or_b32 s0, s3, s0
	s_delay_alu instid0(SALU_CYCLE_1)
	s_and_b32 vcc_lo, exec_lo, s0
	s_cbranch_vccnz .LBB63_138
; %bb.136:
	s_ashr_i32 s3, s2, 31
	s_delay_alu instid0(SALU_CYCLE_1) | instskip(NEXT) | instid1(SALU_CYCLE_1)
	s_lshl_b64 s[2:3], s[2:3], 2
	s_add_u32 s0, s1, s2
	s_addc_u32 s1, s4, s3
	s_load_b32 s0, s[0:1], 0x28
	s_waitcnt lgkmcnt(0)
	s_mul_hi_u32 s1, s0, s19
	s_delay_alu instid0(SALU_CYCLE_1) | instskip(NEXT) | instid1(SALU_CYCLE_1)
	s_add_i32 s1, s0, s1
	s_lshr_b32 s1, s1, s26
	s_delay_alu instid0(SALU_CYCLE_1)
	s_cmp_ge_i32 s1, s9
	s_cbranch_scc1 .LBB63_138
; %bb.137:
	v_add_nc_u32_e32 v4, 0x1800, v3
	s_mul_i32 s2, s1, s27
	s_mul_i32 s1, s1, s25
	s_sub_i32 s0, s0, s2
	ds_load_2addr_b32 v[0:1], v4 offset0:104 offset1:136
	ds_load_2addr_b32 v[4:5], v4 offset0:168 offset1:200
	ds_load_b32 v3, v3 offset:7072
	s_mul_i32 s0, s0, s6
	s_waitcnt lgkmcnt(2)
	v_add_f32_e32 v0, 0, v0
	s_delay_alu instid0(VALU_DEP_1) | instskip(SKIP_1) | instid1(VALU_DEP_1)
	v_dual_add_f32 v0, v0, v1 :: v_dual_mov_b32 v1, 0
	s_waitcnt lgkmcnt(1)
	v_add_f32_e32 v4, v0, v4
	v_add3_u32 v0, s0, s1, v2
	s_delay_alu instid0(VALU_DEP_2) | instskip(NEXT) | instid1(VALU_DEP_2)
	v_add_f32_e32 v2, v4, v5
	v_lshlrev_b64 v[0:1], 2, v[0:1]
	s_waitcnt lgkmcnt(0)
	s_delay_alu instid0(VALU_DEP_2) | instskip(NEXT) | instid1(VALU_DEP_2)
	v_add_f32_e32 v2, v2, v3
	v_add_co_u32 v0, vcc_lo, s28, v0
	s_delay_alu instid0(VALU_DEP_3)
	v_add_co_ci_u32_e32 v1, vcc_lo, s29, v1, vcc_lo
	global_store_b32 v[0:1], v2, off
.LBB63_138:
	s_nop 0
	s_sendmsg sendmsg(MSG_DEALLOC_VGPRS)
	s_endpgm
	.section	.rodata,"a",@progbits
	.p2align	6, 0x0
	.amdhsa_kernel _ZL13mul_mat_f_idsI15__hip_bfloat162Li32ELi11ELi5EEvPKT_PKfPKiS7_S7_Pfiiiiiiiiiiiiii15HIP_vector_typeIjLj3EESA_
		.amdhsa_group_segment_fixed_size 0
		.amdhsa_private_segment_fixed_size 0
		.amdhsa_kernarg_size 128
		.amdhsa_user_sgpr_count 13
		.amdhsa_user_sgpr_dispatch_ptr 0
		.amdhsa_user_sgpr_queue_ptr 0
		.amdhsa_user_sgpr_kernarg_segment_ptr 1
		.amdhsa_user_sgpr_dispatch_id 0
		.amdhsa_user_sgpr_private_segment_size 0
		.amdhsa_wavefront_size32 1
		.amdhsa_uses_dynamic_stack 0
		.amdhsa_enable_private_segment 0
		.amdhsa_system_sgpr_workgroup_id_x 1
		.amdhsa_system_sgpr_workgroup_id_y 1
		.amdhsa_system_sgpr_workgroup_id_z 1
		.amdhsa_system_sgpr_workgroup_info 0
		.amdhsa_system_vgpr_workitem_id 1
		.amdhsa_next_free_vgpr 120
		.amdhsa_next_free_sgpr 76
		.amdhsa_reserve_vcc 1
		.amdhsa_float_round_mode_32 0
		.amdhsa_float_round_mode_16_64 0
		.amdhsa_float_denorm_mode_32 3
		.amdhsa_float_denorm_mode_16_64 3
		.amdhsa_dx10_clamp 1
		.amdhsa_ieee_mode 1
		.amdhsa_fp16_overflow 0
		.amdhsa_workgroup_processor_mode 1
		.amdhsa_memory_ordered 1
		.amdhsa_forward_progress 0
		.amdhsa_shared_vgpr_count 0
		.amdhsa_exception_fp_ieee_invalid_op 0
		.amdhsa_exception_fp_denorm_src 0
		.amdhsa_exception_fp_ieee_div_zero 0
		.amdhsa_exception_fp_ieee_overflow 0
		.amdhsa_exception_fp_ieee_underflow 0
		.amdhsa_exception_fp_ieee_inexact 0
		.amdhsa_exception_int_div_zero 0
	.end_amdhsa_kernel
	.section	.text._ZL13mul_mat_f_idsI15__hip_bfloat162Li32ELi11ELi5EEvPKT_PKfPKiS7_S7_Pfiiiiiiiiiiiiii15HIP_vector_typeIjLj3EESA_,"axG",@progbits,_ZL13mul_mat_f_idsI15__hip_bfloat162Li32ELi11ELi5EEvPKT_PKfPKiS7_S7_Pfiiiiiiiiiiiiii15HIP_vector_typeIjLj3EESA_,comdat
.Lfunc_end63:
	.size	_ZL13mul_mat_f_idsI15__hip_bfloat162Li32ELi11ELi5EEvPKT_PKfPKiS7_S7_Pfiiiiiiiiiiiiii15HIP_vector_typeIjLj3EESA_, .Lfunc_end63-_ZL13mul_mat_f_idsI15__hip_bfloat162Li32ELi11ELi5EEvPKT_PKfPKiS7_S7_Pfiiiiiiiiiiiiii15HIP_vector_typeIjLj3EESA_
                                        ; -- End function
	.section	.AMDGPU.csdata,"",@progbits
; Kernel info:
; codeLenInByte = 7412
; NumSgprs: 78
; NumVgprs: 120
; ScratchSize: 0
; MemoryBound: 0
; FloatMode: 240
; IeeeMode: 1
; LDSByteSize: 0 bytes/workgroup (compile time only)
; SGPRBlocks: 9
; VGPRBlocks: 14
; NumSGPRsForWavesPerEU: 78
; NumVGPRsForWavesPerEU: 120
; Occupancy: 12
; WaveLimiterHint : 1
; COMPUTE_PGM_RSRC2:SCRATCH_EN: 0
; COMPUTE_PGM_RSRC2:USER_SGPR: 13
; COMPUTE_PGM_RSRC2:TRAP_HANDLER: 0
; COMPUTE_PGM_RSRC2:TGID_X_EN: 1
; COMPUTE_PGM_RSRC2:TGID_Y_EN: 1
; COMPUTE_PGM_RSRC2:TGID_Z_EN: 1
; COMPUTE_PGM_RSRC2:TIDIG_COMP_CNT: 1
	.section	.text._ZL9mul_mat_fI15__hip_bfloat162Li32ELi11ELi5ELb1EEvPKT_PKfPKiPfiiiiiiiiiiiiiiii,"axG",@progbits,_ZL9mul_mat_fI15__hip_bfloat162Li32ELi11ELi5ELb1EEvPKT_PKfPKiPfiiiiiiiiiiiiiiii,comdat
	.globl	_ZL9mul_mat_fI15__hip_bfloat162Li32ELi11ELi5ELb1EEvPKT_PKfPKiPfiiiiiiiiiiiiiiii ; -- Begin function _ZL9mul_mat_fI15__hip_bfloat162Li32ELi11ELi5ELb1EEvPKT_PKfPKiPfiiiiiiiiiiiiiiii
	.p2align	8
	.type	_ZL9mul_mat_fI15__hip_bfloat162Li32ELi11ELi5ELb1EEvPKT_PKfPKiPfiiiiiiiiiiiiiiii,@function
_ZL9mul_mat_fI15__hip_bfloat162Li32ELi11ELi5ELb1EEvPKT_PKfPKiPfiiiiiiiiiiiiiiii: ; @_ZL9mul_mat_fI15__hip_bfloat162Li32ELi11ELi5ELb1EEvPKT_PKfPKiPfiiiiiiiiiiiiiiii
; %bb.0:
	s_clause 0x1
	s_load_b256 s[16:23], s[0:1], 0x20
	s_load_b128 s[8:11], s[0:1], 0x44
	v_and_b32_e32 v80, 0x3ff, v0
	v_bfe_u32 v86, v0, 10, 10
	s_delay_alu instid0(VALU_DEP_2) | instskip(NEXT) | instid1(VALU_DEP_2)
	v_cmp_eq_u32_e32 vcc_lo, 0, v80
	v_lshl_add_u32 v87, v86, 2, 0x100
	s_waitcnt lgkmcnt(0)
	s_add_i32 s2, s17, 10
	s_delay_alu instid0(SALU_CYCLE_1) | instskip(NEXT) | instid1(SALU_CYCLE_1)
	s_mul_hi_i32 s2, s2, 0x2e8ba2e9
	s_lshr_b32 s3, s2, 31
	s_ashr_i32 s2, s2, 1
	s_delay_alu instid0(SALU_CYCLE_1)
	s_add_i32 s2, s2, s3
	s_load_b32 s3, s[0:1], 0x64
	v_cvt_f32_u32_e32 v1, s2
	s_add_u32 s28, s0, 0x60
	s_addc_u32 s29, s1, 0
	s_sub_i32 s5, 0, s2
	s_delay_alu instid0(VALU_DEP_1) | instskip(SKIP_2) | instid1(VALU_DEP_1)
	v_rcp_iflag_f32_e32 v1, v1
	s_waitcnt_depctr 0xfff
	v_mul_f32_e32 v1, 0x4f7ffffe, v1
	v_cvt_u32_f32_e32 v1, v1
	s_delay_alu instid0(VALU_DEP_1) | instskip(NEXT) | instid1(VALU_DEP_1)
	v_readfirstlane_b32 s4, v1
	s_mul_i32 s5, s5, s4
	s_delay_alu instid0(SALU_CYCLE_1) | instskip(NEXT) | instid1(SALU_CYCLE_1)
	s_mul_hi_u32 s5, s4, s5
	s_add_i32 s4, s4, s5
	s_waitcnt lgkmcnt(0)
	s_mul_hi_u32 s4, s3, s4
	s_delay_alu instid0(SALU_CYCLE_1) | instskip(NEXT) | instid1(SALU_CYCLE_1)
	s_mul_i32 s5, s4, s2
	s_sub_i32 s3, s3, s5
	s_add_i32 s5, s4, 1
	s_sub_i32 s6, s3, s2
	s_cmp_ge_u32 s3, s2
	s_cselect_b32 s4, s5, s4
	s_cselect_b32 s3, s6, s3
	s_add_i32 s5, s4, 1
	s_cmp_ge_u32 s3, s2
	s_load_b64 s[6:7], s[0:1], 0x10
	s_cselect_b32 s2, s5, s4
	s_abs_i32 s12, s11
	v_cvt_f32_u32_e32 v1, s2
	v_cvt_f32_u32_e32 v2, s12
	s_sub_i32 s4, 0, s2
	s_delay_alu instid0(VALU_DEP_2) | instskip(NEXT) | instid1(VALU_DEP_1)
	v_rcp_iflag_f32_e32 v1, v1
	v_rcp_iflag_f32_e32 v2, v2
	s_waitcnt_depctr 0xfff
	v_dual_mul_f32 v1, 0x4f7ffffe, v1 :: v_dual_mul_f32 v2, 0x4f7ffffe, v2
	s_delay_alu instid0(VALU_DEP_1) | instskip(NEXT) | instid1(VALU_DEP_1)
	v_cvt_u32_f32_e32 v1, v1
	v_readfirstlane_b32 s3, v1
	s_delay_alu instid0(VALU_DEP_3) | instskip(NEXT) | instid1(VALU_DEP_2)
	v_cvt_u32_f32_e32 v1, v2
	s_mul_i32 s4, s4, s3
	s_delay_alu instid0(VALU_DEP_1) | instskip(SKIP_1) | instid1(SALU_CYCLE_1)
	v_readfirstlane_b32 s30, v1
	s_mul_hi_u32 s4, s3, s4
	s_add_i32 s3, s3, s4
	s_delay_alu instid0(SALU_CYCLE_1)
	s_mul_hi_u32 s3, s14, s3
	s_and_saveexec_b32 s4, vcc_lo
	s_cbranch_execz .LBB64_2
; %bb.1:
	v_mov_b32_e32 v1, -1
	ds_store_b32 v87, v1
.LBB64_2:
	s_or_b32 exec_lo, exec_lo, s4
	s_mul_i32 s4, s3, s2
	s_add_i32 s5, s3, 1
	s_sub_i32 s4, s14, s4
	v_mov_b32_e32 v3, 0
	s_sub_i32 s24, s4, s2
	s_cmp_ge_u32 s4, s2
	s_cselect_b32 s3, s5, s3
	s_cselect_b32 s4, s24, s4
	s_add_i32 s5, s3, 1
	s_cmp_ge_u32 s4, s2
	s_cselect_b32 s3, s5, s3
	v_cmp_gt_i32_e64 s5, s18, v80
	s_mul_i32 s33, s3, 11
	s_mul_i32 s3, s3, s2
	v_add_nc_u32_e32 v1, s33, v86
	s_mul_hi_i32 s25, s33, s23
	s_mul_i32 s24, s33, s23
	s_sub_i32 s14, s14, s3
	s_lshl_b64 s[24:25], s[24:25], 2
	v_cmp_gt_i32_e64 s2, s17, v1
	s_waitcnt lgkmcnt(0)
	s_add_u32 s31, s6, s24
	s_addc_u32 s7, s7, s25
	s_delay_alu instid0(VALU_DEP_1)
	s_and_saveexec_b32 s6, s2
	s_cbranch_execz .LBB64_10
; %bb.3:
	v_mov_b32_e32 v3, 0
	s_and_saveexec_b32 s24, s5
	s_cbranch_execz .LBB64_9
; %bb.4:
	v_mul_lo_u32 v1, v86, s23
	v_dual_mov_b32 v3, 0 :: v_dual_mov_b32 v6, v80
	s_lshl_b32 s26, s22, 5
	s_mov_b32 s25, 0
	s_delay_alu instid0(VALU_DEP_2) | instskip(NEXT) | instid1(VALU_DEP_1)
	v_ashrrev_i32_e32 v2, 31, v1
	v_lshlrev_b64 v[4:5], 2, v[1:2]
	v_mul_lo_u32 v1, v80, s22
	s_delay_alu instid0(VALU_DEP_2) | instskip(NEXT) | instid1(VALU_DEP_1)
	v_add_co_u32 v4, s3, s31, v4
	v_add_co_ci_u32_e64 v5, s3, s7, v5, s3
	s_set_inst_prefetch_distance 0x1
	s_branch .LBB64_6
	.p2align	6
.LBB64_5:                               ;   in Loop: Header=BB64_6 Depth=1
	s_or_b32 exec_lo, exec_lo, s27
	v_add_nc_u32_e32 v6, 32, v6
	s_xor_b32 s3, s3, -1
	v_add_nc_u32_e32 v1, s26, v1
	s_delay_alu instid0(VALU_DEP_2) | instskip(NEXT) | instid1(VALU_DEP_1)
	v_cmp_le_i32_e64 s4, s18, v6
	s_or_b32 s3, s3, s4
	s_delay_alu instid0(SALU_CYCLE_1) | instskip(NEXT) | instid1(SALU_CYCLE_1)
	s_and_b32 s3, exec_lo, s3
	s_or_b32 s25, s3, s25
	s_delay_alu instid0(SALU_CYCLE_1)
	s_and_not1_b32 exec_lo, exec_lo, s25
	s_cbranch_execz .LBB64_8
.LBB64_6:                               ; =>This Inner Loop Header: Depth=1
	s_delay_alu instid0(VALU_DEP_3) | instskip(SKIP_1) | instid1(VALU_DEP_1)
	v_ashrrev_i32_e32 v2, 31, v1
	s_mov_b32 s27, exec_lo
	v_lshlrev_b64 v[7:8], 2, v[1:2]
	s_delay_alu instid0(VALU_DEP_1) | instskip(NEXT) | instid1(VALU_DEP_1)
	v_add_co_u32 v7, s3, v4, v7
	v_add_co_ci_u32_e64 v8, s3, v5, v8, s3
	global_load_b32 v2, v[7:8], off
	s_waitcnt vmcnt(0)
	v_cmp_ne_u32_e64 s3, s14, v2
	v_cmpx_eq_u32_e64 s14, v2
	s_cbranch_execz .LBB64_5
; %bb.7:                                ;   in Loop: Header=BB64_6 Depth=1
	v_mov_b32_e32 v3, 1
	ds_store_b32 v87, v6
	s_branch .LBB64_5
.LBB64_8:
	s_set_inst_prefetch_distance 0x2
	s_or_b32 exec_lo, exec_lo, s25
.LBB64_9:
	s_delay_alu instid0(SALU_CYCLE_1)
	s_or_b32 exec_lo, exec_lo, s24
.LBB64_10:
	s_delay_alu instid0(SALU_CYCLE_1)
	s_or_b32 exec_lo, exec_lo, s6
	s_sub_i32 s24, 0, s12
	s_and_saveexec_b32 s3, vcc_lo
	s_cbranch_execz .LBB64_12
; %bb.11:
	v_mov_b32_e32 v1, -1
	ds_store_b32 v87, v1 offset:20
.LBB64_12:
	s_or_b32 exec_lo, exec_lo, s3
	v_add_nc_u32_e32 v88, 5, v86
	s_mul_i32 s24, s24, s30
	s_delay_alu instid0(VALU_DEP_1) | instskip(NEXT) | instid1(VALU_DEP_1)
	v_add_nc_u32_e32 v1, s33, v88
	v_cmp_gt_i32_e64 s3, s17, v1
	s_delay_alu instid0(VALU_DEP_1)
	s_and_saveexec_b32 s25, s3
	s_cbranch_execz .LBB64_20
; %bb.13:
	s_and_saveexec_b32 s26, s5
	s_cbranch_execz .LBB64_19
; %bb.14:
	v_mul_lo_u32 v1, v88, s23
	v_mov_b32_e32 v6, v80
	s_lshl_b32 s34, s22, 5
	s_mov_b32 s27, 0
	s_delay_alu instid0(VALU_DEP_2) | instskip(NEXT) | instid1(VALU_DEP_1)
	v_ashrrev_i32_e32 v2, 31, v1
	v_lshlrev_b64 v[4:5], 2, v[1:2]
	v_mul_lo_u32 v1, v80, s22
	s_delay_alu instid0(VALU_DEP_2) | instskip(NEXT) | instid1(VALU_DEP_1)
	v_add_co_u32 v4, s4, s31, v4
	v_add_co_ci_u32_e64 v5, s4, s7, v5, s4
	s_set_inst_prefetch_distance 0x1
	s_branch .LBB64_16
	.p2align	6
.LBB64_15:                              ;   in Loop: Header=BB64_16 Depth=1
	s_or_b32 exec_lo, exec_lo, s35
	v_add_nc_u32_e32 v6, 32, v6
	s_xor_b32 s4, s4, -1
	v_add_nc_u32_e32 v1, s34, v1
	s_delay_alu instid0(VALU_DEP_2) | instskip(NEXT) | instid1(VALU_DEP_1)
	v_cmp_le_i32_e64 s6, s18, v6
	s_or_b32 s4, s4, s6
	s_delay_alu instid0(SALU_CYCLE_1) | instskip(NEXT) | instid1(SALU_CYCLE_1)
	s_and_b32 s4, exec_lo, s4
	s_or_b32 s27, s4, s27
	s_delay_alu instid0(SALU_CYCLE_1)
	s_and_not1_b32 exec_lo, exec_lo, s27
	s_cbranch_execz .LBB64_18
.LBB64_16:                              ; =>This Inner Loop Header: Depth=1
	s_delay_alu instid0(VALU_DEP_3) | instskip(SKIP_1) | instid1(VALU_DEP_1)
	v_ashrrev_i32_e32 v2, 31, v1
	s_mov_b32 s35, exec_lo
	v_lshlrev_b64 v[7:8], 2, v[1:2]
	s_delay_alu instid0(VALU_DEP_1) | instskip(NEXT) | instid1(VALU_DEP_1)
	v_add_co_u32 v7, s4, v4, v7
	v_add_co_ci_u32_e64 v8, s4, v5, v8, s4
	global_load_b32 v2, v[7:8], off
	s_waitcnt vmcnt(0)
	v_cmp_ne_u32_e64 s4, s14, v2
	v_cmpx_eq_u32_e64 s14, v2
	s_cbranch_execz .LBB64_15
; %bb.17:                               ;   in Loop: Header=BB64_16 Depth=1
	v_mov_b32_e32 v3, 1
	ds_store_b32 v87, v6 offset:20
	s_branch .LBB64_15
.LBB64_18:
	s_set_inst_prefetch_distance 0x2
	s_or_b32 exec_lo, exec_lo, s27
.LBB64_19:
	s_delay_alu instid0(SALU_CYCLE_1)
	s_or_b32 exec_lo, exec_lo, s26
.LBB64_20:
	s_delay_alu instid0(SALU_CYCLE_1)
	s_or_b32 exec_lo, exec_lo, s25
	s_mul_hi_u32 s6, s30, s24
	s_and_saveexec_b32 s4, vcc_lo
	s_cbranch_execz .LBB64_22
; %bb.21:
	v_mov_b32_e32 v1, -1
	ds_store_b32 v87, v1 offset:40
.LBB64_22:
	s_or_b32 exec_lo, exec_lo, s4
	s_load_b128 s[24:27], s[0:1], 0x54
	v_add_nc_u32_e32 v89, 10, v86
	s_waitcnt lgkmcnt(0)
	s_abs_i32 s27, s15
	s_add_i32 s34, s30, s6
	s_delay_alu instid0(VALU_DEP_1) | instskip(NEXT) | instid1(VALU_DEP_1)
	v_add_nc_u32_e32 v1, s33, v89
	v_cmp_gt_i32_e64 s4, s17, v1
	s_delay_alu instid0(VALU_DEP_1)
	s_and_saveexec_b32 s6, s4
	s_cbranch_execz .LBB64_30
; %bb.23:
	s_and_saveexec_b32 s30, s5
	s_cbranch_execz .LBB64_29
; %bb.24:
	v_mul_lo_u32 v1, v89, s23
	v_mov_b32_e32 v6, v80
	s_delay_alu instid0(VALU_DEP_2) | instskip(NEXT) | instid1(VALU_DEP_1)
	v_ashrrev_i32_e32 v2, 31, v1
	v_lshlrev_b64 v[4:5], 2, v[1:2]
	v_mul_lo_u32 v1, v80, s22
	s_lshl_b32 s22, s22, 5
	s_delay_alu instid0(VALU_DEP_2) | instskip(NEXT) | instid1(VALU_DEP_3)
	v_add_co_u32 v4, vcc_lo, s31, v4
	v_add_co_ci_u32_e32 v5, vcc_lo, s7, v5, vcc_lo
	s_mov_b32 s7, 0
	s_set_inst_prefetch_distance 0x1
	s_branch .LBB64_26
	.p2align	6
.LBB64_25:                              ;   in Loop: Header=BB64_26 Depth=1
	s_or_b32 exec_lo, exec_lo, s23
	v_add_nc_u32_e32 v6, 32, v6
	s_xor_b32 s23, vcc_lo, -1
	v_add_nc_u32_e32 v1, s22, v1
	s_delay_alu instid0(VALU_DEP_2) | instskip(NEXT) | instid1(VALU_DEP_1)
	v_cmp_le_i32_e64 s5, s18, v6
	s_or_b32 s5, s23, s5
	s_delay_alu instid0(SALU_CYCLE_1) | instskip(NEXT) | instid1(SALU_CYCLE_1)
	s_and_b32 s5, exec_lo, s5
	s_or_b32 s7, s5, s7
	s_delay_alu instid0(SALU_CYCLE_1)
	s_and_not1_b32 exec_lo, exec_lo, s7
	s_cbranch_execz .LBB64_28
.LBB64_26:                              ; =>This Inner Loop Header: Depth=1
	s_delay_alu instid0(VALU_DEP_3) | instskip(SKIP_1) | instid1(VALU_DEP_1)
	v_ashrrev_i32_e32 v2, 31, v1
	s_mov_b32 s23, exec_lo
	v_lshlrev_b64 v[7:8], 2, v[1:2]
	s_delay_alu instid0(VALU_DEP_1) | instskip(NEXT) | instid1(VALU_DEP_2)
	v_add_co_u32 v7, vcc_lo, v4, v7
	v_add_co_ci_u32_e32 v8, vcc_lo, v5, v8, vcc_lo
	global_load_b32 v2, v[7:8], off
	s_waitcnt vmcnt(0)
	v_cmp_ne_u32_e32 vcc_lo, s14, v2
	v_cmpx_eq_u32_e64 s14, v2
	s_cbranch_execz .LBB64_25
; %bb.27:                               ;   in Loop: Header=BB64_26 Depth=1
	v_mov_b32_e32 v3, 1
	ds_store_b32 v87, v6 offset:40
	s_branch .LBB64_25
.LBB64_28:
	s_set_inst_prefetch_distance 0x2
	s_or_b32 exec_lo, exec_lo, s7
.LBB64_29:
	s_delay_alu instid0(SALU_CYCLE_1)
	s_or_b32 exec_lo, exec_lo, s30
.LBB64_30:
	s_delay_alu instid0(SALU_CYCLE_1)
	s_or_b32 exec_lo, exec_lo, s6
	v_cmp_ne_u32_e32 vcc_lo, 0, v3
	s_load_b64 s[22:23], s[28:29], 0xc
	s_clause 0x1
	s_load_b128 s[28:31], s[0:1], 0x0
	s_load_b64 s[6:7], s[0:1], 0x18
	v_cndmask_b32_e64 v1, 0, 1, vcc_lo
	s_delay_alu instid0(VALU_DEP_1) | instskip(NEXT) | instid1(VALU_DEP_1)
	v_or_b32_dpp v1, v1, v1 row_shl:1 row_mask:0xf bank_mask:0xf bound_ctrl:1
	v_or_b32_dpp v1, v1, v1 row_shl:2 row_mask:0xf bank_mask:0xf bound_ctrl:1
	s_delay_alu instid0(VALU_DEP_1)
	v_or_b32_dpp v1, v1, v1 row_shl:4 row_mask:0xf bank_mask:0xf bound_ctrl:1
	s_waitcnt lgkmcnt(0)
	s_lshr_b32 s1, s22, 16
	s_and_b32 s0, s22, 0xffff
	s_and_b32 s18, s23, 0xffff
	s_mul_i32 s5, s1, s0
	v_or_b32_dpp v1, v1, v1 row_shl:8 row_mask:0xf bank_mask:0xf bound_ctrl:1
	s_bfe_i32 s5, s5, 0x180000
	s_delay_alu instid0(SALU_CYCLE_1) | instskip(SKIP_1) | instid1(VALU_DEP_1)
	s_mul_i32 s5, s5, s18
	s_mul_hi_u32 s18, s27, s34
	v_mov_b32_dpp v1, v1 row_share:0 row_mask:0xf bank_mask:0xf bound_ctrl:1
	s_add_i32 s5, s5, 31
	s_delay_alu instid0(SALU_CYCLE_1) | instskip(NEXT) | instid1(SALU_CYCLE_1)
	s_and_not1_b32 s5, s5, 31
	s_cmp_lg_u32 s5, 32
	s_delay_alu instid0(VALU_DEP_1) | instskip(NEXT) | instid1(VALU_DEP_1)
	v_permlanex16_b32 v2, v1, 0, 0 op_sel:[0,1]
	v_or_b32_e32 v2, v2, v1
	s_cbranch_scc0 .LBB64_39
; %bb.31:
	v_bfe_u32 v0, v0, 20, 10
	s_delay_alu instid0(VALU_DEP_1) | instskip(NEXT) | instid1(VALU_DEP_1)
	v_mad_u32_u24 v3, v0, s1, v86
	v_mad_u64_u32 v[0:1], null, v3, s0, v[80:81]
	v_mbcnt_lo_u32_b32 v1, -1, 0
	s_mov_b32 s0, exec_lo
	s_delay_alu instid0(VALU_DEP_2) | instskip(NEXT) | instid1(VALU_DEP_1)
	v_lshrrev_b32_e32 v3, 5, v0
	v_or_b32_e32 v3, v1, v3
	s_delay_alu instid0(VALU_DEP_1)
	v_cmpx_eq_u32_e32 0, v3
	s_cbranch_execz .LBB64_33
; %bb.32:
	v_mov_b32_e32 v3, 0
	ds_store_b32 v3, v2
.LBB64_33:
	s_or_b32 exec_lo, exec_lo, s0
	v_cmp_eq_u32_e32 vcc_lo, 0, v1
	v_cmp_lt_u32_e64 s0, 31, v0
	s_mov_b32 s1, 0
	s_waitcnt lgkmcnt(0)
	s_barrier
	buffer_gl0_inv
	s_and_b32 s5, s0, vcc_lo
	s_delay_alu instid0(SALU_CYCLE_1)
	s_and_saveexec_b32 s0, s5
	s_cbranch_execz .LBB64_38
; %bb.34:
	s_mov_b32 s5, exec_lo
.LBB64_35:                              ; =>This Inner Loop Header: Depth=1
	s_delay_alu instid0(SALU_CYCLE_1) | instskip(NEXT) | instid1(SALU_CYCLE_1)
	s_ctz_i32_b32 s22, s5
	v_readlane_b32 s23, v2, s22
	s_lshl_b32 s22, 1, s22
	s_delay_alu instid0(SALU_CYCLE_1) | instskip(NEXT) | instid1(VALU_DEP_1)
	s_and_not1_b32 s5, s5, s22
	s_or_b32 s1, s1, s23
	s_cmp_lg_u32 s5, 0
	s_cbranch_scc1 .LBB64_35
; %bb.36:
	v_mbcnt_lo_u32_b32 v0, exec_lo, 0
	s_mov_b32 s5, exec_lo
	s_delay_alu instid0(VALU_DEP_1)
	v_cmpx_eq_u32_e32 0, v0
	s_xor_b32 s5, exec_lo, s5
	s_cbranch_execz .LBB64_38
; %bb.37:
	v_dual_mov_b32 v0, 0 :: v_dual_mov_b32 v1, s1
	ds_or_b32 v0, v1
.LBB64_38:
	s_or_b32 exec_lo, exec_lo, s0
	v_mov_b32_e32 v0, 0
	s_waitcnt lgkmcnt(0)
	s_barrier
	buffer_gl0_inv
	ds_load_b32 v2, v0
	s_waitcnt lgkmcnt(0)
	s_barrier
	buffer_gl0_inv
.LBB64_39:
	s_ashr_i32 s0, s15, 31
	s_ashr_i32 s11, s11, 31
	s_mov_b32 s1, exec_lo
	v_cmpx_ne_u32_e32 0, v2
	s_cbranch_execz .LBB64_178
; %bb.40:
	v_lshlrev_b32_e32 v90, 5, v86
	v_and_b32_e32 v91, 15, v80
	s_mov_b32 s5, exec_lo
                                        ; implicit-def: $sgpr1
	s_delay_alu instid0(VALU_DEP_2) | instskip(NEXT) | instid1(VALU_DEP_1)
	v_add_nc_u32_e32 v92, v90, v80
	v_cmpx_le_i32_e64 s16, v92
	s_xor_b32 s5, exec_lo, s5
; %bb.41:
	v_and_b32_e32 v91, 15, v80
	s_mov_b32 s1, 0
                                        ; implicit-def: $vgpr92
; %bb.42:
	s_or_saveexec_b32 s5, s5
	v_dual_mov_b32 v15, s1 :: v_dual_mov_b32 v14, s1
	v_dual_mov_b32 v13, s1 :: v_dual_mov_b32 v12, s1
	;; [unrolled: 1-line block ×8, first 2 shown]
	s_lshl_b32 s1, s13, 5
	s_xor_b32 exec_lo, exec_lo, s5
	s_cbranch_execz .LBB64_167
; %bb.43:
	s_mul_i32 s13, s18, s12
	s_xor_b32 s0, s0, s11
	s_sub_i32 s11, s27, s13
	s_add_i32 s13, s18, 1
	s_sub_i32 s22, s11, s12
	s_cmp_ge_u32 s11, s12
	s_mul_hi_i32 s37, s25, s15
	s_cselect_b32 s13, s13, s18
	s_cselect_b32 s11, s22, s11
	s_add_i32 s18, s13, 1
	s_cmp_ge_u32 s11, s12
	s_mul_i32 s12, s14, s8
	s_cselect_b32 s11, s18, s13
	s_ashr_i32 s13, s12, 31
	s_xor_b32 s11, s11, s0
	s_mul_i32 s22, s1, s19
	s_sub_i32 s0, s11, s0
	s_mul_i32 s36, s25, s15
	s_mul_hi_i32 s35, s0, s24
	s_mul_i32 s34, s0, s24
	v_mul_u32_u24_e32 v0, 0x90, v91
	s_lshl_b64 s[42:43], s[34:35], 2
	s_mul_i32 s38, s20, 10
	s_add_u32 s0, s28, s42
	s_addc_u32 s8, s29, s43
	s_lshl_b64 s[44:45], s[12:13], 2
	s_mul_hi_i32 s13, s20, s33
	s_add_u32 s0, s0, s44
	s_addc_u32 s11, s8, s45
	s_ashr_i32 s23, s22, 31
	s_mul_i32 s12, s20, s33
	s_lshl_b64 s[46:47], s[22:23], 2
	s_mul_i32 s48, s19, 6
	s_add_u32 s8, s0, s46
	s_addc_u32 s11, s11, s47
	s_lshl_b64 s[22:23], s[36:37], 2
	s_lshl_b64 s[12:13], s[12:13], 3
	s_add_u32 s0, s30, s22
	s_addc_u32 s18, s31, s23
	s_add_u32 s14, s0, s12
	s_addc_u32 s18, s18, s13
	s_cmp_lt_i32 s33, s17
	s_movk_i32 s12, 0x900
	s_cselect_b32 s22, -1, 0
	s_add_i32 s0, s33, 1
	v_mad_u32_u24 v1, v86, s12, 0x100
	s_cmp_lt_i32 s0, s17
	v_mov_b32_e32 v94, 0
	s_cselect_b32 s23, -1, 0
	s_add_i32 s0, s33, 2
	v_add_nc_u32_e32 v95, v1, v0
	s_cmp_lt_i32 s0, s17
	v_lshlrev_b32_e32 v2, 1, v80
	s_cselect_b32 s24, -1, 0
	s_add_i32 s0, s33, 3
	s_lshl_b32 s25, s20, 2
	s_cmp_lt_i32 s0, s17
	s_mov_b32 s12, s19
	s_cselect_b32 s27, -1, 0
	s_add_i32 s0, s33, 4
	v_lshl_add_u32 v93, v80, 2, v1
	v_mov_b32_e32 v1, v94
	s_cmp_lt_i32 s0, s17
	v_lshl_add_u32 v81, v86, 6, v2
	s_cselect_b32 s30, -1, 0
	s_add_i32 s0, s33, 5
	s_lshl_b32 s31, s20, 3
	s_cmp_lt_i32 s0, s17
	v_dual_mov_b32 v3, v94 :: v_dual_lshlrev_b32 v2, 2, v92
	s_cselect_b32 s34, -1, 0
	s_add_i32 s0, s33, 6
	v_dual_mov_b32 v96, 0x100 :: v_dual_mov_b32 v5, v94
	s_cmp_lt_i32 s0, s17
	v_dual_mov_b32 v0, 0 :: v_dual_mov_b32 v7, v94
	s_cselect_b32 s35, -1, 0
	s_add_i32 s0, s33, 7
	v_mov_b32_e32 v4, v94
	s_cmp_lt_i32 s0, s17
	v_mov_b32_e32 v6, v94
	s_cselect_b32 s36, -1, 0
	s_add_i32 s0, s33, 8
	v_dual_mov_b32 v8, 0 :: v_dual_mov_b32 v9, v94
	s_cmp_lt_i32 s0, s17
	v_mov_b32_e32 v10, v94
	s_cselect_b32 s39, -1, 0
	s_add_i32 s0, s33, 9
	s_lshl_b32 s40, s20, 4
	s_cmp_lt_i32 s0, s17
	v_mov_b32_e32 v11, v94
	s_cselect_b32 s41, -1, 0
	s_add_i32 s0, s33, 10
	v_mov_b32_e32 v12, v94
	s_cmp_lt_i32 s0, s17
	v_mov_b32_e32 v13, v94
	s_cselect_b32 s17, -1, 0
	s_ashr_i32 s13, s19, 31
	v_mov_b32_e32 v14, v94
	s_lshl_b64 s[12:13], s[12:13], 2
	s_add_u32 s0, s42, s46
	s_addc_u32 s42, s43, s47
	s_add_u32 s0, s0, s44
	s_addc_u32 s42, s42, s45
	;; [unrolled: 2-line block ×3, first 2 shown]
	v_add_co_u32 v82, s0, s0, v2
	s_delay_alu instid0(VALU_DEP_1)
	v_add_co_ci_u32_e64 v83, null, s28, 0, s0
	v_mov_b32_e32 v2, v94
	v_mov_b32_e32 v15, v94
	s_mul_i32 s37, s20, 6
	s_mul_i32 s28, s20, 20
	;; [unrolled: 1-line block ×5, first 2 shown]
	s_lshl_b32 s20, s20, 1
	s_lshl_b32 s44, s19, 1
	s_mul_i32 s45, s19, 3
	s_lshl_b32 s46, s19, 2
	s_mul_i32 s47, s19, 5
	s_mul_i32 s49, s19, 7
	s_lshl_b32 s50, s19, 3
	s_mul_i32 s51, s19, 9
	s_mul_i32 s52, s19, 10
	;; [unrolled: 1-line block ×7, first 2 shown]
	s_lshl_b32 s58, s19, 4
	s_mul_i32 s59, s19, 17
	s_mul_i32 s60, s19, 18
	;; [unrolled: 1-line block ×15, first 2 shown]
	s_mov_b32 s19, 0
	s_branch .LBB64_45
.LBB64_44:                              ;   in Loop: Header=BB64_45 Depth=1
	s_or_b32 exec_lo, exec_lo, s0
	s_delay_alu instid0(VALU_DEP_1)
	v_perm_b32 v84, v84, v97, 0x7060302
	v_add_nc_u32_e32 v85, 0x400, v93
	v_add_nc_u32_e32 v97, 0x800, v93
	;; [unrolled: 1-line block ×3, first 2 shown]
	v_add_co_u32 v82, s0, 0x280, v82
	ds_store_2addr_b32 v85, v84, v94 offset0:120 offset1:156
	ds_store_2addr_b32 v85, v94, v94 offset0:192 offset1:228
	;; [unrolled: 1-line block ×3, first 2 shown]
	ds_load_b128 v[97:100], v95 offset:64
	ds_load_b128 v[101:104], v95 offset:80
	;; [unrolled: 1-line block ×6, first 2 shown]
	v_cmp_le_i32_e32 vcc_lo, s16, v92
	v_add_nc_u32_e32 v81, 0x140, v81
	v_add_co_ci_u32_e64 v83, s0, 0, v83, s0
	s_or_b32 s19, vcc_lo, s19
	s_waitcnt lgkmcnt(4)
	v_wmma_f32_16x16x16_bf16 v[8:15], v[56:63], v[97:104], v[8:15]
	ds_load_b128 v[56:59], v95 offset:160
	ds_load_b128 v[60:63], v95 offset:176
	v_wmma_f32_16x16x16_bf16 v[0:7], v[72:79], v[97:104], v[0:7]
	s_waitcnt lgkmcnt(4)
	v_wmma_f32_16x16x16_bf16 v[8:15], v[40:47], v[105:112], v[8:15]
	s_delay_alu instid0(VALU_DEP_2) | instskip(SKIP_1) | instid1(VALU_DEP_2)
	v_wmma_f32_16x16x16_bf16 v[0:7], v[64:71], v[105:112], v[0:7]
	s_waitcnt lgkmcnt(2)
	v_wmma_f32_16x16x16_bf16 v[8:15], v[24:31], v[113:120], v[8:15]
	s_delay_alu instid0(VALU_DEP_2) | instskip(SKIP_1) | instid1(VALU_DEP_2)
	v_wmma_f32_16x16x16_bf16 v[0:7], v[48:55], v[113:120], v[0:7]
	s_waitcnt lgkmcnt(0)
	v_wmma_f32_16x16x16_bf16 v[8:15], v[16:23], v[56:63], v[8:15]
	s_delay_alu instid0(VALU_DEP_2)
	v_wmma_f32_16x16x16_bf16 v[0:7], v[32:39], v[56:63], v[0:7]
	s_and_not1_b32 exec_lo, exec_lo, s19
	s_cbranch_execz .LBB64_166
.LBB64_45:                              ; =>This Inner Loop Header: Depth=1
	v_dual_mov_b32 v85, 0 :: v_dual_add_nc_u32 v16, s44, v92
	v_add_nc_u32_e32 v22, s46, v92
	v_add_nc_u32_e32 v18, s45, v92
	v_add_co_u32 v20, vcc_lo, v82, s12
	s_delay_alu instid0(VALU_DEP_4)
	v_ashrrev_i32_e32 v17, 31, v16
	v_add_co_ci_u32_e32 v21, vcc_lo, s13, v83, vcc_lo
	v_ashrrev_i32_e32 v23, 31, v22
	v_ashrrev_i32_e32 v19, 31, v18
	v_add_nc_u32_e32 v24, s47, v92
	v_lshlrev_b64 v[16:17], 2, v[16:17]
	s_clause 0x1
	global_load_b32 v38, v[82:83], off
	global_load_b32 v39, v[20:21], off
	v_lshlrev_b64 v[20:21], 2, v[22:23]
	v_add_nc_u32_e32 v22, s48, v92
	v_lshlrev_b64 v[18:19], 2, v[18:19]
	v_ashrrev_i32_e32 v25, 31, v24
	v_add_nc_u32_e32 v26, s49, v92
	v_add_co_u32 v16, vcc_lo, s8, v16
	v_ashrrev_i32_e32 v23, 31, v22
	v_add_co_ci_u32_e32 v17, vcc_lo, s11, v17, vcc_lo
	v_add_nc_u32_e32 v28, s50, v92
	v_add_co_u32 v18, vcc_lo, s8, v18
	v_lshlrev_b64 v[24:25], 2, v[24:25]
	v_ashrrev_i32_e32 v27, 31, v26
	v_add_co_ci_u32_e32 v19, vcc_lo, s11, v19, vcc_lo
	v_add_nc_u32_e32 v30, s51, v92
	v_add_co_u32 v20, vcc_lo, s8, v20
	v_lshlrev_b64 v[22:23], 2, v[22:23]
	v_ashrrev_i32_e32 v29, 31, v28
	v_add_co_ci_u32_e32 v21, vcc_lo, s11, v21, vcc_lo
	v_add_co_u32 v24, vcc_lo, s8, v24
	v_lshlrev_b64 v[26:27], 2, v[26:27]
	v_ashrrev_i32_e32 v31, 31, v30
	v_add_co_ci_u32_e32 v25, vcc_lo, s11, v25, vcc_lo
	v_add_co_u32 v22, vcc_lo, s8, v22
	v_lshlrev_b64 v[28:29], 2, v[28:29]
	v_add_co_ci_u32_e32 v23, vcc_lo, s11, v23, vcc_lo
	v_add_nc_u32_e32 v32, s52, v92
	v_add_co_u32 v26, vcc_lo, s8, v26
	v_lshlrev_b64 v[30:31], 2, v[30:31]
	v_add_co_ci_u32_e32 v27, vcc_lo, s11, v27, vcc_lo
	v_add_nc_u32_e32 v34, s53, v92
	v_add_co_u32 v28, vcc_lo, s8, v28
	v_ashrrev_i32_e32 v33, 31, v32
	v_add_co_ci_u32_e32 v29, vcc_lo, s11, v29, vcc_lo
	v_add_nc_u32_e32 v36, s54, v92
	v_add_co_u32 v30, vcc_lo, s8, v30
	v_ashrrev_i32_e32 v35, 31, v34
	v_add_co_ci_u32_e32 v31, vcc_lo, s11, v31, vcc_lo
	s_clause 0x7
	global_load_b32 v40, v[16:17], off
	global_load_b32 v41, v[18:19], off
	global_load_b32 v42, v[20:21], off
	global_load_b32 v43, v[24:25], off
	global_load_b32 v44, v[22:23], off
	global_load_b32 v45, v[26:27], off
	global_load_b32 v46, v[28:29], off
	global_load_b32 v47, v[30:31], off
	v_add_nc_u32_e32 v18, s55, v92
	v_lshlrev_b64 v[32:33], 2, v[32:33]
	v_ashrrev_i32_e32 v37, 31, v36
	v_add_nc_u32_e32 v24, s56, v92
	v_lshlrev_b64 v[16:17], 2, v[34:35]
	v_ashrrev_i32_e32 v19, 31, v18
	v_add_nc_u32_e32 v26, s57, v92
	v_add_co_u32 v20, vcc_lo, s8, v32
	v_lshlrev_b64 v[22:23], 2, v[36:37]
	v_ashrrev_i32_e32 v25, 31, v24
	v_add_co_ci_u32_e32 v21, vcc_lo, s11, v33, vcc_lo
	v_add_nc_u32_e32 v28, s58, v92
	v_add_co_u32 v16, vcc_lo, s8, v16
	v_lshlrev_b64 v[18:19], 2, v[18:19]
	v_ashrrev_i32_e32 v27, 31, v26
	v_add_co_ci_u32_e32 v17, vcc_lo, s11, v17, vcc_lo
	v_add_nc_u32_e32 v30, s59, v92
	v_add_co_u32 v22, vcc_lo, s8, v22
	v_lshlrev_b64 v[24:25], 2, v[24:25]
	v_ashrrev_i32_e32 v29, 31, v28
	v_add_co_ci_u32_e32 v23, vcc_lo, s11, v23, vcc_lo
	v_add_co_u32 v18, vcc_lo, s8, v18
	v_lshlrev_b64 v[26:27], 2, v[26:27]
	v_ashrrev_i32_e32 v31, 31, v30
	v_add_co_ci_u32_e32 v19, vcc_lo, s11, v19, vcc_lo
	v_add_co_u32 v24, vcc_lo, s8, v24
	v_lshlrev_b64 v[28:29], 2, v[28:29]
	v_add_co_ci_u32_e32 v25, vcc_lo, s11, v25, vcc_lo
	v_add_nc_u32_e32 v32, s60, v92
	v_add_co_u32 v26, vcc_lo, s8, v26
	v_lshlrev_b64 v[30:31], 2, v[30:31]
	v_add_co_ci_u32_e32 v27, vcc_lo, s11, v27, vcc_lo
	v_add_nc_u32_e32 v34, s61, v92
	v_add_co_u32 v28, vcc_lo, s8, v28
	v_ashrrev_i32_e32 v33, 31, v32
	v_add_co_ci_u32_e32 v29, vcc_lo, s11, v29, vcc_lo
	v_add_nc_u32_e32 v36, s62, v92
	v_add_co_u32 v30, vcc_lo, s8, v30
	v_ashrrev_i32_e32 v35, 31, v34
	v_add_co_ci_u32_e32 v31, vcc_lo, s11, v31, vcc_lo
	s_clause 0x7
	global_load_b32 v48, v[20:21], off
	global_load_b32 v49, v[16:17], off
	global_load_b32 v50, v[22:23], off
	global_load_b32 v51, v[18:19], off
	global_load_b32 v52, v[24:25], off
	global_load_b32 v53, v[26:27], off
	global_load_b32 v54, v[28:29], off
	global_load_b32 v55, v[30:31], off
	v_add_nc_u32_e32 v18, s63, v92
	v_lshlrev_b64 v[32:33], 2, v[32:33]
	v_ashrrev_i32_e32 v37, 31, v36
	v_add_nc_u32_e32 v24, s64, v92
	v_lshlrev_b64 v[16:17], 2, v[34:35]
	v_ashrrev_i32_e32 v19, 31, v18
	v_add_nc_u32_e32 v26, s65, v92
	v_add_co_u32 v20, vcc_lo, s8, v32
	v_lshlrev_b64 v[22:23], 2, v[36:37]
	;; [unrolled: 49-line block ×3, first 2 shown]
	v_ashrrev_i32_e32 v25, 31, v24
	v_add_co_ci_u32_e32 v21, vcc_lo, s11, v33, vcc_lo
	v_add_co_u32 v16, vcc_lo, s8, v16
	v_lshlrev_b64 v[18:19], 2, v[18:19]
	v_ashrrev_i32_e32 v27, 31, v26
	v_add_co_ci_u32_e32 v17, vcc_lo, s11, v17, vcc_lo
	v_add_co_u32 v22, vcc_lo, s8, v22
	v_lshlrev_b64 v[24:25], 2, v[24:25]
	v_add_co_ci_u32_e32 v23, vcc_lo, s11, v23, vcc_lo
	v_add_co_u32 v18, vcc_lo, s8, v18
	v_lshlrev_b64 v[26:27], 2, v[26:27]
	v_add_co_ci_u32_e32 v19, vcc_lo, s11, v19, vcc_lo
	v_add_co_u32 v24, vcc_lo, s8, v24
	v_add_co_ci_u32_e32 v25, vcc_lo, s11, v25, vcc_lo
	s_delay_alu instid0(VALU_DEP_4)
	v_add_co_u32 v26, vcc_lo, s8, v26
	v_add_co_ci_u32_e32 v27, vcc_lo, s11, v27, vcc_lo
	s_clause 0x5
	global_load_b32 v32, v[20:21], off
	global_load_b32 v33, v[16:17], off
	;; [unrolled: 1-line block ×6, first 2 shown]
	v_mov_b32_e32 v84, 0
	s_and_not1_b32 vcc_lo, exec_lo, s22
	s_waitcnt vmcnt(31)
	ds_store_b32 v93, v38 offset:64
	s_waitcnt vmcnt(30)
	ds_store_b32 v93, v39 offset:208
	;; [unrolled: 2-line block ×16, first 2 shown]
	ds_load_b128 v[56:59], v95 offset:64
	ds_load_b128 v[60:63], v95 offset:80
	ds_load_b128 v[40:43], v95 offset:96
	ds_load_b128 v[44:47], v95 offset:112
	ds_load_b128 v[24:27], v95 offset:128
	ds_load_b128 v[28:31], v95 offset:144
	ds_load_b128 v[16:19], v95 offset:160
	ds_load_b128 v[20:23], v95 offset:176
	s_waitcnt vmcnt(15)
	ds_store_b32 v93, v54 offset:64
	s_waitcnt vmcnt(14)
	ds_store_b32 v93, v55 offset:208
	;; [unrolled: 2-line block ×16, first 2 shown]
	ds_load_b128 v[72:75], v95 offset:64
	ds_load_b128 v[76:79], v95 offset:80
	;; [unrolled: 1-line block ×8, first 2 shown]
	s_cbranch_vccnz .LBB64_48
; %bb.46:                               ;   in Loop: Header=BB64_45 Depth=1
	ds_load_b32 v97, v96
	v_dual_mov_b32 v84, 0 :: v_dual_mov_b32 v85, 0
	s_waitcnt lgkmcnt(0)
	v_cmp_gt_i32_e32 vcc_lo, 0, v97
	s_cbranch_vccnz .LBB64_48
; %bb.47:                               ;   in Loop: Header=BB64_45 Depth=1
	v_mad_u64_u32 v[84:85], null, v97, s9, v[81:82]
	s_delay_alu instid0(VALU_DEP_1) | instskip(NEXT) | instid1(VALU_DEP_1)
	v_ashrrev_i32_e32 v85, 31, v84
	v_lshlrev_b64 v[84:85], 2, v[84:85]
	s_delay_alu instid0(VALU_DEP_1) | instskip(NEXT) | instid1(VALU_DEP_2)
	v_add_co_u32 v84, vcc_lo, s14, v84
	v_add_co_ci_u32_e32 v85, vcc_lo, s18, v85, vcc_lo
	global_load_b64 v[84:85], v[84:85], off
.LBB64_48:                              ;   in Loop: Header=BB64_45 Depth=1
	s_waitcnt vmcnt(0)
	v_and_b32_e32 v97, 0x7f800000, v84
	s_delay_alu instid0(VALU_DEP_1) | instskip(SKIP_1) | instid1(SALU_CYCLE_1)
	v_cmp_ne_u32_e32 vcc_lo, 0x7f800000, v97
                                        ; implicit-def: $vgpr97
	s_and_saveexec_b32 s0, vcc_lo
	s_xor_b32 s0, exec_lo, s0
; %bb.49:                               ;   in Loop: Header=BB64_45 Depth=1
	v_bfe_u32 v97, v84, 16, 1
	s_delay_alu instid0(VALU_DEP_1)
	v_add3_u32 v97, v84, v97, 0x7fff
; %bb.50:                               ;   in Loop: Header=BB64_45 Depth=1
	s_and_not1_saveexec_b32 s0, s0
; %bb.51:                               ;   in Loop: Header=BB64_45 Depth=1
	v_and_b32_e32 v97, 0xffff, v84
	v_or_b32_e32 v98, 0x10000, v84
	s_delay_alu instid0(VALU_DEP_2) | instskip(NEXT) | instid1(VALU_DEP_2)
	v_cmp_eq_u32_e32 vcc_lo, 0, v97
	v_cndmask_b32_e32 v97, v98, v84, vcc_lo
; %bb.52:                               ;   in Loop: Header=BB64_45 Depth=1
	s_or_b32 exec_lo, exec_lo, s0
	v_and_b32_e32 v84, 0x7f800000, v85
	s_delay_alu instid0(VALU_DEP_1) | instskip(SKIP_1) | instid1(SALU_CYCLE_1)
	v_cmp_ne_u32_e32 vcc_lo, 0x7f800000, v84
                                        ; implicit-def: $vgpr84
	s_and_saveexec_b32 s0, vcc_lo
	s_xor_b32 s0, exec_lo, s0
; %bb.53:                               ;   in Loop: Header=BB64_45 Depth=1
	v_bfe_u32 v84, v85, 16, 1
	s_delay_alu instid0(VALU_DEP_1)
	v_add3_u32 v84, v85, v84, 0x7fff
                                        ; implicit-def: $vgpr85
; %bb.54:                               ;   in Loop: Header=BB64_45 Depth=1
	s_and_not1_saveexec_b32 s0, s0
; %bb.55:                               ;   in Loop: Header=BB64_45 Depth=1
	v_and_b32_e32 v84, 0xffff, v85
	v_or_b32_e32 v98, 0x10000, v85
	s_delay_alu instid0(VALU_DEP_2) | instskip(NEXT) | instid1(VALU_DEP_2)
	v_cmp_eq_u32_e32 vcc_lo, 0, v84
	v_cndmask_b32_e32 v84, v98, v85, vcc_lo
; %bb.56:                               ;   in Loop: Header=BB64_45 Depth=1
	s_or_b32 exec_lo, exec_lo, s0
	s_delay_alu instid0(VALU_DEP_1)
	v_perm_b32 v97, v84, v97, 0x7060302
	v_dual_mov_b32 v85, 0 :: v_dual_mov_b32 v84, 0
	s_and_not1_b32 vcc_lo, exec_lo, s23
	ds_store_b32 v93, v97 offset:64
	s_cbranch_vccnz .LBB64_59
; %bb.57:                               ;   in Loop: Header=BB64_45 Depth=1
	ds_load_b32 v97, v96 offset:4
	v_dual_mov_b32 v84, 0 :: v_dual_mov_b32 v85, 0
	s_waitcnt lgkmcnt(0)
	v_cmp_gt_i32_e32 vcc_lo, 0, v97
	s_cbranch_vccnz .LBB64_59
; %bb.58:                               ;   in Loop: Header=BB64_45 Depth=1
	v_mul_lo_u32 v84, v97, s9
	s_delay_alu instid0(VALU_DEP_1) | instskip(NEXT) | instid1(VALU_DEP_1)
	v_add3_u32 v84, v84, s20, v81
	v_ashrrev_i32_e32 v85, 31, v84
	s_delay_alu instid0(VALU_DEP_1) | instskip(NEXT) | instid1(VALU_DEP_1)
	v_lshlrev_b64 v[84:85], 2, v[84:85]
	v_add_co_u32 v84, vcc_lo, s14, v84
	s_delay_alu instid0(VALU_DEP_2)
	v_add_co_ci_u32_e32 v85, vcc_lo, s18, v85, vcc_lo
	global_load_b64 v[84:85], v[84:85], off
.LBB64_59:                              ;   in Loop: Header=BB64_45 Depth=1
	s_waitcnt vmcnt(0)
	v_and_b32_e32 v97, 0x7f800000, v84
	s_delay_alu instid0(VALU_DEP_1) | instskip(SKIP_1) | instid1(SALU_CYCLE_1)
	v_cmp_ne_u32_e32 vcc_lo, 0x7f800000, v97
                                        ; implicit-def: $vgpr97
	s_and_saveexec_b32 s0, vcc_lo
	s_xor_b32 s0, exec_lo, s0
; %bb.60:                               ;   in Loop: Header=BB64_45 Depth=1
	v_bfe_u32 v97, v84, 16, 1
	s_delay_alu instid0(VALU_DEP_1)
	v_add3_u32 v97, v84, v97, 0x7fff
; %bb.61:                               ;   in Loop: Header=BB64_45 Depth=1
	s_and_not1_saveexec_b32 s0, s0
; %bb.62:                               ;   in Loop: Header=BB64_45 Depth=1
	v_and_b32_e32 v97, 0xffff, v84
	v_or_b32_e32 v98, 0x10000, v84
	s_delay_alu instid0(VALU_DEP_2) | instskip(NEXT) | instid1(VALU_DEP_2)
	v_cmp_eq_u32_e32 vcc_lo, 0, v97
	v_cndmask_b32_e32 v97, v98, v84, vcc_lo
; %bb.63:                               ;   in Loop: Header=BB64_45 Depth=1
	s_or_b32 exec_lo, exec_lo, s0
	v_and_b32_e32 v84, 0x7f800000, v85
	s_delay_alu instid0(VALU_DEP_1) | instskip(SKIP_1) | instid1(SALU_CYCLE_1)
	v_cmp_ne_u32_e32 vcc_lo, 0x7f800000, v84
                                        ; implicit-def: $vgpr84
	s_and_saveexec_b32 s0, vcc_lo
	s_xor_b32 s0, exec_lo, s0
; %bb.64:                               ;   in Loop: Header=BB64_45 Depth=1
	v_bfe_u32 v84, v85, 16, 1
	s_delay_alu instid0(VALU_DEP_1)
	v_add3_u32 v84, v85, v84, 0x7fff
                                        ; implicit-def: $vgpr85
; %bb.65:                               ;   in Loop: Header=BB64_45 Depth=1
	s_and_not1_saveexec_b32 s0, s0
; %bb.66:                               ;   in Loop: Header=BB64_45 Depth=1
	v_and_b32_e32 v84, 0xffff, v85
	v_or_b32_e32 v98, 0x10000, v85
	s_delay_alu instid0(VALU_DEP_2) | instskip(NEXT) | instid1(VALU_DEP_2)
	v_cmp_eq_u32_e32 vcc_lo, 0, v84
	v_cndmask_b32_e32 v84, v98, v85, vcc_lo
; %bb.67:                               ;   in Loop: Header=BB64_45 Depth=1
	s_or_b32 exec_lo, exec_lo, s0
	s_delay_alu instid0(VALU_DEP_1)
	v_perm_b32 v97, v84, v97, 0x7060302
	v_dual_mov_b32 v85, 0 :: v_dual_mov_b32 v84, 0
	s_and_not1_b32 vcc_lo, exec_lo, s24
	ds_store_b32 v93, v97 offset:208
	s_cbranch_vccnz .LBB64_70
; %bb.68:                               ;   in Loop: Header=BB64_45 Depth=1
	ds_load_b32 v97, v96 offset:8
	v_dual_mov_b32 v84, 0 :: v_dual_mov_b32 v85, 0
	s_waitcnt lgkmcnt(0)
	v_cmp_gt_i32_e32 vcc_lo, 0, v97
	s_cbranch_vccnz .LBB64_70
; %bb.69:                               ;   in Loop: Header=BB64_45 Depth=1
	v_mul_lo_u32 v84, v97, s9
	s_delay_alu instid0(VALU_DEP_1) | instskip(NEXT) | instid1(VALU_DEP_1)
	v_add3_u32 v84, v84, s25, v81
	v_ashrrev_i32_e32 v85, 31, v84
	s_delay_alu instid0(VALU_DEP_1) | instskip(NEXT) | instid1(VALU_DEP_1)
	v_lshlrev_b64 v[84:85], 2, v[84:85]
	v_add_co_u32 v84, vcc_lo, s14, v84
	s_delay_alu instid0(VALU_DEP_2)
	v_add_co_ci_u32_e32 v85, vcc_lo, s18, v85, vcc_lo
	global_load_b64 v[84:85], v[84:85], off
.LBB64_70:                              ;   in Loop: Header=BB64_45 Depth=1
	s_waitcnt vmcnt(0)
	v_and_b32_e32 v97, 0x7f800000, v84
	s_delay_alu instid0(VALU_DEP_1) | instskip(SKIP_1) | instid1(SALU_CYCLE_1)
	v_cmp_ne_u32_e32 vcc_lo, 0x7f800000, v97
                                        ; implicit-def: $vgpr97
	s_and_saveexec_b32 s0, vcc_lo
	s_xor_b32 s0, exec_lo, s0
; %bb.71:                               ;   in Loop: Header=BB64_45 Depth=1
	v_bfe_u32 v97, v84, 16, 1
	s_delay_alu instid0(VALU_DEP_1)
	v_add3_u32 v97, v84, v97, 0x7fff
; %bb.72:                               ;   in Loop: Header=BB64_45 Depth=1
	s_and_not1_saveexec_b32 s0, s0
; %bb.73:                               ;   in Loop: Header=BB64_45 Depth=1
	v_and_b32_e32 v97, 0xffff, v84
	v_or_b32_e32 v98, 0x10000, v84
	s_delay_alu instid0(VALU_DEP_2) | instskip(NEXT) | instid1(VALU_DEP_2)
	v_cmp_eq_u32_e32 vcc_lo, 0, v97
	v_cndmask_b32_e32 v97, v98, v84, vcc_lo
; %bb.74:                               ;   in Loop: Header=BB64_45 Depth=1
	s_or_b32 exec_lo, exec_lo, s0
	v_and_b32_e32 v84, 0x7f800000, v85
	s_delay_alu instid0(VALU_DEP_1) | instskip(SKIP_1) | instid1(SALU_CYCLE_1)
	v_cmp_ne_u32_e32 vcc_lo, 0x7f800000, v84
                                        ; implicit-def: $vgpr84
	s_and_saveexec_b32 s0, vcc_lo
	s_xor_b32 s0, exec_lo, s0
; %bb.75:                               ;   in Loop: Header=BB64_45 Depth=1
	v_bfe_u32 v84, v85, 16, 1
	s_delay_alu instid0(VALU_DEP_1)
	v_add3_u32 v84, v85, v84, 0x7fff
                                        ; implicit-def: $vgpr85
; %bb.76:                               ;   in Loop: Header=BB64_45 Depth=1
	s_and_not1_saveexec_b32 s0, s0
; %bb.77:                               ;   in Loop: Header=BB64_45 Depth=1
	v_and_b32_e32 v84, 0xffff, v85
	v_or_b32_e32 v98, 0x10000, v85
	s_delay_alu instid0(VALU_DEP_2) | instskip(NEXT) | instid1(VALU_DEP_2)
	v_cmp_eq_u32_e32 vcc_lo, 0, v84
	v_cndmask_b32_e32 v84, v98, v85, vcc_lo
; %bb.78:                               ;   in Loop: Header=BB64_45 Depth=1
	s_or_b32 exec_lo, exec_lo, s0
	s_delay_alu instid0(VALU_DEP_1)
	v_perm_b32 v97, v84, v97, 0x7060302
	v_dual_mov_b32 v85, 0 :: v_dual_mov_b32 v84, 0
	s_and_not1_b32 vcc_lo, exec_lo, s27
	ds_store_b32 v93, v97 offset:352
	s_cbranch_vccnz .LBB64_81
; %bb.79:                               ;   in Loop: Header=BB64_45 Depth=1
	ds_load_b32 v97, v96 offset:12
	v_dual_mov_b32 v84, 0 :: v_dual_mov_b32 v85, 0
	s_waitcnt lgkmcnt(0)
	v_cmp_gt_i32_e32 vcc_lo, 0, v97
	s_cbranch_vccnz .LBB64_81
; %bb.80:                               ;   in Loop: Header=BB64_45 Depth=1
	v_mul_lo_u32 v84, v97, s9
	s_delay_alu instid0(VALU_DEP_1) | instskip(NEXT) | instid1(VALU_DEP_1)
	v_add3_u32 v84, v84, s37, v81
	v_ashrrev_i32_e32 v85, 31, v84
	s_delay_alu instid0(VALU_DEP_1) | instskip(NEXT) | instid1(VALU_DEP_1)
	v_lshlrev_b64 v[84:85], 2, v[84:85]
	v_add_co_u32 v84, vcc_lo, s14, v84
	s_delay_alu instid0(VALU_DEP_2)
	v_add_co_ci_u32_e32 v85, vcc_lo, s18, v85, vcc_lo
	global_load_b64 v[84:85], v[84:85], off
.LBB64_81:                              ;   in Loop: Header=BB64_45 Depth=1
	s_waitcnt vmcnt(0)
	v_and_b32_e32 v97, 0x7f800000, v84
	s_delay_alu instid0(VALU_DEP_1) | instskip(SKIP_1) | instid1(SALU_CYCLE_1)
	v_cmp_ne_u32_e32 vcc_lo, 0x7f800000, v97
                                        ; implicit-def: $vgpr97
	s_and_saveexec_b32 s0, vcc_lo
	s_xor_b32 s0, exec_lo, s0
; %bb.82:                               ;   in Loop: Header=BB64_45 Depth=1
	v_bfe_u32 v97, v84, 16, 1
	s_delay_alu instid0(VALU_DEP_1)
	v_add3_u32 v97, v84, v97, 0x7fff
; %bb.83:                               ;   in Loop: Header=BB64_45 Depth=1
	s_and_not1_saveexec_b32 s0, s0
; %bb.84:                               ;   in Loop: Header=BB64_45 Depth=1
	v_and_b32_e32 v97, 0xffff, v84
	v_or_b32_e32 v98, 0x10000, v84
	s_delay_alu instid0(VALU_DEP_2) | instskip(NEXT) | instid1(VALU_DEP_2)
	v_cmp_eq_u32_e32 vcc_lo, 0, v97
	v_cndmask_b32_e32 v97, v98, v84, vcc_lo
; %bb.85:                               ;   in Loop: Header=BB64_45 Depth=1
	s_or_b32 exec_lo, exec_lo, s0
	v_and_b32_e32 v84, 0x7f800000, v85
	s_delay_alu instid0(VALU_DEP_1) | instskip(SKIP_1) | instid1(SALU_CYCLE_1)
	v_cmp_ne_u32_e32 vcc_lo, 0x7f800000, v84
                                        ; implicit-def: $vgpr84
	s_and_saveexec_b32 s0, vcc_lo
	s_xor_b32 s0, exec_lo, s0
; %bb.86:                               ;   in Loop: Header=BB64_45 Depth=1
	v_bfe_u32 v84, v85, 16, 1
	s_delay_alu instid0(VALU_DEP_1)
	v_add3_u32 v84, v85, v84, 0x7fff
                                        ; implicit-def: $vgpr85
; %bb.87:                               ;   in Loop: Header=BB64_45 Depth=1
	s_and_not1_saveexec_b32 s0, s0
; %bb.88:                               ;   in Loop: Header=BB64_45 Depth=1
	v_and_b32_e32 v84, 0xffff, v85
	v_or_b32_e32 v98, 0x10000, v85
	s_delay_alu instid0(VALU_DEP_2) | instskip(NEXT) | instid1(VALU_DEP_2)
	v_cmp_eq_u32_e32 vcc_lo, 0, v84
	v_cndmask_b32_e32 v84, v98, v85, vcc_lo
; %bb.89:                               ;   in Loop: Header=BB64_45 Depth=1
	s_or_b32 exec_lo, exec_lo, s0
	s_delay_alu instid0(VALU_DEP_1)
	v_perm_b32 v97, v84, v97, 0x7060302
	v_dual_mov_b32 v85, 0 :: v_dual_mov_b32 v84, 0
	s_and_not1_b32 vcc_lo, exec_lo, s30
	ds_store_b32 v93, v97 offset:496
	s_cbranch_vccnz .LBB64_92
; %bb.90:                               ;   in Loop: Header=BB64_45 Depth=1
	ds_load_b32 v97, v96 offset:16
	v_dual_mov_b32 v84, 0 :: v_dual_mov_b32 v85, 0
	s_waitcnt lgkmcnt(0)
	v_cmp_gt_i32_e32 vcc_lo, 0, v97
	s_cbranch_vccnz .LBB64_92
; %bb.91:                               ;   in Loop: Header=BB64_45 Depth=1
	v_mul_lo_u32 v84, v97, s9
	s_delay_alu instid0(VALU_DEP_1) | instskip(NEXT) | instid1(VALU_DEP_1)
	v_add3_u32 v84, v84, s31, v81
	v_ashrrev_i32_e32 v85, 31, v84
	s_delay_alu instid0(VALU_DEP_1) | instskip(NEXT) | instid1(VALU_DEP_1)
	v_lshlrev_b64 v[84:85], 2, v[84:85]
	v_add_co_u32 v84, vcc_lo, s14, v84
	s_delay_alu instid0(VALU_DEP_2)
	v_add_co_ci_u32_e32 v85, vcc_lo, s18, v85, vcc_lo
	global_load_b64 v[84:85], v[84:85], off
.LBB64_92:                              ;   in Loop: Header=BB64_45 Depth=1
	s_waitcnt vmcnt(0)
	v_and_b32_e32 v97, 0x7f800000, v84
	s_delay_alu instid0(VALU_DEP_1) | instskip(SKIP_1) | instid1(SALU_CYCLE_1)
	v_cmp_ne_u32_e32 vcc_lo, 0x7f800000, v97
                                        ; implicit-def: $vgpr97
	s_and_saveexec_b32 s0, vcc_lo
	s_xor_b32 s0, exec_lo, s0
; %bb.93:                               ;   in Loop: Header=BB64_45 Depth=1
	v_bfe_u32 v97, v84, 16, 1
	s_delay_alu instid0(VALU_DEP_1)
	v_add3_u32 v97, v84, v97, 0x7fff
; %bb.94:                               ;   in Loop: Header=BB64_45 Depth=1
	s_and_not1_saveexec_b32 s0, s0
; %bb.95:                               ;   in Loop: Header=BB64_45 Depth=1
	v_and_b32_e32 v97, 0xffff, v84
	v_or_b32_e32 v98, 0x10000, v84
	s_delay_alu instid0(VALU_DEP_2) | instskip(NEXT) | instid1(VALU_DEP_2)
	v_cmp_eq_u32_e32 vcc_lo, 0, v97
	v_cndmask_b32_e32 v97, v98, v84, vcc_lo
; %bb.96:                               ;   in Loop: Header=BB64_45 Depth=1
	s_or_b32 exec_lo, exec_lo, s0
	v_and_b32_e32 v84, 0x7f800000, v85
	s_delay_alu instid0(VALU_DEP_1) | instskip(SKIP_1) | instid1(SALU_CYCLE_1)
	v_cmp_ne_u32_e32 vcc_lo, 0x7f800000, v84
                                        ; implicit-def: $vgpr84
	s_and_saveexec_b32 s0, vcc_lo
	s_xor_b32 s0, exec_lo, s0
; %bb.97:                               ;   in Loop: Header=BB64_45 Depth=1
	v_bfe_u32 v84, v85, 16, 1
	s_delay_alu instid0(VALU_DEP_1)
	v_add3_u32 v84, v85, v84, 0x7fff
                                        ; implicit-def: $vgpr85
; %bb.98:                               ;   in Loop: Header=BB64_45 Depth=1
	s_and_not1_saveexec_b32 s0, s0
; %bb.99:                               ;   in Loop: Header=BB64_45 Depth=1
	v_and_b32_e32 v84, 0xffff, v85
	v_or_b32_e32 v98, 0x10000, v85
	s_delay_alu instid0(VALU_DEP_2) | instskip(NEXT) | instid1(VALU_DEP_2)
	v_cmp_eq_u32_e32 vcc_lo, 0, v84
	v_cndmask_b32_e32 v84, v98, v85, vcc_lo
; %bb.100:                              ;   in Loop: Header=BB64_45 Depth=1
	s_or_b32 exec_lo, exec_lo, s0
	s_delay_alu instid0(VALU_DEP_1)
	v_perm_b32 v97, v84, v97, 0x7060302
	v_dual_mov_b32 v85, 0 :: v_dual_mov_b32 v84, 0
	s_and_not1_b32 vcc_lo, exec_lo, s34
	ds_store_b32 v93, v97 offset:640
	s_cbranch_vccnz .LBB64_103
; %bb.101:                              ;   in Loop: Header=BB64_45 Depth=1
	ds_load_b32 v97, v96 offset:20
	v_dual_mov_b32 v84, 0 :: v_dual_mov_b32 v85, 0
	s_waitcnt lgkmcnt(0)
	v_cmp_gt_i32_e32 vcc_lo, 0, v97
	s_cbranch_vccnz .LBB64_103
; %bb.102:                              ;   in Loop: Header=BB64_45 Depth=1
	v_mul_lo_u32 v84, v97, s9
	s_delay_alu instid0(VALU_DEP_1) | instskip(NEXT) | instid1(VALU_DEP_1)
	v_add3_u32 v84, v84, s38, v81
	v_ashrrev_i32_e32 v85, 31, v84
	s_delay_alu instid0(VALU_DEP_1) | instskip(NEXT) | instid1(VALU_DEP_1)
	v_lshlrev_b64 v[84:85], 2, v[84:85]
	v_add_co_u32 v84, vcc_lo, s14, v84
	s_delay_alu instid0(VALU_DEP_2)
	v_add_co_ci_u32_e32 v85, vcc_lo, s18, v85, vcc_lo
	global_load_b64 v[84:85], v[84:85], off
.LBB64_103:                             ;   in Loop: Header=BB64_45 Depth=1
	s_waitcnt vmcnt(0)
	v_and_b32_e32 v97, 0x7f800000, v84
	s_delay_alu instid0(VALU_DEP_1) | instskip(SKIP_1) | instid1(SALU_CYCLE_1)
	v_cmp_ne_u32_e32 vcc_lo, 0x7f800000, v97
                                        ; implicit-def: $vgpr97
	s_and_saveexec_b32 s0, vcc_lo
	s_xor_b32 s0, exec_lo, s0
; %bb.104:                              ;   in Loop: Header=BB64_45 Depth=1
	v_bfe_u32 v97, v84, 16, 1
	s_delay_alu instid0(VALU_DEP_1)
	v_add3_u32 v97, v84, v97, 0x7fff
; %bb.105:                              ;   in Loop: Header=BB64_45 Depth=1
	s_and_not1_saveexec_b32 s0, s0
; %bb.106:                              ;   in Loop: Header=BB64_45 Depth=1
	v_and_b32_e32 v97, 0xffff, v84
	v_or_b32_e32 v98, 0x10000, v84
	s_delay_alu instid0(VALU_DEP_2) | instskip(NEXT) | instid1(VALU_DEP_2)
	v_cmp_eq_u32_e32 vcc_lo, 0, v97
	v_cndmask_b32_e32 v97, v98, v84, vcc_lo
; %bb.107:                              ;   in Loop: Header=BB64_45 Depth=1
	s_or_b32 exec_lo, exec_lo, s0
	v_and_b32_e32 v84, 0x7f800000, v85
	s_delay_alu instid0(VALU_DEP_1) | instskip(SKIP_1) | instid1(SALU_CYCLE_1)
	v_cmp_ne_u32_e32 vcc_lo, 0x7f800000, v84
                                        ; implicit-def: $vgpr84
	s_and_saveexec_b32 s0, vcc_lo
	s_xor_b32 s0, exec_lo, s0
; %bb.108:                              ;   in Loop: Header=BB64_45 Depth=1
	v_bfe_u32 v84, v85, 16, 1
	s_delay_alu instid0(VALU_DEP_1)
	v_add3_u32 v84, v85, v84, 0x7fff
                                        ; implicit-def: $vgpr85
; %bb.109:                              ;   in Loop: Header=BB64_45 Depth=1
	s_and_not1_saveexec_b32 s0, s0
; %bb.110:                              ;   in Loop: Header=BB64_45 Depth=1
	v_and_b32_e32 v84, 0xffff, v85
	v_or_b32_e32 v98, 0x10000, v85
	s_delay_alu instid0(VALU_DEP_2) | instskip(NEXT) | instid1(VALU_DEP_2)
	v_cmp_eq_u32_e32 vcc_lo, 0, v84
	v_cndmask_b32_e32 v84, v98, v85, vcc_lo
; %bb.111:                              ;   in Loop: Header=BB64_45 Depth=1
	s_or_b32 exec_lo, exec_lo, s0
	s_delay_alu instid0(VALU_DEP_1)
	v_perm_b32 v97, v84, v97, 0x7060302
	v_dual_mov_b32 v85, 0 :: v_dual_mov_b32 v84, 0
	s_and_not1_b32 vcc_lo, exec_lo, s35
	ds_store_b32 v93, v97 offset:784
	s_cbranch_vccnz .LBB64_114
; %bb.112:                              ;   in Loop: Header=BB64_45 Depth=1
	ds_load_b32 v97, v96 offset:24
	v_dual_mov_b32 v84, 0 :: v_dual_mov_b32 v85, 0
	s_waitcnt lgkmcnt(0)
	v_cmp_gt_i32_e32 vcc_lo, 0, v97
	s_cbranch_vccnz .LBB64_114
; %bb.113:                              ;   in Loop: Header=BB64_45 Depth=1
	v_mul_lo_u32 v84, v97, s9
	s_delay_alu instid0(VALU_DEP_1) | instskip(NEXT) | instid1(VALU_DEP_1)
	v_add3_u32 v84, v84, s43, v81
	v_ashrrev_i32_e32 v85, 31, v84
	s_delay_alu instid0(VALU_DEP_1) | instskip(NEXT) | instid1(VALU_DEP_1)
	v_lshlrev_b64 v[84:85], 2, v[84:85]
	v_add_co_u32 v84, vcc_lo, s14, v84
	s_delay_alu instid0(VALU_DEP_2)
	v_add_co_ci_u32_e32 v85, vcc_lo, s18, v85, vcc_lo
	global_load_b64 v[84:85], v[84:85], off
.LBB64_114:                             ;   in Loop: Header=BB64_45 Depth=1
	s_waitcnt vmcnt(0)
	v_and_b32_e32 v97, 0x7f800000, v84
	s_delay_alu instid0(VALU_DEP_1) | instskip(SKIP_1) | instid1(SALU_CYCLE_1)
	v_cmp_ne_u32_e32 vcc_lo, 0x7f800000, v97
                                        ; implicit-def: $vgpr97
	s_and_saveexec_b32 s0, vcc_lo
	s_xor_b32 s0, exec_lo, s0
; %bb.115:                              ;   in Loop: Header=BB64_45 Depth=1
	v_bfe_u32 v97, v84, 16, 1
	s_delay_alu instid0(VALU_DEP_1)
	v_add3_u32 v97, v84, v97, 0x7fff
; %bb.116:                              ;   in Loop: Header=BB64_45 Depth=1
	s_and_not1_saveexec_b32 s0, s0
; %bb.117:                              ;   in Loop: Header=BB64_45 Depth=1
	v_and_b32_e32 v97, 0xffff, v84
	v_or_b32_e32 v98, 0x10000, v84
	s_delay_alu instid0(VALU_DEP_2) | instskip(NEXT) | instid1(VALU_DEP_2)
	v_cmp_eq_u32_e32 vcc_lo, 0, v97
	v_cndmask_b32_e32 v97, v98, v84, vcc_lo
; %bb.118:                              ;   in Loop: Header=BB64_45 Depth=1
	s_or_b32 exec_lo, exec_lo, s0
	v_and_b32_e32 v84, 0x7f800000, v85
	s_delay_alu instid0(VALU_DEP_1) | instskip(SKIP_1) | instid1(SALU_CYCLE_1)
	v_cmp_ne_u32_e32 vcc_lo, 0x7f800000, v84
                                        ; implicit-def: $vgpr84
	s_and_saveexec_b32 s0, vcc_lo
	s_xor_b32 s0, exec_lo, s0
; %bb.119:                              ;   in Loop: Header=BB64_45 Depth=1
	v_bfe_u32 v84, v85, 16, 1
	s_delay_alu instid0(VALU_DEP_1)
	v_add3_u32 v84, v85, v84, 0x7fff
                                        ; implicit-def: $vgpr85
; %bb.120:                              ;   in Loop: Header=BB64_45 Depth=1
	s_and_not1_saveexec_b32 s0, s0
; %bb.121:                              ;   in Loop: Header=BB64_45 Depth=1
	v_and_b32_e32 v84, 0xffff, v85
	v_or_b32_e32 v98, 0x10000, v85
	s_delay_alu instid0(VALU_DEP_2) | instskip(NEXT) | instid1(VALU_DEP_2)
	v_cmp_eq_u32_e32 vcc_lo, 0, v84
	v_cndmask_b32_e32 v84, v98, v85, vcc_lo
; %bb.122:                              ;   in Loop: Header=BB64_45 Depth=1
	s_or_b32 exec_lo, exec_lo, s0
	s_delay_alu instid0(VALU_DEP_1)
	v_perm_b32 v97, v84, v97, 0x7060302
	v_dual_mov_b32 v85, 0 :: v_dual_mov_b32 v84, 0
	s_and_not1_b32 vcc_lo, exec_lo, s36
	ds_store_b32 v93, v97 offset:928
	s_cbranch_vccnz .LBB64_125
; %bb.123:                              ;   in Loop: Header=BB64_45 Depth=1
	ds_load_b32 v97, v96 offset:28
	v_dual_mov_b32 v84, 0 :: v_dual_mov_b32 v85, 0
	s_waitcnt lgkmcnt(0)
	v_cmp_gt_i32_e32 vcc_lo, 0, v97
	s_cbranch_vccnz .LBB64_125
; %bb.124:                              ;   in Loop: Header=BB64_45 Depth=1
	v_mul_lo_u32 v84, v97, s9
	s_delay_alu instid0(VALU_DEP_1) | instskip(NEXT) | instid1(VALU_DEP_1)
	v_add3_u32 v84, v84, s42, v81
	v_ashrrev_i32_e32 v85, 31, v84
	s_delay_alu instid0(VALU_DEP_1) | instskip(NEXT) | instid1(VALU_DEP_1)
	v_lshlrev_b64 v[84:85], 2, v[84:85]
	v_add_co_u32 v84, vcc_lo, s14, v84
	s_delay_alu instid0(VALU_DEP_2)
	v_add_co_ci_u32_e32 v85, vcc_lo, s18, v85, vcc_lo
	global_load_b64 v[84:85], v[84:85], off
.LBB64_125:                             ;   in Loop: Header=BB64_45 Depth=1
	s_waitcnt vmcnt(0)
	v_and_b32_e32 v97, 0x7f800000, v84
	s_delay_alu instid0(VALU_DEP_1) | instskip(SKIP_1) | instid1(SALU_CYCLE_1)
	v_cmp_ne_u32_e32 vcc_lo, 0x7f800000, v97
                                        ; implicit-def: $vgpr97
	s_and_saveexec_b32 s0, vcc_lo
	s_xor_b32 s0, exec_lo, s0
; %bb.126:                              ;   in Loop: Header=BB64_45 Depth=1
	v_bfe_u32 v97, v84, 16, 1
	s_delay_alu instid0(VALU_DEP_1)
	v_add3_u32 v97, v84, v97, 0x7fff
; %bb.127:                              ;   in Loop: Header=BB64_45 Depth=1
	s_and_not1_saveexec_b32 s0, s0
; %bb.128:                              ;   in Loop: Header=BB64_45 Depth=1
	v_and_b32_e32 v97, 0xffff, v84
	v_or_b32_e32 v98, 0x10000, v84
	s_delay_alu instid0(VALU_DEP_2) | instskip(NEXT) | instid1(VALU_DEP_2)
	v_cmp_eq_u32_e32 vcc_lo, 0, v97
	v_cndmask_b32_e32 v97, v98, v84, vcc_lo
; %bb.129:                              ;   in Loop: Header=BB64_45 Depth=1
	s_or_b32 exec_lo, exec_lo, s0
	v_and_b32_e32 v84, 0x7f800000, v85
	s_delay_alu instid0(VALU_DEP_1) | instskip(SKIP_1) | instid1(SALU_CYCLE_1)
	v_cmp_ne_u32_e32 vcc_lo, 0x7f800000, v84
                                        ; implicit-def: $vgpr84
	s_and_saveexec_b32 s0, vcc_lo
	s_xor_b32 s0, exec_lo, s0
; %bb.130:                              ;   in Loop: Header=BB64_45 Depth=1
	v_bfe_u32 v84, v85, 16, 1
	s_delay_alu instid0(VALU_DEP_1)
	v_add3_u32 v84, v85, v84, 0x7fff
                                        ; implicit-def: $vgpr85
; %bb.131:                              ;   in Loop: Header=BB64_45 Depth=1
	s_and_not1_saveexec_b32 s0, s0
; %bb.132:                              ;   in Loop: Header=BB64_45 Depth=1
	v_and_b32_e32 v84, 0xffff, v85
	v_or_b32_e32 v98, 0x10000, v85
	s_delay_alu instid0(VALU_DEP_2) | instskip(NEXT) | instid1(VALU_DEP_2)
	v_cmp_eq_u32_e32 vcc_lo, 0, v84
	v_cndmask_b32_e32 v84, v98, v85, vcc_lo
; %bb.133:                              ;   in Loop: Header=BB64_45 Depth=1
	s_or_b32 exec_lo, exec_lo, s0
	s_delay_alu instid0(VALU_DEP_1)
	v_perm_b32 v97, v84, v97, 0x7060302
	v_dual_mov_b32 v85, 0 :: v_dual_mov_b32 v84, 0
	s_and_not1_b32 vcc_lo, exec_lo, s39
	ds_store_b32 v93, v97 offset:1072
	s_cbranch_vccnz .LBB64_136
; %bb.134:                              ;   in Loop: Header=BB64_45 Depth=1
	ds_load_b32 v97, v96 offset:32
	v_dual_mov_b32 v84, 0 :: v_dual_mov_b32 v85, 0
	s_waitcnt lgkmcnt(0)
	v_cmp_gt_i32_e32 vcc_lo, 0, v97
	s_cbranch_vccnz .LBB64_136
; %bb.135:                              ;   in Loop: Header=BB64_45 Depth=1
	v_mul_lo_u32 v84, v97, s9
	s_delay_alu instid0(VALU_DEP_1) | instskip(NEXT) | instid1(VALU_DEP_1)
	v_add3_u32 v84, v84, s40, v81
	v_ashrrev_i32_e32 v85, 31, v84
	s_delay_alu instid0(VALU_DEP_1) | instskip(NEXT) | instid1(VALU_DEP_1)
	v_lshlrev_b64 v[84:85], 2, v[84:85]
	v_add_co_u32 v84, vcc_lo, s14, v84
	s_delay_alu instid0(VALU_DEP_2)
	v_add_co_ci_u32_e32 v85, vcc_lo, s18, v85, vcc_lo
	global_load_b64 v[84:85], v[84:85], off
.LBB64_136:                             ;   in Loop: Header=BB64_45 Depth=1
	s_waitcnt vmcnt(0)
	v_and_b32_e32 v97, 0x7f800000, v84
	s_delay_alu instid0(VALU_DEP_1) | instskip(SKIP_1) | instid1(SALU_CYCLE_1)
	v_cmp_ne_u32_e32 vcc_lo, 0x7f800000, v97
                                        ; implicit-def: $vgpr97
	s_and_saveexec_b32 s0, vcc_lo
	s_xor_b32 s0, exec_lo, s0
; %bb.137:                              ;   in Loop: Header=BB64_45 Depth=1
	v_bfe_u32 v97, v84, 16, 1
	s_delay_alu instid0(VALU_DEP_1)
	v_add3_u32 v97, v84, v97, 0x7fff
; %bb.138:                              ;   in Loop: Header=BB64_45 Depth=1
	s_and_not1_saveexec_b32 s0, s0
; %bb.139:                              ;   in Loop: Header=BB64_45 Depth=1
	v_and_b32_e32 v97, 0xffff, v84
	v_or_b32_e32 v98, 0x10000, v84
	s_delay_alu instid0(VALU_DEP_2) | instskip(NEXT) | instid1(VALU_DEP_2)
	v_cmp_eq_u32_e32 vcc_lo, 0, v97
	v_cndmask_b32_e32 v97, v98, v84, vcc_lo
; %bb.140:                              ;   in Loop: Header=BB64_45 Depth=1
	s_or_b32 exec_lo, exec_lo, s0
	v_and_b32_e32 v84, 0x7f800000, v85
	s_delay_alu instid0(VALU_DEP_1) | instskip(SKIP_1) | instid1(SALU_CYCLE_1)
	v_cmp_ne_u32_e32 vcc_lo, 0x7f800000, v84
                                        ; implicit-def: $vgpr84
	s_and_saveexec_b32 s0, vcc_lo
	s_xor_b32 s0, exec_lo, s0
; %bb.141:                              ;   in Loop: Header=BB64_45 Depth=1
	v_bfe_u32 v84, v85, 16, 1
	s_delay_alu instid0(VALU_DEP_1)
	v_add3_u32 v84, v85, v84, 0x7fff
                                        ; implicit-def: $vgpr85
; %bb.142:                              ;   in Loop: Header=BB64_45 Depth=1
	s_and_not1_saveexec_b32 s0, s0
; %bb.143:                              ;   in Loop: Header=BB64_45 Depth=1
	v_and_b32_e32 v84, 0xffff, v85
	v_or_b32_e32 v98, 0x10000, v85
	s_delay_alu instid0(VALU_DEP_2) | instskip(NEXT) | instid1(VALU_DEP_2)
	v_cmp_eq_u32_e32 vcc_lo, 0, v84
	v_cndmask_b32_e32 v84, v98, v85, vcc_lo
; %bb.144:                              ;   in Loop: Header=BB64_45 Depth=1
	s_or_b32 exec_lo, exec_lo, s0
	s_delay_alu instid0(VALU_DEP_1)
	v_perm_b32 v97, v84, v97, 0x7060302
	v_dual_mov_b32 v85, 0 :: v_dual_mov_b32 v84, 0
	s_and_not1_b32 vcc_lo, exec_lo, s41
	ds_store_b32 v93, v97 offset:1216
	s_cbranch_vccnz .LBB64_147
; %bb.145:                              ;   in Loop: Header=BB64_45 Depth=1
	ds_load_b32 v97, v96 offset:36
	v_dual_mov_b32 v84, 0 :: v_dual_mov_b32 v85, 0
	s_waitcnt lgkmcnt(0)
	v_cmp_gt_i32_e32 vcc_lo, 0, v97
	s_cbranch_vccnz .LBB64_147
; %bb.146:                              ;   in Loop: Header=BB64_45 Depth=1
	v_mul_lo_u32 v84, v97, s9
	s_delay_alu instid0(VALU_DEP_1) | instskip(NEXT) | instid1(VALU_DEP_1)
	v_add3_u32 v84, v84, s29, v81
	v_ashrrev_i32_e32 v85, 31, v84
	s_delay_alu instid0(VALU_DEP_1) | instskip(NEXT) | instid1(VALU_DEP_1)
	v_lshlrev_b64 v[84:85], 2, v[84:85]
	v_add_co_u32 v84, vcc_lo, s14, v84
	s_delay_alu instid0(VALU_DEP_2)
	v_add_co_ci_u32_e32 v85, vcc_lo, s18, v85, vcc_lo
	global_load_b64 v[84:85], v[84:85], off
.LBB64_147:                             ;   in Loop: Header=BB64_45 Depth=1
	s_waitcnt vmcnt(0)
	v_and_b32_e32 v97, 0x7f800000, v84
	s_delay_alu instid0(VALU_DEP_1) | instskip(SKIP_1) | instid1(SALU_CYCLE_1)
	v_cmp_ne_u32_e32 vcc_lo, 0x7f800000, v97
                                        ; implicit-def: $vgpr97
	s_and_saveexec_b32 s0, vcc_lo
	s_xor_b32 s0, exec_lo, s0
; %bb.148:                              ;   in Loop: Header=BB64_45 Depth=1
	v_bfe_u32 v97, v84, 16, 1
	s_delay_alu instid0(VALU_DEP_1)
	v_add3_u32 v97, v84, v97, 0x7fff
; %bb.149:                              ;   in Loop: Header=BB64_45 Depth=1
	s_and_not1_saveexec_b32 s0, s0
; %bb.150:                              ;   in Loop: Header=BB64_45 Depth=1
	v_and_b32_e32 v97, 0xffff, v84
	v_or_b32_e32 v98, 0x10000, v84
	s_delay_alu instid0(VALU_DEP_2) | instskip(NEXT) | instid1(VALU_DEP_2)
	v_cmp_eq_u32_e32 vcc_lo, 0, v97
	v_cndmask_b32_e32 v97, v98, v84, vcc_lo
; %bb.151:                              ;   in Loop: Header=BB64_45 Depth=1
	s_or_b32 exec_lo, exec_lo, s0
	v_and_b32_e32 v84, 0x7f800000, v85
	s_delay_alu instid0(VALU_DEP_1) | instskip(SKIP_1) | instid1(SALU_CYCLE_1)
	v_cmp_ne_u32_e32 vcc_lo, 0x7f800000, v84
                                        ; implicit-def: $vgpr84
	s_and_saveexec_b32 s0, vcc_lo
	s_xor_b32 s0, exec_lo, s0
; %bb.152:                              ;   in Loop: Header=BB64_45 Depth=1
	v_bfe_u32 v84, v85, 16, 1
	s_delay_alu instid0(VALU_DEP_1)
	v_add3_u32 v84, v85, v84, 0x7fff
                                        ; implicit-def: $vgpr85
; %bb.153:                              ;   in Loop: Header=BB64_45 Depth=1
	s_and_not1_saveexec_b32 s0, s0
; %bb.154:                              ;   in Loop: Header=BB64_45 Depth=1
	v_and_b32_e32 v84, 0xffff, v85
	v_or_b32_e32 v98, 0x10000, v85
	s_delay_alu instid0(VALU_DEP_2) | instskip(NEXT) | instid1(VALU_DEP_2)
	v_cmp_eq_u32_e32 vcc_lo, 0, v84
	v_cndmask_b32_e32 v84, v98, v85, vcc_lo
; %bb.155:                              ;   in Loop: Header=BB64_45 Depth=1
	s_or_b32 exec_lo, exec_lo, s0
	s_delay_alu instid0(VALU_DEP_1)
	v_perm_b32 v97, v84, v97, 0x7060302
	v_dual_mov_b32 v85, 0 :: v_dual_mov_b32 v84, 0
	s_and_not1_b32 vcc_lo, exec_lo, s17
	ds_store_b32 v93, v97 offset:1360
	s_cbranch_vccnz .LBB64_158
; %bb.156:                              ;   in Loop: Header=BB64_45 Depth=1
	ds_load_b32 v97, v96 offset:40
	v_dual_mov_b32 v84, 0 :: v_dual_mov_b32 v85, 0
	s_waitcnt lgkmcnt(0)
	v_cmp_gt_i32_e32 vcc_lo, 0, v97
	s_cbranch_vccnz .LBB64_158
; %bb.157:                              ;   in Loop: Header=BB64_45 Depth=1
	v_mul_lo_u32 v84, v97, s9
	s_delay_alu instid0(VALU_DEP_1) | instskip(NEXT) | instid1(VALU_DEP_1)
	v_add3_u32 v84, v84, s28, v81
	v_ashrrev_i32_e32 v85, 31, v84
	s_delay_alu instid0(VALU_DEP_1) | instskip(NEXT) | instid1(VALU_DEP_1)
	v_lshlrev_b64 v[84:85], 2, v[84:85]
	v_add_co_u32 v84, vcc_lo, s14, v84
	s_delay_alu instid0(VALU_DEP_2)
	v_add_co_ci_u32_e32 v85, vcc_lo, s18, v85, vcc_lo
	global_load_b64 v[84:85], v[84:85], off
.LBB64_158:                             ;   in Loop: Header=BB64_45 Depth=1
	s_waitcnt vmcnt(0)
	v_and_b32_e32 v97, 0x7f800000, v84
	s_delay_alu instid0(VALU_DEP_1) | instskip(SKIP_1) | instid1(SALU_CYCLE_1)
	v_cmp_ne_u32_e32 vcc_lo, 0x7f800000, v97
                                        ; implicit-def: $vgpr97
	s_and_saveexec_b32 s0, vcc_lo
	s_xor_b32 s0, exec_lo, s0
; %bb.159:                              ;   in Loop: Header=BB64_45 Depth=1
	v_bfe_u32 v97, v84, 16, 1
	s_delay_alu instid0(VALU_DEP_1)
	v_add3_u32 v97, v84, v97, 0x7fff
; %bb.160:                              ;   in Loop: Header=BB64_45 Depth=1
	s_and_not1_saveexec_b32 s0, s0
; %bb.161:                              ;   in Loop: Header=BB64_45 Depth=1
	v_and_b32_e32 v97, 0xffff, v84
	v_or_b32_e32 v98, 0x10000, v84
	s_delay_alu instid0(VALU_DEP_2) | instskip(NEXT) | instid1(VALU_DEP_2)
	v_cmp_eq_u32_e32 vcc_lo, 0, v97
	v_cndmask_b32_e32 v97, v98, v84, vcc_lo
; %bb.162:                              ;   in Loop: Header=BB64_45 Depth=1
	s_or_b32 exec_lo, exec_lo, s0
	v_and_b32_e32 v84, 0x7f800000, v85
	s_delay_alu instid0(VALU_DEP_1) | instskip(SKIP_1) | instid1(SALU_CYCLE_1)
	v_cmp_ne_u32_e32 vcc_lo, 0x7f800000, v84
                                        ; implicit-def: $vgpr84
	s_and_saveexec_b32 s0, vcc_lo
	s_xor_b32 s0, exec_lo, s0
; %bb.163:                              ;   in Loop: Header=BB64_45 Depth=1
	v_bfe_u32 v84, v85, 16, 1
	s_delay_alu instid0(VALU_DEP_1)
	v_add3_u32 v84, v85, v84, 0x7fff
                                        ; implicit-def: $vgpr85
; %bb.164:                              ;   in Loop: Header=BB64_45 Depth=1
	s_and_not1_saveexec_b32 s0, s0
	s_cbranch_execz .LBB64_44
; %bb.165:                              ;   in Loop: Header=BB64_45 Depth=1
	v_and_b32_e32 v84, 0xffff, v85
	v_or_b32_e32 v98, 0x10000, v85
	s_delay_alu instid0(VALU_DEP_2) | instskip(NEXT) | instid1(VALU_DEP_2)
	v_cmp_eq_u32_e32 vcc_lo, 0, v84
	v_cndmask_b32_e32 v84, v98, v85, vcc_lo
	s_branch .LBB64_44
.LBB64_166:
	s_or_b32 exec_lo, exec_lo, s19
.LBB64_167:
	s_delay_alu instid0(SALU_CYCLE_1) | instskip(SKIP_4) | instid1(VALU_DEP_3)
	s_or_b32 exec_lo, exec_lo, s5
	v_lshrrev_b32_e32 v16, 2, v80
	s_movk_i32 s0, 0x290
	v_lshlrev_b32_e32 v17, 2, v90
	v_mad_u32_u24 v18, v91, s0, 0x100
	v_and_b32_e32 v16, 0xfc, v16
	s_barrier
	buffer_gl0_inv
	s_mov_b32 s0, exec_lo
	v_add3_u32 v17, v18, v16, v17
	v_lshl_add_u32 v16, v80, 2, 0x100
	ds_store_2addr_b32 v17, v8, v9 offset0:16 offset1:18
	ds_store_2addr_b32 v17, v10, v11 offset0:20 offset1:22
	;; [unrolled: 1-line block ×7, first 2 shown]
	v_mad_u32_u24 v4, 0x290, v86, v16
	ds_store_2addr_b32 v17, v6, v7 offset0:44 offset1:46
	v_mov_b32_e32 v7, -1
	s_waitcnt lgkmcnt(0)
	s_barrier
	buffer_gl0_inv
	ds_load_2addr_b32 v[2:3], v4 offset0:16 offset1:48
	ds_load_2addr_b32 v[0:1], v4 offset0:80 offset1:112
	ds_load_b32 v5, v4 offset:576
	v_cmpx_gt_u32_e32 11, v86
	s_cbranch_execz .LBB64_169
; %bb.168:
	ds_load_b32 v7, v87
.LBB64_169:
	s_or_b32 exec_lo, exec_lo, s0
	s_mul_hi_i32 s9, s26, s15
	s_mul_i32 s8, s26, s15
	s_mul_hi_i32 s13, s33, s21
	s_lshl_b64 s[8:9], s[8:9], 2
	s_mul_i32 s12, s33, s21
	s_waitcnt lgkmcnt(0)
	v_cmp_lt_i32_e32 vcc_lo, -1, v7
	s_add_u32 s0, s6, s8
	v_mul_u32_u24_e32 v6, 0x290, v86
	s_addc_u32 s5, s7, s9
	s_lshl_b64 s[6:7], s[12:13], 2
	v_add_nc_u32_e32 v4, s1, v80
	s_add_u32 s0, s0, s6
	s_addc_u32 s1, s5, s7
	s_and_b32 s5, vcc_lo, s2
	s_delay_alu instid0(SALU_CYCLE_1)
	s_and_saveexec_b32 s2, s5
	s_cbranch_execz .LBB64_171
; %bb.170:
	v_add_f32_e32 v2, 0, v2
	v_mul_lo_u32 v7, v7, s10
	v_mul_lo_u32 v8, v86, s21
	s_delay_alu instid0(VALU_DEP_3) | instskip(NEXT) | instid1(VALU_DEP_1)
	v_dual_add_f32 v2, v2, v3 :: v_dual_mov_b32 v3, 0
	v_add_f32_e32 v0, v2, v0
	s_delay_alu instid0(VALU_DEP_3) | instskip(NEXT) | instid1(VALU_DEP_2)
	v_add3_u32 v2, v4, v8, v7
	v_add_f32_e32 v7, v0, v1
	s_delay_alu instid0(VALU_DEP_2) | instskip(NEXT) | instid1(VALU_DEP_2)
	v_lshlrev_b64 v[0:1], 2, v[2:3]
	v_add_f32_e32 v2, v7, v5
	s_delay_alu instid0(VALU_DEP_2) | instskip(NEXT) | instid1(VALU_DEP_3)
	v_add_co_u32 v0, vcc_lo, s0, v0
	v_add_co_ci_u32_e32 v1, vcc_lo, s1, v1, vcc_lo
	global_store_b32 v[0:1], v2, off
.LBB64_171:
	s_or_b32 exec_lo, exec_lo, s2
	v_add_nc_u32_e32 v5, v6, v16
	s_mov_b32 s2, exec_lo
	s_delay_alu instid0(VALU_DEP_1)
	v_dual_mov_b32 v7, -1 :: v_dual_add_nc_u32 v0, 0xc00, v5
	ds_load_2addr_b32 v[2:3], v0 offset0:68 offset1:100
	ds_load_2addr_b32 v[0:1], v0 offset0:132 offset1:164
	ds_load_b32 v6, v5 offset:3856
	v_cmpx_gt_u32_e32 6, v86
	s_cbranch_execz .LBB64_173
; %bb.172:
	ds_load_b32 v7, v87 offset:20
.LBB64_173:
	s_or_b32 exec_lo, exec_lo, s2
	s_waitcnt lgkmcnt(0)
	v_cmp_lt_i32_e32 vcc_lo, -1, v7
	s_and_b32 s3, vcc_lo, s3
	s_delay_alu instid0(SALU_CYCLE_1)
	s_and_saveexec_b32 s2, s3
	s_cbranch_execz .LBB64_175
; %bb.174:
	v_add_f32_e32 v2, 0, v2
	v_mul_lo_u32 v7, v7, s10
	v_mul_lo_u32 v8, v88, s21
	s_delay_alu instid0(VALU_DEP_3) | instskip(NEXT) | instid1(VALU_DEP_1)
	v_dual_add_f32 v2, v2, v3 :: v_dual_mov_b32 v3, 0
	v_add_f32_e32 v0, v2, v0
	s_delay_alu instid0(VALU_DEP_3) | instskip(NEXT) | instid1(VALU_DEP_2)
	v_add3_u32 v2, v4, v8, v7
	v_add_f32_e32 v7, v0, v1
	s_delay_alu instid0(VALU_DEP_2) | instskip(NEXT) | instid1(VALU_DEP_2)
	v_lshlrev_b64 v[0:1], 2, v[2:3]
	v_add_f32_e32 v2, v7, v6
	s_delay_alu instid0(VALU_DEP_2) | instskip(NEXT) | instid1(VALU_DEP_3)
	v_add_co_u32 v0, vcc_lo, s0, v0
	v_add_co_ci_u32_e32 v1, vcc_lo, s1, v1, vcc_lo
	global_store_b32 v[0:1], v2, off
.LBB64_175:
	s_or_b32 exec_lo, exec_lo, s2
	v_cmp_eq_u32_e32 vcc_lo, 0, v86
	s_and_b32 exec_lo, exec_lo, vcc_lo
	s_cbranch_execz .LBB64_178
; %bb.176:
	v_mov_b32_e32 v0, 0x100
	ds_load_b32 v0, v0 offset:40
	s_waitcnt lgkmcnt(0)
	v_readfirstlane_b32 s2, v0
	s_delay_alu instid0(VALU_DEP_1) | instskip(SKIP_1) | instid1(SALU_CYCLE_1)
	s_cmp_gt_i32 s2, -1
	s_cselect_b32 s2, -1, 0
	s_and_b32 s2, s2, s4
	s_delay_alu instid0(SALU_CYCLE_1)
	s_and_b32 exec_lo, exec_lo, s2
	s_cbranch_execz .LBB64_178
; %bb.177:
	v_add_nc_u32_e32 v3, 0x1800, v5
	v_mul_lo_u32 v0, v0, s10
	ds_load_2addr_b32 v[1:2], v3 offset0:120 offset1:152
	ds_load_2addr_b32 v[6:7], v3 offset0:184 offset1:216
	ds_load_b32 v3, v5 offset:7136
	v_mul_lo_u32 v5, v89, s21
	s_delay_alu instid0(VALU_DEP_1) | instskip(SKIP_2) | instid1(VALU_DEP_1)
	v_add3_u32 v0, v4, v5, v0
	s_waitcnt lgkmcnt(2)
	v_add_f32_e32 v1, 0, v1
	v_add_f32_e32 v2, v1, v2
	s_waitcnt lgkmcnt(1)
	s_delay_alu instid0(VALU_DEP_1) | instskip(NEXT) | instid1(VALU_DEP_1)
	v_dual_add_f32 v2, v2, v6 :: v_dual_mov_b32 v1, 0
	v_add_f32_e32 v2, v2, v7
	s_delay_alu instid0(VALU_DEP_2) | instskip(SKIP_1) | instid1(VALU_DEP_2)
	v_lshlrev_b64 v[0:1], 2, v[0:1]
	s_waitcnt lgkmcnt(0)
	v_add_f32_e32 v2, v2, v3
	s_delay_alu instid0(VALU_DEP_2) | instskip(NEXT) | instid1(VALU_DEP_3)
	v_add_co_u32 v0, vcc_lo, s0, v0
	v_add_co_ci_u32_e32 v1, vcc_lo, s1, v1, vcc_lo
	global_store_b32 v[0:1], v2, off
.LBB64_178:
	s_nop 0
	s_sendmsg sendmsg(MSG_DEALLOC_VGPRS)
	s_endpgm
	.section	.rodata,"a",@progbits
	.p2align	6, 0x0
	.amdhsa_kernel _ZL9mul_mat_fI15__hip_bfloat162Li32ELi11ELi5ELb1EEvPKT_PKfPKiPfiiiiiiiiiiiiiiii
		.amdhsa_group_segment_fixed_size 256
		.amdhsa_private_segment_fixed_size 0
		.amdhsa_kernarg_size 352
		.amdhsa_user_sgpr_count 13
		.amdhsa_user_sgpr_dispatch_ptr 0
		.amdhsa_user_sgpr_queue_ptr 0
		.amdhsa_user_sgpr_kernarg_segment_ptr 1
		.amdhsa_user_sgpr_dispatch_id 0
		.amdhsa_user_sgpr_private_segment_size 0
		.amdhsa_wavefront_size32 1
		.amdhsa_uses_dynamic_stack 0
		.amdhsa_enable_private_segment 0
		.amdhsa_system_sgpr_workgroup_id_x 1
		.amdhsa_system_sgpr_workgroup_id_y 1
		.amdhsa_system_sgpr_workgroup_id_z 1
		.amdhsa_system_sgpr_workgroup_info 0
		.amdhsa_system_vgpr_workitem_id 2
		.amdhsa_next_free_vgpr 121
		.amdhsa_next_free_sgpr 74
		.amdhsa_reserve_vcc 1
		.amdhsa_float_round_mode_32 0
		.amdhsa_float_round_mode_16_64 0
		.amdhsa_float_denorm_mode_32 3
		.amdhsa_float_denorm_mode_16_64 3
		.amdhsa_dx10_clamp 1
		.amdhsa_ieee_mode 1
		.amdhsa_fp16_overflow 0
		.amdhsa_workgroup_processor_mode 1
		.amdhsa_memory_ordered 1
		.amdhsa_forward_progress 0
		.amdhsa_shared_vgpr_count 0
		.amdhsa_exception_fp_ieee_invalid_op 0
		.amdhsa_exception_fp_denorm_src 0
		.amdhsa_exception_fp_ieee_div_zero 0
		.amdhsa_exception_fp_ieee_overflow 0
		.amdhsa_exception_fp_ieee_underflow 0
		.amdhsa_exception_fp_ieee_inexact 0
		.amdhsa_exception_int_div_zero 0
	.end_amdhsa_kernel
	.section	.text._ZL9mul_mat_fI15__hip_bfloat162Li32ELi11ELi5ELb1EEvPKT_PKfPKiPfiiiiiiiiiiiiiiii,"axG",@progbits,_ZL9mul_mat_fI15__hip_bfloat162Li32ELi11ELi5ELb1EEvPKT_PKfPKiPfiiiiiiiiiiiiiiii,comdat
.Lfunc_end64:
	.size	_ZL9mul_mat_fI15__hip_bfloat162Li32ELi11ELi5ELb1EEvPKT_PKfPKiPfiiiiiiiiiiiiiiii, .Lfunc_end64-_ZL9mul_mat_fI15__hip_bfloat162Li32ELi11ELi5ELb1EEvPKT_PKfPKiPfiiiiiiiiiiiiiiii
                                        ; -- End function
	.section	.AMDGPU.csdata,"",@progbits
; Kernel info:
; codeLenInByte = 8612
; NumSgprs: 76
; NumVgprs: 121
; ScratchSize: 0
; MemoryBound: 0
; FloatMode: 240
; IeeeMode: 1
; LDSByteSize: 256 bytes/workgroup (compile time only)
; SGPRBlocks: 9
; VGPRBlocks: 15
; NumSGPRsForWavesPerEU: 76
; NumVGPRsForWavesPerEU: 121
; Occupancy: 10
; WaveLimiterHint : 0
; COMPUTE_PGM_RSRC2:SCRATCH_EN: 0
; COMPUTE_PGM_RSRC2:USER_SGPR: 13
; COMPUTE_PGM_RSRC2:TRAP_HANDLER: 0
; COMPUTE_PGM_RSRC2:TGID_X_EN: 1
; COMPUTE_PGM_RSRC2:TGID_Y_EN: 1
; COMPUTE_PGM_RSRC2:TGID_Z_EN: 1
; COMPUTE_PGM_RSRC2:TIDIG_COMP_CNT: 2
	.section	.text._ZL9mul_mat_fI15__hip_bfloat162Li32ELi11ELi5ELb0EEvPKT_PKfPKiPfiiiiiiiiiiiiiiii,"axG",@progbits,_ZL9mul_mat_fI15__hip_bfloat162Li32ELi11ELi5ELb0EEvPKT_PKfPKiPfiiiiiiiiiiiiiiii,comdat
	.globl	_ZL9mul_mat_fI15__hip_bfloat162Li32ELi11ELi5ELb0EEvPKT_PKfPKiPfiiiiiiiiiiiiiiii ; -- Begin function _ZL9mul_mat_fI15__hip_bfloat162Li32ELi11ELi5ELb0EEvPKT_PKfPKiPfiiiiiiiiiiiiiiii
	.p2align	8
	.type	_ZL9mul_mat_fI15__hip_bfloat162Li32ELi11ELi5ELb0EEvPKT_PKfPKiPfiiiiiiiiiiiiiiii,@function
_ZL9mul_mat_fI15__hip_bfloat162Li32ELi11ELi5ELb0EEvPKT_PKfPKiPfiiiiiiiiiiiiiiii: ; @_ZL9mul_mat_fI15__hip_bfloat162Li32ELi11ELi5ELb0EEvPKT_PKfPKiPfiiiiiiiiiiiiiiii
; %bb.0:
	s_clause 0x2
	s_load_b256 s[4:11], s[0:1], 0x40
	s_load_b32 s22, s[0:1], 0x20
	s_load_b128 s[16:19], s[0:1], 0x2c
	v_bfe_u32 v86, v0, 10, 10
	v_and_b32_e32 v87, 0x3ff, v0
	s_mov_b32 s12, 0
	s_ashr_i32 s24, s15, 31
	s_waitcnt lgkmcnt(0)
	s_mov_b32 s19, exec_lo
	v_lshlrev_b32_e32 v88, 5, v86
	v_and_b32_e32 v89, 15, v87
	s_delay_alu instid0(VALU_DEP_2) | instskip(SKIP_4) | instid1(VALU_DEP_2)
	v_add_nc_u32_e32 v90, v88, v87
	s_abs_i32 s2, s4
	s_abs_i32 s23, s8
	v_cvt_f32_u32_e32 v1, s2
	v_cvt_f32_u32_e32 v2, s23
	v_rcp_iflag_f32_e32 v1, v1
	s_delay_alu instid0(VALU_DEP_1) | instskip(SKIP_2) | instid1(VALU_DEP_1)
	v_rcp_iflag_f32_e32 v2, v2
	s_waitcnt_depctr 0xfff
	v_dual_mul_f32 v0, 0x4f7ffffe, v1 :: v_dual_mul_f32 v1, 0x4f7ffffe, v2
	v_cvt_u32_f32_e32 v0, v0
	s_delay_alu instid0(VALU_DEP_2) | instskip(NEXT) | instid1(VALU_DEP_2)
	v_cvt_u32_f32_e32 v1, v1
	v_readfirstlane_b32 s25, v0
	s_delay_alu instid0(VALU_DEP_2)
	v_readfirstlane_b32 s3, v1
	v_cmpx_le_i32_e64 s22, v90
	s_xor_b32 s19, exec_lo, s19
; %bb.1:
	v_and_b32_e32 v89, 15, v87
                                        ; implicit-def: $vgpr90
; %bb.2:
	s_or_saveexec_b32 s19, s19
	s_load_b64 s[20:21], s[0:1], 0x18
	v_dual_mov_b32 v15, s12 :: v_dual_mov_b32 v14, s12
	v_dual_mov_b32 v13, s12 :: v_dual_mov_b32 v12, s12
	;; [unrolled: 1-line block ×8, first 2 shown]
	s_lshl_b32 s12, s13, 5
	s_xor_b32 exec_lo, exec_lo, s19
	s_cbranch_execz .LBB65_94
; %bb.3:
	s_sub_i32 s13, 0, s2
	s_sub_i32 s26, 0, s23
	s_mul_i32 s13, s13, s25
	s_mul_i32 s26, s26, s3
	s_mul_hi_u32 s13, s25, s13
	s_mul_hi_u32 s26, s3, s26
	s_abs_i32 s27, s14
	s_add_i32 s25, s25, s13
	s_add_i32 s26, s3, s26
	s_mul_hi_u32 s3, s27, s25
	s_ashr_i32 s25, s14, 31
	s_ashr_i32 s4, s4, 31
	s_mul_i32 s28, s3, s2
	s_xor_b32 s4, s25, s4
	s_sub_i32 s25, s27, s28
	s_abs_i32 s13, s15
	s_ashr_i32 s8, s8, 31
	s_add_i32 s27, s3, 1
	s_sub_i32 s28, s25, s2
	s_cmp_ge_u32 s25, s2
	s_mul_hi_u32 s26, s13, s26
	s_cselect_b32 s3, s27, s3
	s_cselect_b32 s25, s28, s25
	s_add_i32 s27, s3, 1
	s_cmp_ge_u32 s25, s2
	s_mul_i32 s28, s14, s6
	s_cselect_b32 s25, s27, s3
	s_load_b128 s[0:3], s[0:1], 0x0
	s_xor_b32 s25, s25, s4
	s_xor_b32 s8, s24, s8
	s_sub_i32 s4, s25, s4
	s_mul_i32 s25, s26, s23
	s_add_i32 s24, s26, 1
	s_sub_i32 s13, s13, s25
	s_mul_i32 s4, s4, s5
	s_sub_i32 s25, s13, s23
	s_cmp_ge_u32 s13, s23
	s_mul_hi_i32 s27, s10, s15
	s_cselect_b32 s24, s24, s26
	s_cselect_b32 s13, s25, s13
	s_add_i32 s25, s24, 1
	s_cmp_ge_u32 s13, s23
	s_mul_i32 s26, s10, s15
	s_cselect_b32 s13, s25, s24
	s_ashr_i32 s5, s4, 31
	s_xor_b32 s13, s13, s8
	v_mad_u32_u24 v0, 0x900, v86, 0
	s_sub_i32 s8, s13, s8
	v_dual_mov_b32 v92, 0 :: v_dual_lshlrev_b32 v1, 2, v87
	s_mul_hi_i32 s25, s8, s9
	s_mul_i32 s24, s8, s9
	s_mul_i32 s8, s12, s16
	s_lshl_b64 s[24:25], s[24:25], 2
	v_mul_u32_u24_e32 v2, 0x90, v89
	s_waitcnt lgkmcnt(0)
	s_add_u32 s13, s0, s24
	s_addc_u32 s23, s1, s25
	s_ashr_i32 s9, s8, 31
	s_lshl_b64 s[4:5], s[4:5], 2
	s_lshl_b64 s[8:9], s[8:9], 2
	v_lshlrev_b32_e32 v3, 7, v86
	s_add_u32 s30, s4, s8
	s_addc_u32 s31, s5, s9
	s_add_u32 s6, s30, s13
	s_addc_u32 s8, s31, s23
	s_ashr_i32 s29, s28, 31
	s_lshl_b64 s[4:5], s[26:27], 2
	s_lshl_b64 s[26:27], s[28:29], 2
	v_dual_mov_b32 v8, 0 :: v_dual_add_nc_u32 v93, v0, v2
	s_add_u32 s13, s2, s26
	s_addc_u32 s23, s3, s27
	s_add_u32 s9, s13, s4
	s_addc_u32 s10, s23, s5
	s_ashr_i32 s3, s16, 31
	s_mov_b32 s2, s16
	s_ashr_i32 s27, s17, 31
	s_lshl_b64 s[2:3], s[2:3], 2
	s_add_u32 s24, s30, s24
	s_addc_u32 s25, s31, s25
	v_mov_b32_e32 v2, v92
	v_add_co_u32 v3, s24, s24, v3
	s_delay_alu instid0(VALU_DEP_1) | instskip(SKIP_2) | instid1(VALU_DEP_4)
	v_add_co_ci_u32_e64 v4, null, s25, 0, s24
	v_lshlrev_b32_e32 v5, 8, v86
	v_dual_mov_b32 v0, 0 :: v_dual_add_nc_u32 v91, v0, v1
	v_add_co_u32 v1, vcc_lo, v3, v1
	s_delay_alu instid0(VALU_DEP_4) | instskip(NEXT) | instid1(VALU_DEP_4)
	v_add_co_ci_u32_e32 v3, vcc_lo, 0, v4, vcc_lo
	v_add_co_u32 v4, s4, s4, v5
	v_lshlrev_b32_e32 v6, 3, v87
	v_add_co_ci_u32_e64 v5, null, s5, 0, s4
	v_add_co_u32 v80, vcc_lo, s0, v1
	v_add_co_ci_u32_e32 v81, vcc_lo, s1, v3, vcc_lo
	s_delay_alu instid0(VALU_DEP_4) | instskip(NEXT) | instid1(VALU_DEP_4)
	v_add_co_u32 v1, vcc_lo, v4, v6
	v_add_co_ci_u32_e32 v3, vcc_lo, 0, v5, vcc_lo
	v_mov_b32_e32 v4, v92
	s_delay_alu instid0(VALU_DEP_3) | instskip(SKIP_1) | instid1(VALU_DEP_4)
	v_add_co_u32 v82, vcc_lo, s13, v1
	v_mov_b32_e32 v1, v92
	v_add_co_ci_u32_e32 v83, vcc_lo, s23, v3, vcc_lo
	v_mov_b32_e32 v3, v92
	v_mov_b32_e32 v5, v92
	;; [unrolled: 1-line block ×11, first 2 shown]
	s_mov_b32 s26, s17
	s_mul_i32 s1, s16, 31
	s_lshl_b64 s[4:5], s[26:27], 3
	s_lshl_b32 s13, s17, 1
	s_mul_i32 s23, s17, 3
	s_lshl_b32 s24, s17, 2
	s_mul_i32 s25, s17, 5
	s_mul_i32 s26, s17, 6
	;; [unrolled: 1-line block ×3, first 2 shown]
	s_lshl_b32 s28, s17, 3
	s_mul_i32 s29, s17, 9
	s_mul_i32 s17, s17, 10
	s_lshl_b32 s30, s16, 1
	s_mul_i32 s31, s16, 3
	s_lshl_b32 s33, s16, 2
	s_mul_i32 s34, s16, 5
	s_mul_i32 s35, s16, 6
	;; [unrolled: 1-line block ×3, first 2 shown]
	s_lshl_b32 s37, s16, 3
	s_mul_i32 s38, s16, 9
	s_mul_i32 s39, s16, 10
	;; [unrolled: 1-line block ×7, first 2 shown]
	s_lshl_b32 s45, s16, 4
	s_mul_i32 s46, s16, 17
	s_mul_i32 s47, s16, 18
	;; [unrolled: 1-line block ×14, first 2 shown]
	s_mov_b32 s16, 0
	s_branch .LBB65_5
.LBB65_4:                               ;   in Loop: Header=BB65_5 Depth=1
	s_or_b32 exec_lo, exec_lo, s0
	s_delay_alu instid0(VALU_DEP_1)
	v_perm_b32 v84, v95, v94, 0x7060302
	v_add_nc_u32_e32 v85, 0x400, v91
	v_add_nc_u32_e32 v94, 0x600, v91
	;; [unrolled: 1-line block ×3, first 2 shown]
	v_add_co_u32 v80, vcc_lo, 0x280, v80
	ds_store_2addr_b32 v85, v84, v92 offset0:104 offset1:140
	ds_store_2addr_b32 v85, v92, v92 offset0:176 offset1:212
	;; [unrolled: 1-line block ×3, first 2 shown]
	ds_load_b128 v[94:97], v93
	ds_load_b128 v[98:101], v93 offset:16
	ds_load_b128 v[102:105], v93 offset:32
	;; [unrolled: 1-line block ×5, first 2 shown]
	v_add_co_ci_u32_e32 v81, vcc_lo, 0, v81, vcc_lo
	v_cmp_le_i32_e32 vcc_lo, s22, v90
	v_add_co_u32 v82, s0, 0x500, v82
	s_delay_alu instid0(VALU_DEP_1)
	v_add_co_ci_u32_e64 v83, s0, 0, v83, s0
	s_or_b32 s16, vcc_lo, s16
	s_waitcnt lgkmcnt(4)
	v_wmma_f32_16x16x16_bf16 v[8:15], v[72:79], v[94:101], v[8:15]
	ds_load_b128 v[72:75], v93 offset:96
	ds_load_b128 v[76:79], v93 offset:112
	v_wmma_f32_16x16x16_bf16 v[0:7], v[64:71], v[94:101], v[0:7]
	s_waitcnt lgkmcnt(4)
	v_wmma_f32_16x16x16_bf16 v[8:15], v[48:55], v[102:109], v[8:15]
	s_delay_alu instid0(VALU_DEP_2) | instskip(SKIP_1) | instid1(VALU_DEP_2)
	v_wmma_f32_16x16x16_bf16 v[0:7], v[56:63], v[102:109], v[0:7]
	s_waitcnt lgkmcnt(2)
	v_wmma_f32_16x16x16_bf16 v[8:15], v[24:31], v[110:117], v[8:15]
	s_delay_alu instid0(VALU_DEP_2) | instskip(SKIP_1) | instid1(VALU_DEP_2)
	v_wmma_f32_16x16x16_bf16 v[0:7], v[40:47], v[110:117], v[0:7]
	s_waitcnt lgkmcnt(0)
	v_wmma_f32_16x16x16_bf16 v[8:15], v[16:23], v[72:79], v[8:15]
	s_delay_alu instid0(VALU_DEP_2)
	v_wmma_f32_16x16x16_bf16 v[0:7], v[32:39], v[72:79], v[0:7]
	s_and_not1_b32 exec_lo, exec_lo, s16
	s_cbranch_execz .LBB65_93
.LBB65_5:                               ; =>This Inner Loop Header: Depth=1
	v_add_nc_u32_e32 v16, s30, v90
	v_add_nc_u32_e32 v22, s33, v90
	;; [unrolled: 1-line block ×3, first 2 shown]
	v_add_co_u32 v20, vcc_lo, v80, s2
	s_delay_alu instid0(VALU_DEP_4)
	v_ashrrev_i32_e32 v17, 31, v16
	v_add_co_ci_u32_e32 v21, vcc_lo, s3, v81, vcc_lo
	v_ashrrev_i32_e32 v23, 31, v22
	v_ashrrev_i32_e32 v19, 31, v18
	v_add_nc_u32_e32 v24, s34, v90
	v_lshlrev_b64 v[16:17], 2, v[16:17]
	s_clause 0x1
	global_load_b32 v38, v[80:81], off
	global_load_b32 v39, v[20:21], off
	v_lshlrev_b64 v[20:21], 2, v[22:23]
	v_add_nc_u32_e32 v22, s35, v90
	v_lshlrev_b64 v[18:19], 2, v[18:19]
	v_ashrrev_i32_e32 v25, 31, v24
	v_add_nc_u32_e32 v26, s36, v90
	v_add_co_u32 v16, vcc_lo, s6, v16
	v_ashrrev_i32_e32 v23, 31, v22
	v_add_co_ci_u32_e32 v17, vcc_lo, s8, v17, vcc_lo
	v_add_nc_u32_e32 v28, s37, v90
	v_add_co_u32 v18, vcc_lo, s6, v18
	v_lshlrev_b64 v[24:25], 2, v[24:25]
	v_ashrrev_i32_e32 v27, 31, v26
	v_add_co_ci_u32_e32 v19, vcc_lo, s8, v19, vcc_lo
	v_add_nc_u32_e32 v30, s38, v90
	v_add_co_u32 v20, vcc_lo, s6, v20
	v_lshlrev_b64 v[22:23], 2, v[22:23]
	v_ashrrev_i32_e32 v29, 31, v28
	v_add_co_ci_u32_e32 v21, vcc_lo, s8, v21, vcc_lo
	v_add_co_u32 v24, vcc_lo, s6, v24
	v_lshlrev_b64 v[26:27], 2, v[26:27]
	v_ashrrev_i32_e32 v31, 31, v30
	v_add_co_ci_u32_e32 v25, vcc_lo, s8, v25, vcc_lo
	v_add_co_u32 v22, vcc_lo, s6, v22
	v_lshlrev_b64 v[28:29], 2, v[28:29]
	v_add_co_ci_u32_e32 v23, vcc_lo, s8, v23, vcc_lo
	v_add_nc_u32_e32 v32, s39, v90
	v_add_co_u32 v26, vcc_lo, s6, v26
	v_lshlrev_b64 v[30:31], 2, v[30:31]
	v_add_co_ci_u32_e32 v27, vcc_lo, s8, v27, vcc_lo
	v_add_nc_u32_e32 v34, s40, v90
	v_add_co_u32 v28, vcc_lo, s6, v28
	v_ashrrev_i32_e32 v33, 31, v32
	v_add_co_ci_u32_e32 v29, vcc_lo, s8, v29, vcc_lo
	v_add_nc_u32_e32 v36, s41, v90
	v_add_co_u32 v30, vcc_lo, s6, v30
	v_ashrrev_i32_e32 v35, 31, v34
	v_add_co_ci_u32_e32 v31, vcc_lo, s8, v31, vcc_lo
	s_clause 0x7
	global_load_b32 v40, v[16:17], off
	global_load_b32 v41, v[18:19], off
	global_load_b32 v42, v[20:21], off
	global_load_b32 v43, v[24:25], off
	global_load_b32 v44, v[22:23], off
	global_load_b32 v45, v[26:27], off
	global_load_b32 v46, v[28:29], off
	global_load_b32 v47, v[30:31], off
	v_add_nc_u32_e32 v18, s42, v90
	v_lshlrev_b64 v[32:33], 2, v[32:33]
	v_ashrrev_i32_e32 v37, 31, v36
	v_add_nc_u32_e32 v24, s43, v90
	v_lshlrev_b64 v[16:17], 2, v[34:35]
	v_ashrrev_i32_e32 v19, 31, v18
	v_add_nc_u32_e32 v26, s44, v90
	v_add_co_u32 v20, vcc_lo, s6, v32
	v_lshlrev_b64 v[22:23], 2, v[36:37]
	v_ashrrev_i32_e32 v25, 31, v24
	v_add_co_ci_u32_e32 v21, vcc_lo, s8, v33, vcc_lo
	v_add_nc_u32_e32 v28, s45, v90
	v_add_co_u32 v16, vcc_lo, s6, v16
	v_lshlrev_b64 v[18:19], 2, v[18:19]
	v_ashrrev_i32_e32 v27, 31, v26
	v_add_co_ci_u32_e32 v17, vcc_lo, s8, v17, vcc_lo
	v_add_nc_u32_e32 v30, s46, v90
	v_add_co_u32 v22, vcc_lo, s6, v22
	v_lshlrev_b64 v[24:25], 2, v[24:25]
	v_ashrrev_i32_e32 v29, 31, v28
	v_add_co_ci_u32_e32 v23, vcc_lo, s8, v23, vcc_lo
	v_add_co_u32 v18, vcc_lo, s6, v18
	v_lshlrev_b64 v[26:27], 2, v[26:27]
	v_ashrrev_i32_e32 v31, 31, v30
	v_add_co_ci_u32_e32 v19, vcc_lo, s8, v19, vcc_lo
	v_add_co_u32 v24, vcc_lo, s6, v24
	v_lshlrev_b64 v[28:29], 2, v[28:29]
	v_add_co_ci_u32_e32 v25, vcc_lo, s8, v25, vcc_lo
	v_add_nc_u32_e32 v32, s47, v90
	v_add_co_u32 v26, vcc_lo, s6, v26
	v_lshlrev_b64 v[30:31], 2, v[30:31]
	v_add_co_ci_u32_e32 v27, vcc_lo, s8, v27, vcc_lo
	v_add_nc_u32_e32 v34, s48, v90
	v_add_co_u32 v28, vcc_lo, s6, v28
	v_ashrrev_i32_e32 v33, 31, v32
	v_add_co_ci_u32_e32 v29, vcc_lo, s8, v29, vcc_lo
	v_add_nc_u32_e32 v36, s49, v90
	v_add_co_u32 v30, vcc_lo, s6, v30
	v_ashrrev_i32_e32 v35, 31, v34
	v_add_co_ci_u32_e32 v31, vcc_lo, s8, v31, vcc_lo
	s_clause 0x7
	global_load_b32 v48, v[20:21], off
	global_load_b32 v49, v[16:17], off
	global_load_b32 v50, v[22:23], off
	global_load_b32 v51, v[18:19], off
	global_load_b32 v52, v[24:25], off
	global_load_b32 v53, v[26:27], off
	global_load_b32 v56, v[28:29], off
	global_load_b32 v57, v[30:31], off
	v_add_nc_u32_e32 v18, s50, v90
	v_lshlrev_b64 v[32:33], 2, v[32:33]
	v_ashrrev_i32_e32 v37, 31, v36
	v_add_nc_u32_e32 v24, s51, v90
	v_lshlrev_b64 v[16:17], 2, v[34:35]
	v_ashrrev_i32_e32 v19, 31, v18
	v_add_nc_u32_e32 v26, s52, v90
	v_add_co_u32 v20, vcc_lo, s6, v32
	v_lshlrev_b64 v[22:23], 2, v[36:37]
	;; [unrolled: 49-line block ×3, first 2 shown]
	v_ashrrev_i32_e32 v25, 31, v24
	v_add_co_ci_u32_e32 v21, vcc_lo, s8, v33, vcc_lo
	v_add_co_u32 v16, vcc_lo, s6, v16
	v_lshlrev_b64 v[18:19], 2, v[18:19]
	v_ashrrev_i32_e32 v27, 31, v26
	v_add_co_ci_u32_e32 v17, vcc_lo, s8, v17, vcc_lo
	v_add_co_u32 v22, vcc_lo, s6, v22
	v_lshlrev_b64 v[24:25], 2, v[24:25]
	v_add_co_ci_u32_e32 v23, vcc_lo, s8, v23, vcc_lo
	v_add_co_u32 v18, vcc_lo, s6, v18
	v_lshlrev_b64 v[26:27], 2, v[26:27]
	v_add_co_ci_u32_e32 v19, vcc_lo, s8, v19, vcc_lo
	v_add_co_u32 v24, vcc_lo, s6, v24
	v_add_co_ci_u32_e32 v25, vcc_lo, s8, v25, vcc_lo
	s_delay_alu instid0(VALU_DEP_4)
	v_add_co_u32 v26, vcc_lo, s6, v26
	v_add_co_ci_u32_e32 v27, vcc_lo, s8, v27, vcc_lo
	s_clause 0x5
	global_load_b32 v32, v[20:21], off
	global_load_b32 v33, v[16:17], off
	;; [unrolled: 1-line block ×6, first 2 shown]
	global_load_b64 v[84:85], v[82:83], off
	s_waitcnt vmcnt(32)
	ds_store_b32 v91, v38
	s_waitcnt vmcnt(31)
	ds_store_b32 v91, v39 offset:144
	s_waitcnt vmcnt(30)
	ds_store_b32 v91, v40 offset:288
	;; [unrolled: 2-line block ×15, first 2 shown]
	ds_load_b128 v[72:75], v93
	ds_load_b128 v[76:79], v93 offset:16
	ds_load_b128 v[48:51], v93 offset:32
	;; [unrolled: 1-line block ×7, first 2 shown]
	s_waitcnt vmcnt(16)
	ds_store_b32 v91, v56
	s_waitcnt vmcnt(15)
	ds_store_b32 v91, v57 offset:144
	s_waitcnt vmcnt(14)
	ds_store_b32 v91, v58 offset:288
	s_waitcnt vmcnt(13)
	ds_store_b32 v91, v59 offset:432
	s_waitcnt vmcnt(12)
	ds_store_b32 v91, v60 offset:576
	s_waitcnt vmcnt(11)
	ds_store_b32 v91, v61 offset:720
	s_waitcnt vmcnt(10)
	ds_store_b32 v91, v62 offset:864
	s_waitcnt vmcnt(9)
	ds_store_b32 v91, v63 offset:1008
	s_waitcnt vmcnt(8)
	ds_store_b32 v91, v64 offset:1152
	s_waitcnt vmcnt(7)
	ds_store_b32 v91, v65 offset:1296
	s_waitcnt vmcnt(6)
	ds_store_b32 v91, v32 offset:1440
	s_waitcnt vmcnt(5)
	ds_store_b32 v91, v33 offset:1584
	s_waitcnt vmcnt(4)
	ds_store_b32 v91, v34 offset:1728
	s_waitcnt vmcnt(3)
	ds_store_b32 v91, v35 offset:1872
	s_waitcnt vmcnt(2)
	ds_store_b32 v91, v36 offset:2016
	s_waitcnt vmcnt(1)
	ds_store_b32 v91, v37 offset:2160
	ds_load_b128 v[64:67], v93
	ds_load_b128 v[68:71], v93 offset:16
	ds_load_b128 v[56:59], v93 offset:32
	;; [unrolled: 1-line block ×7, first 2 shown]
	s_waitcnt vmcnt(0)
	v_and_b32_e32 v94, 0x7f800000, v84
	s_delay_alu instid0(VALU_DEP_1) | instskip(SKIP_1) | instid1(SALU_CYCLE_1)
	v_cmp_ne_u32_e32 vcc_lo, 0x7f800000, v94
                                        ; implicit-def: $vgpr94
	s_and_saveexec_b32 s0, vcc_lo
	s_xor_b32 s0, exec_lo, s0
; %bb.6:                                ;   in Loop: Header=BB65_5 Depth=1
	v_bfe_u32 v94, v84, 16, 1
	s_delay_alu instid0(VALU_DEP_1)
	v_add3_u32 v94, v84, v94, 0x7fff
; %bb.7:                                ;   in Loop: Header=BB65_5 Depth=1
	s_and_not1_saveexec_b32 s0, s0
; %bb.8:                                ;   in Loop: Header=BB65_5 Depth=1
	v_and_b32_e32 v94, 0xffff, v84
	v_or_b32_e32 v95, 0x10000, v84
	s_delay_alu instid0(VALU_DEP_2) | instskip(NEXT) | instid1(VALU_DEP_2)
	v_cmp_eq_u32_e32 vcc_lo, 0, v94
	v_cndmask_b32_e32 v94, v95, v84, vcc_lo
; %bb.9:                                ;   in Loop: Header=BB65_5 Depth=1
	s_or_b32 exec_lo, exec_lo, s0
	v_and_b32_e32 v84, 0x7f800000, v85
	s_mov_b32 s0, exec_lo
                                        ; implicit-def: $vgpr95
	s_delay_alu instid0(VALU_DEP_1)
	v_cmpx_ne_u32_e32 0x7f800000, v84
	s_xor_b32 s0, exec_lo, s0
; %bb.10:                               ;   in Loop: Header=BB65_5 Depth=1
	v_bfe_u32 v84, v85, 16, 1
	s_delay_alu instid0(VALU_DEP_1)
	v_add3_u32 v95, v85, v84, 0x7fff
                                        ; implicit-def: $vgpr84_vgpr85
; %bb.11:                               ;   in Loop: Header=BB65_5 Depth=1
	s_and_not1_saveexec_b32 s0, s0
; %bb.12:                               ;   in Loop: Header=BB65_5 Depth=1
	v_and_b32_e32 v84, 0xffff, v85
	v_or_b32_e32 v95, 0x10000, v85
	s_delay_alu instid0(VALU_DEP_2) | instskip(NEXT) | instid1(VALU_DEP_2)
	v_cmp_eq_u32_e32 vcc_lo, 0, v84
	v_cndmask_b32_e32 v95, v95, v85, vcc_lo
; %bb.13:                               ;   in Loop: Header=BB65_5 Depth=1
	s_or_b32 exec_lo, exec_lo, s0
	s_delay_alu instid0(VALU_DEP_1)
	v_perm_b32 v84, v95, v94, 0x7060302
	ds_store_b32 v91, v84
	v_add_co_u32 v84, vcc_lo, v82, s4
	v_add_co_ci_u32_e32 v85, vcc_lo, s5, v83, vcc_lo
	global_load_b64 v[84:85], v[84:85], off
	s_waitcnt vmcnt(0)
	v_and_b32_e32 v94, 0x7f800000, v84
	s_delay_alu instid0(VALU_DEP_1) | instskip(SKIP_1) | instid1(SALU_CYCLE_1)
	v_cmp_ne_u32_e32 vcc_lo, 0x7f800000, v94
                                        ; implicit-def: $vgpr94
	s_and_saveexec_b32 s0, vcc_lo
	s_xor_b32 s0, exec_lo, s0
; %bb.14:                               ;   in Loop: Header=BB65_5 Depth=1
	v_bfe_u32 v94, v84, 16, 1
	s_delay_alu instid0(VALU_DEP_1)
	v_add3_u32 v94, v84, v94, 0x7fff
; %bb.15:                               ;   in Loop: Header=BB65_5 Depth=1
	s_and_not1_saveexec_b32 s0, s0
; %bb.16:                               ;   in Loop: Header=BB65_5 Depth=1
	v_and_b32_e32 v94, 0xffff, v84
	v_or_b32_e32 v95, 0x10000, v84
	s_delay_alu instid0(VALU_DEP_2) | instskip(NEXT) | instid1(VALU_DEP_2)
	v_cmp_eq_u32_e32 vcc_lo, 0, v94
	v_cndmask_b32_e32 v94, v95, v84, vcc_lo
; %bb.17:                               ;   in Loop: Header=BB65_5 Depth=1
	s_or_b32 exec_lo, exec_lo, s0
	v_and_b32_e32 v84, 0x7f800000, v85
	s_mov_b32 s0, exec_lo
                                        ; implicit-def: $vgpr95
	s_delay_alu instid0(VALU_DEP_1)
	v_cmpx_ne_u32_e32 0x7f800000, v84
	s_xor_b32 s0, exec_lo, s0
; %bb.18:                               ;   in Loop: Header=BB65_5 Depth=1
	v_bfe_u32 v84, v85, 16, 1
	s_delay_alu instid0(VALU_DEP_1)
	v_add3_u32 v95, v85, v84, 0x7fff
                                        ; implicit-def: $vgpr84_vgpr85
; %bb.19:                               ;   in Loop: Header=BB65_5 Depth=1
	s_and_not1_saveexec_b32 s0, s0
; %bb.20:                               ;   in Loop: Header=BB65_5 Depth=1
	v_and_b32_e32 v84, 0xffff, v85
	v_or_b32_e32 v95, 0x10000, v85
	s_delay_alu instid0(VALU_DEP_2) | instskip(NEXT) | instid1(VALU_DEP_2)
	v_cmp_eq_u32_e32 vcc_lo, 0, v84
	v_cndmask_b32_e32 v95, v95, v85, vcc_lo
; %bb.21:                               ;   in Loop: Header=BB65_5 Depth=1
	s_or_b32 exec_lo, exec_lo, s0
	s_delay_alu instid0(VALU_DEP_1) | instskip(SKIP_2) | instid1(VALU_DEP_1)
	v_perm_b32 v84, v95, v94, 0x7060302
	ds_store_b32 v91, v84 offset:144
	v_add_nc_u32_e32 v84, s13, v90
	v_ashrrev_i32_e32 v85, 31, v84
	s_delay_alu instid0(VALU_DEP_1) | instskip(NEXT) | instid1(VALU_DEP_1)
	v_lshlrev_b64 v[84:85], 3, v[84:85]
	v_add_co_u32 v84, vcc_lo, s9, v84
	s_delay_alu instid0(VALU_DEP_2) | instskip(SKIP_3) | instid1(VALU_DEP_1)
	v_add_co_ci_u32_e32 v85, vcc_lo, s10, v85, vcc_lo
	global_load_b64 v[84:85], v[84:85], off
	s_waitcnt vmcnt(0)
	v_and_b32_e32 v94, 0x7f800000, v84
	v_cmp_ne_u32_e32 vcc_lo, 0x7f800000, v94
                                        ; implicit-def: $vgpr94
	s_and_saveexec_b32 s0, vcc_lo
	s_delay_alu instid0(SALU_CYCLE_1)
	s_xor_b32 s0, exec_lo, s0
; %bb.22:                               ;   in Loop: Header=BB65_5 Depth=1
	v_bfe_u32 v94, v84, 16, 1
	s_delay_alu instid0(VALU_DEP_1)
	v_add3_u32 v94, v84, v94, 0x7fff
; %bb.23:                               ;   in Loop: Header=BB65_5 Depth=1
	s_and_not1_saveexec_b32 s0, s0
; %bb.24:                               ;   in Loop: Header=BB65_5 Depth=1
	v_and_b32_e32 v94, 0xffff, v84
	v_or_b32_e32 v95, 0x10000, v84
	s_delay_alu instid0(VALU_DEP_2) | instskip(NEXT) | instid1(VALU_DEP_2)
	v_cmp_eq_u32_e32 vcc_lo, 0, v94
	v_cndmask_b32_e32 v94, v95, v84, vcc_lo
; %bb.25:                               ;   in Loop: Header=BB65_5 Depth=1
	s_or_b32 exec_lo, exec_lo, s0
	v_and_b32_e32 v84, 0x7f800000, v85
	s_mov_b32 s0, exec_lo
                                        ; implicit-def: $vgpr95
	s_delay_alu instid0(VALU_DEP_1)
	v_cmpx_ne_u32_e32 0x7f800000, v84
	s_xor_b32 s0, exec_lo, s0
; %bb.26:                               ;   in Loop: Header=BB65_5 Depth=1
	v_bfe_u32 v84, v85, 16, 1
	s_delay_alu instid0(VALU_DEP_1)
	v_add3_u32 v95, v85, v84, 0x7fff
                                        ; implicit-def: $vgpr84_vgpr85
; %bb.27:                               ;   in Loop: Header=BB65_5 Depth=1
	s_and_not1_saveexec_b32 s0, s0
; %bb.28:                               ;   in Loop: Header=BB65_5 Depth=1
	v_and_b32_e32 v84, 0xffff, v85
	v_or_b32_e32 v95, 0x10000, v85
	s_delay_alu instid0(VALU_DEP_2) | instskip(NEXT) | instid1(VALU_DEP_2)
	v_cmp_eq_u32_e32 vcc_lo, 0, v84
	v_cndmask_b32_e32 v95, v95, v85, vcc_lo
; %bb.29:                               ;   in Loop: Header=BB65_5 Depth=1
	s_or_b32 exec_lo, exec_lo, s0
	s_delay_alu instid0(VALU_DEP_1) | instskip(SKIP_2) | instid1(VALU_DEP_1)
	v_perm_b32 v84, v95, v94, 0x7060302
	ds_store_b32 v91, v84 offset:288
	v_add_nc_u32_e32 v84, s23, v90
	v_ashrrev_i32_e32 v85, 31, v84
	s_delay_alu instid0(VALU_DEP_1) | instskip(NEXT) | instid1(VALU_DEP_1)
	v_lshlrev_b64 v[84:85], 3, v[84:85]
	v_add_co_u32 v84, vcc_lo, s9, v84
	s_delay_alu instid0(VALU_DEP_2) | instskip(SKIP_3) | instid1(VALU_DEP_1)
	v_add_co_ci_u32_e32 v85, vcc_lo, s10, v85, vcc_lo
	global_load_b64 v[84:85], v[84:85], off
	s_waitcnt vmcnt(0)
	v_and_b32_e32 v94, 0x7f800000, v84
	v_cmp_ne_u32_e32 vcc_lo, 0x7f800000, v94
                                        ; implicit-def: $vgpr94
	s_and_saveexec_b32 s0, vcc_lo
	s_delay_alu instid0(SALU_CYCLE_1)
	;; [unrolled: 53-line block ×9, first 2 shown]
	s_xor_b32 s0, exec_lo, s0
; %bb.86:                               ;   in Loop: Header=BB65_5 Depth=1
	v_bfe_u32 v94, v84, 16, 1
	s_delay_alu instid0(VALU_DEP_1)
	v_add3_u32 v94, v84, v94, 0x7fff
; %bb.87:                               ;   in Loop: Header=BB65_5 Depth=1
	s_and_not1_saveexec_b32 s0, s0
; %bb.88:                               ;   in Loop: Header=BB65_5 Depth=1
	v_and_b32_e32 v94, 0xffff, v84
	v_or_b32_e32 v95, 0x10000, v84
	s_delay_alu instid0(VALU_DEP_2) | instskip(NEXT) | instid1(VALU_DEP_2)
	v_cmp_eq_u32_e32 vcc_lo, 0, v94
	v_cndmask_b32_e32 v94, v95, v84, vcc_lo
; %bb.89:                               ;   in Loop: Header=BB65_5 Depth=1
	s_or_b32 exec_lo, exec_lo, s0
	v_and_b32_e32 v84, 0x7f800000, v85
	s_mov_b32 s0, exec_lo
                                        ; implicit-def: $vgpr95
	s_delay_alu instid0(VALU_DEP_1)
	v_cmpx_ne_u32_e32 0x7f800000, v84
	s_xor_b32 s0, exec_lo, s0
; %bb.90:                               ;   in Loop: Header=BB65_5 Depth=1
	v_bfe_u32 v84, v85, 16, 1
	s_delay_alu instid0(VALU_DEP_1)
	v_add3_u32 v95, v85, v84, 0x7fff
                                        ; implicit-def: $vgpr84_vgpr85
; %bb.91:                               ;   in Loop: Header=BB65_5 Depth=1
	s_and_not1_saveexec_b32 s0, s0
	s_cbranch_execz .LBB65_4
; %bb.92:                               ;   in Loop: Header=BB65_5 Depth=1
	v_and_b32_e32 v84, 0xffff, v85
	v_or_b32_e32 v95, 0x10000, v85
	s_delay_alu instid0(VALU_DEP_2) | instskip(NEXT) | instid1(VALU_DEP_2)
	v_cmp_eq_u32_e32 vcc_lo, 0, v84
	v_cndmask_b32_e32 v95, v95, v85, vcc_lo
	s_branch .LBB65_4
.LBB65_93:
	s_or_b32 exec_lo, exec_lo, s16
.LBB65_94:
	s_delay_alu instid0(SALU_CYCLE_1)
	s_or_b32 exec_lo, exec_lo, s19
	v_lshrrev_b32_e32 v16, 2, v87
	v_mad_u32_u24 v17, 0x290, v89, 0
	v_lshlrev_b32_e32 v18, 2, v88
	s_waitcnt lgkmcnt(0)
	s_barrier
	v_and_b32_e32 v16, 0xfc, v16
	buffer_gl0_inv
	s_mul_hi_i32 s1, s11, s15
	s_mul_i32 s0, s11, s15
	s_mul_i32 s2, s14, s7
	v_add3_u32 v17, v17, v16, v18
	v_lshl_add_u32 v16, v87, 2, 0
	s_lshl_b64 s[0:1], s[0:1], 2
	ds_store_2addr_b32 v17, v8, v9 offset1:2
	ds_store_2addr_b32 v17, v10, v11 offset0:4 offset1:6
	ds_store_2addr_b32 v17, v12, v13 offset0:8 offset1:10
	;; [unrolled: 1-line block ×6, first 2 shown]
	v_mad_u32_u24 v10, 0x290, v86, v16
	ds_store_2addr_b32 v17, v6, v7 offset0:28 offset1:30
	s_waitcnt lgkmcnt(0)
	s_barrier
	buffer_gl0_inv
	v_add_nc_u32_e32 v1, 0xc00, v10
	s_add_u32 s4, s20, s0
	s_addc_u32 s5, s21, s1
	ds_load_2addr_b32 v[2:3], v10 offset1:32
	ds_load_2addr_b32 v[4:5], v1 offset0:52 offset1:84
	ds_load_2addr_b32 v[6:7], v10 offset0:64 offset1:96
	ds_load_b32 v12, v10 offset:512
	ds_load_b32 v10, v10 offset:3792
	s_ashr_i32 s3, s2, 31
	s_delay_alu instid0(SALU_CYCLE_1)
	s_lshl_b64 s[0:1], s[2:3], 2
	s_mov_b32 s2, exec_lo
	s_add_u32 s0, s4, s0
	s_addc_u32 s1, s5, s1
	s_waitcnt lgkmcnt(3)
	v_dual_add_f32 v11, 0, v2 :: v_dual_add_f32 v4, 0, v4
	ds_load_2addr_b32 v[8:9], v1 offset0:116 offset1:148
	v_add_nc_u32_e32 v0, s12, v87
	v_add_f32_e32 v11, v11, v3
	v_add_f32_e32 v5, v4, v5
	s_delay_alu instid0(VALU_DEP_3) | instskip(SKIP_1) | instid1(VALU_DEP_2)
	v_mad_u64_u32 v[1:2], null, v86, s18, v[0:1]
	s_waitcnt lgkmcnt(0)
	v_add_f32_e32 v8, v5, v8
	v_add_f32_e32 v6, v11, v6
	s_delay_alu instid0(VALU_DEP_1) | instskip(NEXT) | instid1(VALU_DEP_1)
	v_dual_mov_b32 v2, 0 :: v_dual_add_f32 v7, v6, v7
	v_mad_u64_u32 v[3:4], null, s18, 5, v[1:2]
	v_mov_b32_e32 v4, v2
	v_lshlrev_b64 v[5:6], 2, v[1:2]
	s_delay_alu instid0(VALU_DEP_4) | instskip(SKIP_1) | instid1(VALU_DEP_4)
	v_add_f32_e32 v7, v7, v12
	v_add_f32_e32 v1, v8, v9
	v_lshlrev_b64 v[3:4], 2, v[3:4]
	s_delay_alu instid0(VALU_DEP_4) | instskip(SKIP_1) | instid1(VALU_DEP_4)
	v_add_co_u32 v5, vcc_lo, s0, v5
	v_add_co_ci_u32_e32 v6, vcc_lo, s1, v6, vcc_lo
	v_add_f32_e32 v1, v1, v10
	s_delay_alu instid0(VALU_DEP_4)
	v_add_co_u32 v3, vcc_lo, s0, v3
	v_add_co_ci_u32_e32 v4, vcc_lo, s1, v4, vcc_lo
	s_clause 0x1
	global_store_b32 v[5:6], v7, off
	global_store_b32 v[3:4], v1, off
	v_cmpx_eq_u32_e32 0, v86
	s_cbranch_execz .LBB65_96
; %bb.95:
	v_add_nc_u32_e32 v1, 0x1800, v16
	ds_load_2addr_b32 v[3:4], v1 offset0:104 offset1:136
	ds_load_2addr_b32 v[5:6], v1 offset0:168 offset1:200
	ds_load_b32 v7, v16 offset:7072
	s_waitcnt lgkmcnt(2)
	v_add_f32_e32 v1, 0, v3
	s_delay_alu instid0(VALU_DEP_1) | instskip(NEXT) | instid1(VALU_DEP_1)
	v_add_f32_e32 v1, v1, v4
	v_mad_u64_u32 v[3:4], null, s18, 10, v[0:1]
	s_waitcnt lgkmcnt(1)
	v_add_f32_e32 v0, v1, v5
	v_mov_b32_e32 v4, v2
	s_delay_alu instid0(VALU_DEP_2) | instskip(NEXT) | instid1(VALU_DEP_2)
	v_add_f32_e32 v2, v0, v6
	v_lshlrev_b64 v[0:1], 2, v[3:4]
	s_waitcnt lgkmcnt(0)
	s_delay_alu instid0(VALU_DEP_2) | instskip(NEXT) | instid1(VALU_DEP_2)
	v_add_f32_e32 v2, v2, v7
	v_add_co_u32 v0, vcc_lo, s0, v0
	s_delay_alu instid0(VALU_DEP_3)
	v_add_co_ci_u32_e32 v1, vcc_lo, s1, v1, vcc_lo
	global_store_b32 v[0:1], v2, off
.LBB65_96:
	s_nop 0
	s_sendmsg sendmsg(MSG_DEALLOC_VGPRS)
	s_endpgm
	.section	.rodata,"a",@progbits
	.p2align	6, 0x0
	.amdhsa_kernel _ZL9mul_mat_fI15__hip_bfloat162Li32ELi11ELi5ELb0EEvPKT_PKfPKiPfiiiiiiiiiiiiiiii
		.amdhsa_group_segment_fixed_size 0
		.amdhsa_private_segment_fixed_size 0
		.amdhsa_kernarg_size 96
		.amdhsa_user_sgpr_count 13
		.amdhsa_user_sgpr_dispatch_ptr 0
		.amdhsa_user_sgpr_queue_ptr 0
		.amdhsa_user_sgpr_kernarg_segment_ptr 1
		.amdhsa_user_sgpr_dispatch_id 0
		.amdhsa_user_sgpr_private_segment_size 0
		.amdhsa_wavefront_size32 1
		.amdhsa_uses_dynamic_stack 0
		.amdhsa_enable_private_segment 0
		.amdhsa_system_sgpr_workgroup_id_x 1
		.amdhsa_system_sgpr_workgroup_id_y 1
		.amdhsa_system_sgpr_workgroup_id_z 1
		.amdhsa_system_sgpr_workgroup_info 0
		.amdhsa_system_vgpr_workitem_id 1
		.amdhsa_next_free_vgpr 118
		.amdhsa_next_free_sgpr 60
		.amdhsa_reserve_vcc 1
		.amdhsa_float_round_mode_32 0
		.amdhsa_float_round_mode_16_64 0
		.amdhsa_float_denorm_mode_32 3
		.amdhsa_float_denorm_mode_16_64 3
		.amdhsa_dx10_clamp 1
		.amdhsa_ieee_mode 1
		.amdhsa_fp16_overflow 0
		.amdhsa_workgroup_processor_mode 1
		.amdhsa_memory_ordered 1
		.amdhsa_forward_progress 0
		.amdhsa_shared_vgpr_count 0
		.amdhsa_exception_fp_ieee_invalid_op 0
		.amdhsa_exception_fp_denorm_src 0
		.amdhsa_exception_fp_ieee_div_zero 0
		.amdhsa_exception_fp_ieee_overflow 0
		.amdhsa_exception_fp_ieee_underflow 0
		.amdhsa_exception_fp_ieee_inexact 0
		.amdhsa_exception_int_div_zero 0
	.end_amdhsa_kernel
	.section	.text._ZL9mul_mat_fI15__hip_bfloat162Li32ELi11ELi5ELb0EEvPKT_PKfPKiPfiiiiiiiiiiiiiiii,"axG",@progbits,_ZL9mul_mat_fI15__hip_bfloat162Li32ELi11ELi5ELb0EEvPKT_PKfPKiPfiiiiiiiiiiiiiiii,comdat
.Lfunc_end65:
	.size	_ZL9mul_mat_fI15__hip_bfloat162Li32ELi11ELi5ELb0EEvPKT_PKfPKiPfiiiiiiiiiiiiiiii, .Lfunc_end65-_ZL9mul_mat_fI15__hip_bfloat162Li32ELi11ELi5ELb0EEvPKT_PKfPKiPfiiiiiiiiiiiiiiii
                                        ; -- End function
	.section	.AMDGPU.csdata,"",@progbits
; Kernel info:
; codeLenInByte = 6068
; NumSgprs: 62
; NumVgprs: 118
; ScratchSize: 0
; MemoryBound: 0
; FloatMode: 240
; IeeeMode: 1
; LDSByteSize: 0 bytes/workgroup (compile time only)
; SGPRBlocks: 7
; VGPRBlocks: 14
; NumSGPRsForWavesPerEU: 62
; NumVGPRsForWavesPerEU: 118
; Occupancy: 12
; WaveLimiterHint : 0
; COMPUTE_PGM_RSRC2:SCRATCH_EN: 0
; COMPUTE_PGM_RSRC2:USER_SGPR: 13
; COMPUTE_PGM_RSRC2:TRAP_HANDLER: 0
; COMPUTE_PGM_RSRC2:TGID_X_EN: 1
; COMPUTE_PGM_RSRC2:TGID_Y_EN: 1
; COMPUTE_PGM_RSRC2:TGID_Z_EN: 1
; COMPUTE_PGM_RSRC2:TIDIG_COMP_CNT: 1
	.section	.text._ZL13mul_mat_f_idsI15__hip_bfloat162Li32ELi11ELi6EEvPKT_PKfPKiS7_S7_Pfiiiiiiiiiiiiii15HIP_vector_typeIjLj3EESA_,"axG",@progbits,_ZL13mul_mat_f_idsI15__hip_bfloat162Li32ELi11ELi6EEvPKT_PKfPKiS7_S7_Pfiiiiiiiiiiiiii15HIP_vector_typeIjLj3EESA_,comdat
	.globl	_ZL13mul_mat_f_idsI15__hip_bfloat162Li32ELi11ELi6EEvPKT_PKfPKiS7_S7_Pfiiiiiiiiiiiiii15HIP_vector_typeIjLj3EESA_ ; -- Begin function _ZL13mul_mat_f_idsI15__hip_bfloat162Li32ELi11ELi6EEvPKT_PKfPKiS7_S7_Pfiiiiiiiiiiiiii15HIP_vector_typeIjLj3EESA_
	.p2align	8
	.type	_ZL13mul_mat_f_idsI15__hip_bfloat162Li32ELi11ELi6EEvPKT_PKfPKiS7_S7_Pfiiiiiiiiiiiiii15HIP_vector_typeIjLj3EESA_,@function
_ZL13mul_mat_f_idsI15__hip_bfloat162Li32ELi11ELi6EEvPKT_PKfPKiS7_S7_Pfiiiiiiiiiiiiii15HIP_vector_typeIjLj3EESA_: ; @_ZL13mul_mat_f_idsI15__hip_bfloat162Li32ELi11ELi6EEvPKT_PKfPKiS7_S7_Pfiiiiiiiiiiiiii15HIP_vector_typeIjLj3EESA_
; %bb.0:
	s_load_b64 s[4:5], s[0:1], 0x20
	s_mov_b32 s2, s15
	s_ashr_i32 s15, s14, 31
	s_delay_alu instid0(SALU_CYCLE_1)
	s_lshl_b64 s[6:7], s[14:15], 2
	s_waitcnt lgkmcnt(0)
	s_add_u32 s4, s4, s6
	s_addc_u32 s5, s5, s7
	s_load_b64 s[30:31], s[4:5], 0x0
	s_waitcnt lgkmcnt(0)
	s_sub_i32 s33, s31, s30
	s_delay_alu instid0(SALU_CYCLE_1) | instskip(NEXT) | instid1(SALU_CYCLE_1)
	s_add_i32 s3, s33, 10
	s_mul_hi_i32 s3, s3, 0x2e8ba2e9
	s_delay_alu instid0(SALU_CYCLE_1) | instskip(SKIP_1) | instid1(SALU_CYCLE_1)
	s_lshr_b32 s4, s3, 31
	s_ashr_i32 s3, s3, 1
	s_add_i32 s3, s3, s4
	s_delay_alu instid0(SALU_CYCLE_1)
	s_cmp_ge_i32 s2, s3
	s_cbranch_scc1 .LBB66_135
; %bb.1:
	s_clause 0x4
	s_load_b128 s[8:11], s[0:1], 0x30
	s_load_b64 s[24:25], s[0:1], 0x40
	s_load_b128 s[4:7], s[0:1], 0x4c
	s_load_b128 s[16:19], s[0:1], 0x68
	s_load_b64 s[26:27], s[0:1], 0x78
	v_bfe_u32 v105, v0, 10, 10
	v_and_b32_e32 v106, 0x3ff, v0
	s_ashr_i32 s31, s30, 31
	s_waitcnt lgkmcnt(0)
	s_mov_b32 s7, exec_lo
                                        ; implicit-def: $sgpr3
	v_lshlrev_b32_e32 v107, 5, v105
	v_and_b32_e32 v108, 15, v106
	s_delay_alu instid0(VALU_DEP_2) | instskip(NEXT) | instid1(VALU_DEP_1)
	v_add_nc_u32_e32 v80, v107, v106
	v_cmpx_le_i32_e64 s8, v80
	s_xor_b32 s7, exec_lo, s7
; %bb.2:
	v_and_b32_e32 v108, 15, v106
	s_mov_b32 s3, 0
                                        ; implicit-def: $vgpr80
; %bb.3:
	s_or_saveexec_b32 s36, s7
	s_clause 0x1
	s_load_b64 s[34:35], s[0:1], 0x18
	s_load_b64 s[28:29], s[0:1], 0x28
	v_dual_mov_b32 v7, s3 :: v_dual_mov_b32 v6, s3
	v_dual_mov_b32 v5, s3 :: v_dual_mov_b32 v4, s3
	;; [unrolled: 1-line block ×8, first 2 shown]
	s_lshl_b32 s7, s13, 5
	s_mul_i32 s2, s2, 11
	s_xor_b32 exec_lo, exec_lo, s36
	s_cbranch_execz .LBB66_128
; %bb.4:
	s_clause 0x1
	s_load_b128 s[20:23], s[0:1], 0x0
	s_load_b64 s[12:13], s[0:1], 0x10
	s_mul_i32 s0, s7, s11
	s_mul_i32 s14, s14, s4
	s_ashr_i32 s1, s0, 31
	s_ashr_i32 s15, s14, 31
	s_lshl_b64 s[0:1], s[0:1], 2
	s_lshl_b64 s[14:15], s[14:15], 2
	v_dual_mov_b32 v8, 0 :: v_dual_lshlrev_b32 v3, 7, v105
	s_add_u32 s0, s14, s0
	s_addc_u32 s47, s15, s1
	v_mad_u32_u24 v0, 0x900, v105, 0
	v_dual_mov_b32 v110, 0 :: v_dual_lshlrev_b32 v1, 2, v106
	v_mul_u32_u24_e32 v2, 0x90, v108
	s_mov_b32 s41, 0
	s_mul_i32 s45, s11, 3
	s_delay_alu instid0(VALU_DEP_2)
	v_dual_mov_b32 v10, v110 :: v_dual_add_nc_u32 v109, v0, v1
	s_waitcnt lgkmcnt(0)
	s_add_u32 s1, s0, s20
	s_addc_u32 s4, s47, s21
	s_lshl_b64 s[14:15], s[30:31], 2
	v_add_co_u32 v3, s0, s0, v3
	s_add_u32 s14, s12, s14
	s_addc_u32 s15, s13, s15
	s_cmp_lt_i32 s2, s33
	v_add_co_ci_u32_e64 v4, null, s47, 0, s0
	s_cselect_b32 s37, -1, 0
	s_ashr_i32 s3, s2, 31
	v_add_co_u32 v1, vcc_lo, v3, v1
	s_lshl_b64 s[12:13], s[2:3], 2
	v_add_co_ci_u32_e32 v3, vcc_lo, 0, v4, vcc_lo
	s_add_u32 s12, s14, s12
	s_addc_u32 s13, s15, s13
	s_add_i32 s3, s2, 1
	v_add_co_u32 v81, vcc_lo, s20, v1
	s_cmp_lt_i32 s3, s33
	v_add_co_ci_u32_e32 v82, vcc_lo, s21, v3, vcc_lo
	s_cselect_b32 s3, -1, 0
	s_add_i32 s14, s2, 2
	v_dual_mov_b32 v12, v110 :: v_dual_add_nc_u32 v111, v0, v2
	s_cmp_lt_i32 s14, s33
	v_dual_mov_b32 v9, v110 :: v_dual_mov_b32 v0, 0
	s_cselect_b32 s38, -1, 0
	s_add_i32 s14, s2, 3
	v_mov_b32_e32 v11, v110
	s_cmp_lt_i32 s14, s33
	v_mov_b32_e32 v13, v110
	s_cselect_b32 s39, -1, 0
	s_add_i32 s14, s2, 4
	v_mov_b32_e32 v14, v110
	s_cmp_lt_i32 s14, s33
	v_mov_b32_e32 v15, v110
	;; [unrolled: 5-line block ×5, first 2 shown]
	s_cselect_b32 s44, -1, 0
	s_add_i32 s15, s2, 8
	v_mov_b32_e32 v7, v110
	s_cmp_lt_i32 s15, s33
	s_mov_b32 s14, s11
	s_cselect_b32 s46, -1, 0
	s_add_i32 s15, s2, 9
	s_mul_i32 s49, s11, 5
	s_cmp_lt_i32 s15, s33
	s_mul_i32 s50, s11, 6
	s_cselect_b32 s47, -1, 0
	s_add_i32 s0, s2, 10
	s_mul_i32 s51, s11, 7
	s_cmp_lt_i32 s0, s33
	s_mul_i32 s53, s11, 9
	s_cselect_b32 s20, -1, 0
	s_ashr_i32 s15, s11, 31
	s_lshl_b32 s21, s11, 1
	s_lshl_b32 s48, s11, 2
	s_lshl_b64 s[14:15], s[14:15], 2
	s_lshl_b32 s52, s11, 3
	s_mul_i32 s54, s11, 10
	s_mul_i32 s55, s11, 11
	;; [unrolled: 1-line block ×6, first 2 shown]
	s_lshl_b32 s60, s11, 4
	s_mul_i32 s61, s11, 17
	s_mul_i32 s62, s11, 18
	;; [unrolled: 1-line block ×15, first 2 shown]
	s_branch .LBB66_6
.LBB66_5:                               ;   in Loop: Header=BB66_6 Depth=1
	s_or_b32 exec_lo, exec_lo, s0
	s_delay_alu instid0(VALU_DEP_1)
	v_perm_b32 v83, v83, v85, 0x7060302
	v_add_nc_u32_e32 v84, 0x400, v109
	v_add_nc_u32_e32 v85, 0x600, v109
	;; [unrolled: 1-line block ×3, first 2 shown]
	v_add_co_u32 v81, s0, 0x300, v81
	ds_store_2addr_b32 v84, v83, v110 offset0:104 offset1:140
	ds_store_2addr_b32 v84, v110, v110 offset0:176 offset1:212
	;; [unrolled: 1-line block ×3, first 2 shown]
	ds_load_b128 v[83:86], v111
	ds_load_b128 v[87:90], v111 offset:16
	ds_load_b128 v[91:94], v111 offset:32
	;; [unrolled: 1-line block ×5, first 2 shown]
	v_cmp_le_i32_e32 vcc_lo, s8, v80
	v_add_co_ci_u32_e64 v82, s0, 0, v82, s0
	s_or_b32 s41, vcc_lo, s41
	s_waitcnt lgkmcnt(4)
	v_wmma_f32_16x16x16_bf16 v[8:15], v[56:63], v[83:90], v[8:15]
	ds_load_b128 v[56:59], v111 offset:96
	ds_load_b128 v[60:63], v111 offset:112
	v_wmma_f32_16x16x16_bf16 v[0:7], v[72:79], v[83:90], v[0:7]
	s_waitcnt lgkmcnt(4)
	v_wmma_f32_16x16x16_bf16 v[8:15], v[40:47], v[91:98], v[8:15]
	s_delay_alu instid0(VALU_DEP_2) | instskip(SKIP_1) | instid1(VALU_DEP_2)
	v_wmma_f32_16x16x16_bf16 v[0:7], v[64:71], v[91:98], v[0:7]
	s_waitcnt lgkmcnt(2)
	v_wmma_f32_16x16x16_bf16 v[8:15], v[24:31], v[112:119], v[8:15]
	s_delay_alu instid0(VALU_DEP_2) | instskip(SKIP_1) | instid1(VALU_DEP_2)
	v_wmma_f32_16x16x16_bf16 v[0:7], v[48:55], v[112:119], v[0:7]
	s_waitcnt lgkmcnt(0)
	v_wmma_f32_16x16x16_bf16 v[8:15], v[16:23], v[56:63], v[8:15]
	s_delay_alu instid0(VALU_DEP_2)
	v_wmma_f32_16x16x16_bf16 v[0:7], v[32:39], v[56:63], v[0:7]
	s_and_not1_b32 exec_lo, exec_lo, s41
	s_cbranch_execz .LBB66_127
.LBB66_6:                               ; =>This Inner Loop Header: Depth=1
	v_dual_mov_b32 v103, 0 :: v_dual_add_nc_u32 v16, s21, v80
	v_add_nc_u32_e32 v22, s48, v80
	v_add_nc_u32_e32 v18, s45, v80
	v_add_co_u32 v20, vcc_lo, v81, s14
	s_delay_alu instid0(VALU_DEP_4)
	v_ashrrev_i32_e32 v17, 31, v16
	v_add_co_ci_u32_e32 v21, vcc_lo, s15, v82, vcc_lo
	v_ashrrev_i32_e32 v23, 31, v22
	v_ashrrev_i32_e32 v19, 31, v18
	v_add_nc_u32_e32 v24, s49, v80
	v_lshlrev_b64 v[16:17], 2, v[16:17]
	s_clause 0x1
	global_load_b32 v38, v[81:82], off
	global_load_b32 v39, v[20:21], off
	v_lshlrev_b64 v[20:21], 2, v[22:23]
	v_add_nc_u32_e32 v22, s50, v80
	v_lshlrev_b64 v[18:19], 2, v[18:19]
	v_ashrrev_i32_e32 v25, 31, v24
	v_add_nc_u32_e32 v26, s51, v80
	v_add_co_u32 v16, vcc_lo, s1, v16
	v_ashrrev_i32_e32 v23, 31, v22
	v_add_co_ci_u32_e32 v17, vcc_lo, s4, v17, vcc_lo
	v_add_nc_u32_e32 v28, s52, v80
	v_add_co_u32 v18, vcc_lo, s1, v18
	v_lshlrev_b64 v[24:25], 2, v[24:25]
	v_ashrrev_i32_e32 v27, 31, v26
	v_add_co_ci_u32_e32 v19, vcc_lo, s4, v19, vcc_lo
	v_add_nc_u32_e32 v30, s53, v80
	v_add_co_u32 v20, vcc_lo, s1, v20
	v_lshlrev_b64 v[22:23], 2, v[22:23]
	v_ashrrev_i32_e32 v29, 31, v28
	v_add_co_ci_u32_e32 v21, vcc_lo, s4, v21, vcc_lo
	v_add_co_u32 v24, vcc_lo, s1, v24
	v_lshlrev_b64 v[26:27], 2, v[26:27]
	v_ashrrev_i32_e32 v31, 31, v30
	v_add_co_ci_u32_e32 v25, vcc_lo, s4, v25, vcc_lo
	v_add_co_u32 v22, vcc_lo, s1, v22
	v_lshlrev_b64 v[28:29], 2, v[28:29]
	v_add_co_ci_u32_e32 v23, vcc_lo, s4, v23, vcc_lo
	v_add_nc_u32_e32 v32, s54, v80
	v_add_co_u32 v26, vcc_lo, s1, v26
	v_lshlrev_b64 v[30:31], 2, v[30:31]
	v_add_co_ci_u32_e32 v27, vcc_lo, s4, v27, vcc_lo
	v_add_nc_u32_e32 v34, s55, v80
	v_add_co_u32 v28, vcc_lo, s1, v28
	v_ashrrev_i32_e32 v33, 31, v32
	v_add_co_ci_u32_e32 v29, vcc_lo, s4, v29, vcc_lo
	v_add_nc_u32_e32 v36, s56, v80
	v_add_co_u32 v30, vcc_lo, s1, v30
	v_ashrrev_i32_e32 v35, 31, v34
	v_add_co_ci_u32_e32 v31, vcc_lo, s4, v31, vcc_lo
	s_clause 0x7
	global_load_b32 v40, v[16:17], off
	global_load_b32 v41, v[18:19], off
	global_load_b32 v42, v[20:21], off
	global_load_b32 v43, v[24:25], off
	global_load_b32 v44, v[22:23], off
	global_load_b32 v45, v[26:27], off
	global_load_b32 v46, v[28:29], off
	global_load_b32 v47, v[30:31], off
	v_add_nc_u32_e32 v18, s57, v80
	v_lshlrev_b64 v[32:33], 2, v[32:33]
	v_ashrrev_i32_e32 v37, 31, v36
	v_add_nc_u32_e32 v24, s58, v80
	v_lshlrev_b64 v[16:17], 2, v[34:35]
	v_ashrrev_i32_e32 v19, 31, v18
	v_add_nc_u32_e32 v26, s59, v80
	v_add_co_u32 v20, vcc_lo, s1, v32
	v_lshlrev_b64 v[22:23], 2, v[36:37]
	v_ashrrev_i32_e32 v25, 31, v24
	v_add_co_ci_u32_e32 v21, vcc_lo, s4, v33, vcc_lo
	v_add_nc_u32_e32 v28, s60, v80
	v_add_co_u32 v16, vcc_lo, s1, v16
	v_lshlrev_b64 v[18:19], 2, v[18:19]
	v_ashrrev_i32_e32 v27, 31, v26
	v_add_co_ci_u32_e32 v17, vcc_lo, s4, v17, vcc_lo
	v_add_nc_u32_e32 v30, s61, v80
	v_add_co_u32 v22, vcc_lo, s1, v22
	v_lshlrev_b64 v[24:25], 2, v[24:25]
	v_ashrrev_i32_e32 v29, 31, v28
	v_add_co_ci_u32_e32 v23, vcc_lo, s4, v23, vcc_lo
	v_add_co_u32 v18, vcc_lo, s1, v18
	v_lshlrev_b64 v[26:27], 2, v[26:27]
	v_ashrrev_i32_e32 v31, 31, v30
	v_add_co_ci_u32_e32 v19, vcc_lo, s4, v19, vcc_lo
	v_add_co_u32 v24, vcc_lo, s1, v24
	v_lshlrev_b64 v[28:29], 2, v[28:29]
	v_add_co_ci_u32_e32 v25, vcc_lo, s4, v25, vcc_lo
	v_add_nc_u32_e32 v32, s62, v80
	v_add_co_u32 v26, vcc_lo, s1, v26
	v_lshlrev_b64 v[30:31], 2, v[30:31]
	v_add_co_ci_u32_e32 v27, vcc_lo, s4, v27, vcc_lo
	v_add_nc_u32_e32 v34, s63, v80
	v_add_co_u32 v28, vcc_lo, s1, v28
	v_ashrrev_i32_e32 v33, 31, v32
	v_add_co_ci_u32_e32 v29, vcc_lo, s4, v29, vcc_lo
	v_add_nc_u32_e32 v36, s64, v80
	v_add_co_u32 v30, vcc_lo, s1, v30
	v_ashrrev_i32_e32 v35, 31, v34
	v_add_co_ci_u32_e32 v31, vcc_lo, s4, v31, vcc_lo
	s_clause 0x7
	global_load_b32 v48, v[20:21], off
	global_load_b32 v49, v[16:17], off
	global_load_b32 v50, v[22:23], off
	global_load_b32 v51, v[18:19], off
	global_load_b32 v52, v[24:25], off
	global_load_b32 v53, v[26:27], off
	global_load_b32 v54, v[28:29], off
	global_load_b32 v55, v[30:31], off
	v_add_nc_u32_e32 v18, s65, v80
	v_lshlrev_b64 v[32:33], 2, v[32:33]
	v_ashrrev_i32_e32 v37, 31, v36
	v_add_nc_u32_e32 v24, s66, v80
	v_lshlrev_b64 v[16:17], 2, v[34:35]
	v_ashrrev_i32_e32 v19, 31, v18
	v_add_nc_u32_e32 v26, s67, v80
	v_add_co_u32 v20, vcc_lo, s1, v32
	v_lshlrev_b64 v[22:23], 2, v[36:37]
	;; [unrolled: 49-line block ×3, first 2 shown]
	v_ashrrev_i32_e32 v25, 31, v24
	v_add_co_ci_u32_e32 v21, vcc_lo, s4, v33, vcc_lo
	v_add_co_u32 v16, vcc_lo, s1, v16
	v_lshlrev_b64 v[18:19], 2, v[18:19]
	v_ashrrev_i32_e32 v27, 31, v26
	v_add_co_ci_u32_e32 v17, vcc_lo, s4, v17, vcc_lo
	v_add_co_u32 v22, vcc_lo, s1, v22
	v_lshlrev_b64 v[24:25], 2, v[24:25]
	v_add_co_ci_u32_e32 v23, vcc_lo, s4, v23, vcc_lo
	v_add_co_u32 v18, vcc_lo, s1, v18
	v_lshlrev_b64 v[26:27], 2, v[26:27]
	v_add_co_ci_u32_e32 v19, vcc_lo, s4, v19, vcc_lo
	v_add_co_u32 v24, vcc_lo, s1, v24
	v_add_co_ci_u32_e32 v25, vcc_lo, s4, v25, vcc_lo
	s_delay_alu instid0(VALU_DEP_4)
	v_add_co_u32 v26, vcc_lo, s1, v26
	v_add_co_ci_u32_e32 v27, vcc_lo, s4, v27, vcc_lo
	s_clause 0x5
	global_load_b32 v32, v[20:21], off
	global_load_b32 v33, v[16:17], off
	;; [unrolled: 1-line block ×6, first 2 shown]
	v_mov_b32_e32 v104, 0
	s_and_not1_b32 vcc_lo, exec_lo, s37
	s_waitcnt vmcnt(31)
	ds_store_b32 v109, v38
	s_waitcnt vmcnt(30)
	ds_store_b32 v109, v39 offset:144
	s_waitcnt vmcnt(29)
	ds_store_b32 v109, v40 offset:288
	s_waitcnt vmcnt(28)
	ds_store_b32 v109, v41 offset:432
	s_waitcnt vmcnt(27)
	ds_store_b32 v109, v42 offset:576
	s_waitcnt vmcnt(26)
	ds_store_b32 v109, v43 offset:720
	s_waitcnt vmcnt(25)
	ds_store_b32 v109, v44 offset:864
	s_waitcnt vmcnt(24)
	ds_store_b32 v109, v45 offset:1008
	s_waitcnt vmcnt(23)
	ds_store_b32 v109, v46 offset:1152
	s_waitcnt vmcnt(22)
	ds_store_b32 v109, v47 offset:1296
	s_waitcnt vmcnt(21)
	ds_store_b32 v109, v48 offset:1440
	s_waitcnt vmcnt(20)
	ds_store_b32 v109, v49 offset:1584
	s_waitcnt vmcnt(19)
	ds_store_b32 v109, v50 offset:1728
	s_waitcnt vmcnt(18)
	ds_store_b32 v109, v51 offset:1872
	s_waitcnt vmcnt(17)
	ds_store_b32 v109, v52 offset:2016
	s_waitcnt vmcnt(16)
	ds_store_b32 v109, v53 offset:2160
	ds_load_b128 v[56:59], v111
	ds_load_b128 v[60:63], v111 offset:16
	ds_load_b128 v[40:43], v111 offset:32
	;; [unrolled: 1-line block ×7, first 2 shown]
	s_waitcnt vmcnt(15)
	ds_store_b32 v109, v54
	s_waitcnt vmcnt(14)
	ds_store_b32 v109, v55 offset:144
	s_waitcnt vmcnt(13)
	ds_store_b32 v109, v64 offset:288
	;; [unrolled: 2-line block ×15, first 2 shown]
	ds_load_b128 v[72:75], v111
	ds_load_b128 v[76:79], v111 offset:16
	ds_load_b128 v[64:67], v111 offset:32
	;; [unrolled: 1-line block ×7, first 2 shown]
	s_cbranch_vccnz .LBB66_9
; %bb.7:                                ;   in Loop: Header=BB66_6 Depth=1
	s_load_b32 s0, s[12:13], 0x0
	v_dual_mov_b32 v104, 0 :: v_dual_mov_b32 v103, 0
	s_waitcnt lgkmcnt(0)
	s_mul_hi_u32 s75, s0, s16
	s_delay_alu instid0(SALU_CYCLE_1) | instskip(NEXT) | instid1(SALU_CYCLE_1)
	s_add_i32 s75, s0, s75
	s_lshr_b32 s75, s75, s17
	s_delay_alu instid0(SALU_CYCLE_1)
	s_cmp_ge_i32 s75, s9
	s_cbranch_scc1 .LBB66_9
; %bb.8:                                ;   in Loop: Header=BB66_6 Depth=1
	v_mad_u64_u32 v[83:84], null, s75, s24, v[80:81]
	s_mul_i32 s75, s75, s18
	s_delay_alu instid0(SALU_CYCLE_1) | instskip(NEXT) | instid1(SALU_CYCLE_1)
	s_sub_i32 s0, s0, s75
	s_mul_i32 s0, s0, s5
	s_delay_alu instid0(VALU_DEP_1) | instid1(SALU_CYCLE_1)
	v_lshl_add_u32 v83, v83, 1, s0
	s_delay_alu instid0(VALU_DEP_1) | instskip(NEXT) | instid1(VALU_DEP_1)
	v_ashrrev_i32_e32 v84, 31, v83
	v_lshlrev_b64 v[83:84], 2, v[83:84]
	s_delay_alu instid0(VALU_DEP_1) | instskip(NEXT) | instid1(VALU_DEP_2)
	v_add_co_u32 v83, vcc_lo, s22, v83
	v_add_co_ci_u32_e32 v84, vcc_lo, s23, v84, vcc_lo
	global_load_b64 v[103:104], v[83:84], off
.LBB66_9:                               ;   in Loop: Header=BB66_6 Depth=1
	v_dual_mov_b32 v97, 0 :: v_dual_mov_b32 v102, 0
	v_mov_b32_e32 v101, 0
	s_and_not1_b32 vcc_lo, exec_lo, s3
	s_cbranch_vccnz .LBB66_12
; %bb.10:                               ;   in Loop: Header=BB66_6 Depth=1
	s_load_b32 s0, s[12:13], 0x4
	v_dual_mov_b32 v102, 0 :: v_dual_mov_b32 v101, 0
	s_waitcnt lgkmcnt(0)
	s_mul_hi_u32 s75, s0, s16
	s_delay_alu instid0(SALU_CYCLE_1) | instskip(NEXT) | instid1(SALU_CYCLE_1)
	s_add_i32 s75, s0, s75
	s_lshr_b32 s75, s75, s17
	s_delay_alu instid0(SALU_CYCLE_1)
	s_cmp_ge_i32 s75, s9
	s_cbranch_scc1 .LBB66_12
; %bb.11:                               ;   in Loop: Header=BB66_6 Depth=1
	v_mad_u64_u32 v[83:84], null, s75, s24, v[80:81]
	s_mul_i32 s75, s75, s18
	s_delay_alu instid0(SALU_CYCLE_1) | instskip(NEXT) | instid1(SALU_CYCLE_1)
	s_sub_i32 s0, s0, s75
	s_mul_i32 s0, s0, s5
	s_delay_alu instid0(VALU_DEP_1) | instid1(SALU_CYCLE_1)
	v_lshl_add_u32 v83, v83, 1, s0
	s_delay_alu instid0(VALU_DEP_1) | instskip(NEXT) | instid1(VALU_DEP_1)
	v_ashrrev_i32_e32 v84, 31, v83
	v_lshlrev_b64 v[83:84], 2, v[83:84]
	s_delay_alu instid0(VALU_DEP_1) | instskip(NEXT) | instid1(VALU_DEP_2)
	v_add_co_u32 v83, vcc_lo, s22, v83
	v_add_co_ci_u32_e32 v84, vcc_lo, s23, v84, vcc_lo
	global_load_b64 v[101:102], v[83:84], off
.LBB66_12:                              ;   in Loop: Header=BB66_6 Depth=1
	v_mov_b32_e32 v98, 0
	s_and_not1_b32 vcc_lo, exec_lo, s38
	s_cbranch_vccnz .LBB66_15
; %bb.13:                               ;   in Loop: Header=BB66_6 Depth=1
	s_load_b32 s0, s[12:13], 0x8
	v_dual_mov_b32 v98, 0 :: v_dual_mov_b32 v97, 0
	s_waitcnt lgkmcnt(0)
	s_mul_hi_u32 s75, s0, s16
	s_delay_alu instid0(SALU_CYCLE_1) | instskip(NEXT) | instid1(SALU_CYCLE_1)
	s_add_i32 s75, s0, s75
	s_lshr_b32 s75, s75, s17
	s_delay_alu instid0(SALU_CYCLE_1)
	s_cmp_ge_i32 s75, s9
	s_cbranch_scc1 .LBB66_15
; %bb.14:                               ;   in Loop: Header=BB66_6 Depth=1
	v_mad_u64_u32 v[83:84], null, s75, s24, v[80:81]
	s_mul_i32 s75, s75, s18
	s_delay_alu instid0(SALU_CYCLE_1) | instskip(NEXT) | instid1(SALU_CYCLE_1)
	s_sub_i32 s0, s0, s75
	s_mul_i32 s0, s0, s5
	s_delay_alu instid0(VALU_DEP_1) | instid1(SALU_CYCLE_1)
	v_lshl_add_u32 v83, v83, 1, s0
	s_delay_alu instid0(VALU_DEP_1) | instskip(NEXT) | instid1(VALU_DEP_1)
	v_ashrrev_i32_e32 v84, 31, v83
	v_lshlrev_b64 v[83:84], 2, v[83:84]
	s_delay_alu instid0(VALU_DEP_1) | instskip(NEXT) | instid1(VALU_DEP_2)
	v_add_co_u32 v83, vcc_lo, s22, v83
	v_add_co_ci_u32_e32 v84, vcc_lo, s23, v84, vcc_lo
	global_load_b64 v[97:98], v[83:84], off
.LBB66_15:                              ;   in Loop: Header=BB66_6 Depth=1
	v_dual_mov_b32 v93, 0 :: v_dual_mov_b32 v100, 0
	v_mov_b32_e32 v99, 0
	s_and_not1_b32 vcc_lo, exec_lo, s39
	s_cbranch_vccnz .LBB66_18
; %bb.16:                               ;   in Loop: Header=BB66_6 Depth=1
	s_load_b32 s0, s[12:13], 0xc
	v_dual_mov_b32 v100, 0 :: v_dual_mov_b32 v99, 0
	s_waitcnt lgkmcnt(0)
	s_mul_hi_u32 s75, s0, s16
	s_delay_alu instid0(SALU_CYCLE_1) | instskip(NEXT) | instid1(SALU_CYCLE_1)
	s_add_i32 s75, s0, s75
	s_lshr_b32 s75, s75, s17
	s_delay_alu instid0(SALU_CYCLE_1)
	s_cmp_ge_i32 s75, s9
	s_cbranch_scc1 .LBB66_18
; %bb.17:                               ;   in Loop: Header=BB66_6 Depth=1
	v_mad_u64_u32 v[83:84], null, s75, s24, v[80:81]
	s_mul_i32 s75, s75, s18
	s_delay_alu instid0(SALU_CYCLE_1) | instskip(NEXT) | instid1(SALU_CYCLE_1)
	s_sub_i32 s0, s0, s75
	s_mul_i32 s0, s0, s5
	s_delay_alu instid0(VALU_DEP_1) | instid1(SALU_CYCLE_1)
	v_lshl_add_u32 v83, v83, 1, s0
	s_delay_alu instid0(VALU_DEP_1) | instskip(NEXT) | instid1(VALU_DEP_1)
	v_ashrrev_i32_e32 v84, 31, v83
	v_lshlrev_b64 v[83:84], 2, v[83:84]
	s_delay_alu instid0(VALU_DEP_1) | instskip(NEXT) | instid1(VALU_DEP_2)
	v_add_co_u32 v83, vcc_lo, s22, v83
	v_add_co_ci_u32_e32 v84, vcc_lo, s23, v84, vcc_lo
	global_load_b64 v[99:100], v[83:84], off
.LBB66_18:                              ;   in Loop: Header=BB66_6 Depth=1
	v_mov_b32_e32 v94, 0
	s_and_not1_b32 vcc_lo, exec_lo, s40
	s_cbranch_vccnz .LBB66_21
; %bb.19:                               ;   in Loop: Header=BB66_6 Depth=1
	s_load_b32 s0, s[12:13], 0x10
	v_dual_mov_b32 v94, 0 :: v_dual_mov_b32 v93, 0
	s_waitcnt lgkmcnt(0)
	s_mul_hi_u32 s75, s0, s16
	s_delay_alu instid0(SALU_CYCLE_1) | instskip(NEXT) | instid1(SALU_CYCLE_1)
	s_add_i32 s75, s0, s75
	s_lshr_b32 s75, s75, s17
	s_delay_alu instid0(SALU_CYCLE_1)
	s_cmp_ge_i32 s75, s9
	s_cbranch_scc1 .LBB66_21
; %bb.20:                               ;   in Loop: Header=BB66_6 Depth=1
	v_mad_u64_u32 v[83:84], null, s75, s24, v[80:81]
	s_mul_i32 s75, s75, s18
	s_delay_alu instid0(SALU_CYCLE_1) | instskip(NEXT) | instid1(SALU_CYCLE_1)
	s_sub_i32 s0, s0, s75
	s_mul_i32 s0, s0, s5
	s_delay_alu instid0(VALU_DEP_1) | instid1(SALU_CYCLE_1)
	v_lshl_add_u32 v83, v83, 1, s0
	s_delay_alu instid0(VALU_DEP_1) | instskip(NEXT) | instid1(VALU_DEP_1)
	v_ashrrev_i32_e32 v84, 31, v83
	v_lshlrev_b64 v[83:84], 2, v[83:84]
	s_delay_alu instid0(VALU_DEP_1) | instskip(NEXT) | instid1(VALU_DEP_2)
	v_add_co_u32 v83, vcc_lo, s22, v83
	v_add_co_ci_u32_e32 v84, vcc_lo, s23, v84, vcc_lo
	global_load_b64 v[93:94], v[83:84], off
.LBB66_21:                              ;   in Loop: Header=BB66_6 Depth=1
	;; [unrolled: 61-line block ×5, first 2 shown]
	s_waitcnt vmcnt(0)
	v_and_b32_e32 v112, 0x7f800000, v103
	s_delay_alu instid0(VALU_DEP_1) | instskip(SKIP_1) | instid1(SALU_CYCLE_1)
	v_cmp_ne_u32_e32 vcc_lo, 0x7f800000, v112
                                        ; implicit-def: $vgpr112
	s_and_saveexec_b32 s0, vcc_lo
	s_xor_b32 s0, exec_lo, s0
; %bb.40:                               ;   in Loop: Header=BB66_6 Depth=1
	v_bfe_u32 v112, v103, 16, 1
	s_delay_alu instid0(VALU_DEP_1)
	v_add3_u32 v112, v103, v112, 0x7fff
; %bb.41:                               ;   in Loop: Header=BB66_6 Depth=1
	s_and_not1_saveexec_b32 s0, s0
; %bb.42:                               ;   in Loop: Header=BB66_6 Depth=1
	v_and_b32_e32 v112, 0xffff, v103
	v_or_b32_e32 v113, 0x10000, v103
	s_delay_alu instid0(VALU_DEP_2) | instskip(NEXT) | instid1(VALU_DEP_2)
	v_cmp_eq_u32_e32 vcc_lo, 0, v112
	v_cndmask_b32_e32 v112, v113, v103, vcc_lo
; %bb.43:                               ;   in Loop: Header=BB66_6 Depth=1
	s_or_b32 exec_lo, exec_lo, s0
	v_and_b32_e32 v103, 0x7f800000, v104
	s_delay_alu instid0(VALU_DEP_1) | instskip(SKIP_1) | instid1(SALU_CYCLE_1)
	v_cmp_ne_u32_e32 vcc_lo, 0x7f800000, v103
                                        ; implicit-def: $vgpr103
	s_and_saveexec_b32 s0, vcc_lo
	s_xor_b32 s0, exec_lo, s0
; %bb.44:                               ;   in Loop: Header=BB66_6 Depth=1
	v_bfe_u32 v103, v104, 16, 1
	s_delay_alu instid0(VALU_DEP_1)
	v_add3_u32 v103, v104, v103, 0x7fff
                                        ; implicit-def: $vgpr104
; %bb.45:                               ;   in Loop: Header=BB66_6 Depth=1
	s_and_not1_saveexec_b32 s0, s0
; %bb.46:                               ;   in Loop: Header=BB66_6 Depth=1
	v_and_b32_e32 v103, 0xffff, v104
	v_or_b32_e32 v113, 0x10000, v104
	s_delay_alu instid0(VALU_DEP_2) | instskip(NEXT) | instid1(VALU_DEP_2)
	v_cmp_eq_u32_e32 vcc_lo, 0, v103
	v_cndmask_b32_e32 v103, v113, v104, vcc_lo
; %bb.47:                               ;   in Loop: Header=BB66_6 Depth=1
	s_or_b32 exec_lo, exec_lo, s0
	v_and_b32_e32 v104, 0x7f800000, v101
	s_delay_alu instid0(VALU_DEP_2)
	v_perm_b32 v103, v103, v112, 0x7060302
	s_mov_b32 s0, exec_lo
	ds_store_b32 v109, v103
                                        ; implicit-def: $vgpr103
	v_cmpx_ne_u32_e32 0x7f800000, v104
	s_xor_b32 s0, exec_lo, s0
; %bb.48:                               ;   in Loop: Header=BB66_6 Depth=1
	v_bfe_u32 v103, v101, 16, 1
	s_delay_alu instid0(VALU_DEP_1)
	v_add3_u32 v103, v101, v103, 0x7fff
; %bb.49:                               ;   in Loop: Header=BB66_6 Depth=1
	s_and_not1_saveexec_b32 s0, s0
; %bb.50:                               ;   in Loop: Header=BB66_6 Depth=1
	v_and_b32_e32 v103, 0xffff, v101
	v_or_b32_e32 v104, 0x10000, v101
	s_delay_alu instid0(VALU_DEP_2) | instskip(NEXT) | instid1(VALU_DEP_2)
	v_cmp_eq_u32_e32 vcc_lo, 0, v103
	v_cndmask_b32_e32 v103, v104, v101, vcc_lo
; %bb.51:                               ;   in Loop: Header=BB66_6 Depth=1
	s_or_b32 exec_lo, exec_lo, s0
	v_and_b32_e32 v101, 0x7f800000, v102
	s_delay_alu instid0(VALU_DEP_1) | instskip(SKIP_1) | instid1(SALU_CYCLE_1)
	v_cmp_ne_u32_e32 vcc_lo, 0x7f800000, v101
                                        ; implicit-def: $vgpr101
	s_and_saveexec_b32 s0, vcc_lo
	s_xor_b32 s0, exec_lo, s0
; %bb.52:                               ;   in Loop: Header=BB66_6 Depth=1
	v_bfe_u32 v101, v102, 16, 1
	s_delay_alu instid0(VALU_DEP_1)
	v_add3_u32 v101, v102, v101, 0x7fff
                                        ; implicit-def: $vgpr102
; %bb.53:                               ;   in Loop: Header=BB66_6 Depth=1
	s_and_not1_saveexec_b32 s0, s0
; %bb.54:                               ;   in Loop: Header=BB66_6 Depth=1
	v_and_b32_e32 v101, 0xffff, v102
	v_or_b32_e32 v104, 0x10000, v102
	s_delay_alu instid0(VALU_DEP_2) | instskip(NEXT) | instid1(VALU_DEP_2)
	v_cmp_eq_u32_e32 vcc_lo, 0, v101
	v_cndmask_b32_e32 v101, v104, v102, vcc_lo
; %bb.55:                               ;   in Loop: Header=BB66_6 Depth=1
	s_or_b32 exec_lo, exec_lo, s0
	v_and_b32_e32 v102, 0x7f800000, v97
	s_delay_alu instid0(VALU_DEP_2)
	v_perm_b32 v101, v101, v103, 0x7060302
	s_mov_b32 s0, exec_lo
	ds_store_b32 v109, v101 offset:144
                                        ; implicit-def: $vgpr101
	v_cmpx_ne_u32_e32 0x7f800000, v102
	s_xor_b32 s0, exec_lo, s0
; %bb.56:                               ;   in Loop: Header=BB66_6 Depth=1
	v_bfe_u32 v101, v97, 16, 1
	s_delay_alu instid0(VALU_DEP_1)
	v_add3_u32 v101, v97, v101, 0x7fff
; %bb.57:                               ;   in Loop: Header=BB66_6 Depth=1
	s_and_not1_saveexec_b32 s0, s0
; %bb.58:                               ;   in Loop: Header=BB66_6 Depth=1
	v_and_b32_e32 v101, 0xffff, v97
	v_or_b32_e32 v102, 0x10000, v97
	s_delay_alu instid0(VALU_DEP_2) | instskip(NEXT) | instid1(VALU_DEP_2)
	v_cmp_eq_u32_e32 vcc_lo, 0, v101
	v_cndmask_b32_e32 v101, v102, v97, vcc_lo
; %bb.59:                               ;   in Loop: Header=BB66_6 Depth=1
	s_or_b32 exec_lo, exec_lo, s0
	v_and_b32_e32 v97, 0x7f800000, v98
	s_delay_alu instid0(VALU_DEP_1) | instskip(SKIP_1) | instid1(SALU_CYCLE_1)
	v_cmp_ne_u32_e32 vcc_lo, 0x7f800000, v97
                                        ; implicit-def: $vgpr97
	s_and_saveexec_b32 s0, vcc_lo
	s_xor_b32 s0, exec_lo, s0
; %bb.60:                               ;   in Loop: Header=BB66_6 Depth=1
	v_bfe_u32 v97, v98, 16, 1
	s_delay_alu instid0(VALU_DEP_1)
	v_add3_u32 v97, v98, v97, 0x7fff
                                        ; implicit-def: $vgpr98
; %bb.61:                               ;   in Loop: Header=BB66_6 Depth=1
	s_and_not1_saveexec_b32 s0, s0
; %bb.62:                               ;   in Loop: Header=BB66_6 Depth=1
	v_and_b32_e32 v97, 0xffff, v98
	v_or_b32_e32 v102, 0x10000, v98
	s_delay_alu instid0(VALU_DEP_2) | instskip(NEXT) | instid1(VALU_DEP_2)
	v_cmp_eq_u32_e32 vcc_lo, 0, v97
	v_cndmask_b32_e32 v97, v102, v98, vcc_lo
; %bb.63:                               ;   in Loop: Header=BB66_6 Depth=1
	s_or_b32 exec_lo, exec_lo, s0
	v_and_b32_e32 v98, 0x7f800000, v99
	s_delay_alu instid0(VALU_DEP_2)
	v_perm_b32 v97, v97, v101, 0x7060302
	s_mov_b32 s0, exec_lo
	ds_store_b32 v109, v97 offset:288
                                        ; implicit-def: $vgpr97
	v_cmpx_ne_u32_e32 0x7f800000, v98
	s_xor_b32 s0, exec_lo, s0
; %bb.64:                               ;   in Loop: Header=BB66_6 Depth=1
	v_bfe_u32 v97, v99, 16, 1
	s_delay_alu instid0(VALU_DEP_1)
	v_add3_u32 v97, v99, v97, 0x7fff
; %bb.65:                               ;   in Loop: Header=BB66_6 Depth=1
	s_and_not1_saveexec_b32 s0, s0
; %bb.66:                               ;   in Loop: Header=BB66_6 Depth=1
	v_and_b32_e32 v97, 0xffff, v99
	v_or_b32_e32 v98, 0x10000, v99
	s_delay_alu instid0(VALU_DEP_2) | instskip(NEXT) | instid1(VALU_DEP_2)
	v_cmp_eq_u32_e32 vcc_lo, 0, v97
	v_cndmask_b32_e32 v97, v98, v99, vcc_lo
; %bb.67:                               ;   in Loop: Header=BB66_6 Depth=1
	s_or_b32 exec_lo, exec_lo, s0
	v_and_b32_e32 v98, 0x7f800000, v100
	s_delay_alu instid0(VALU_DEP_1) | instskip(SKIP_1) | instid1(SALU_CYCLE_1)
	v_cmp_ne_u32_e32 vcc_lo, 0x7f800000, v98
                                        ; implicit-def: $vgpr98
	s_and_saveexec_b32 s0, vcc_lo
	s_xor_b32 s0, exec_lo, s0
; %bb.68:                               ;   in Loop: Header=BB66_6 Depth=1
	v_bfe_u32 v98, v100, 16, 1
	s_delay_alu instid0(VALU_DEP_1)
	v_add3_u32 v98, v100, v98, 0x7fff
                                        ; implicit-def: $vgpr100
; %bb.69:                               ;   in Loop: Header=BB66_6 Depth=1
	s_and_not1_saveexec_b32 s0, s0
; %bb.70:                               ;   in Loop: Header=BB66_6 Depth=1
	v_and_b32_e32 v98, 0xffff, v100
	v_or_b32_e32 v99, 0x10000, v100
	s_delay_alu instid0(VALU_DEP_2) | instskip(NEXT) | instid1(VALU_DEP_2)
	v_cmp_eq_u32_e32 vcc_lo, 0, v98
	v_cndmask_b32_e32 v98, v99, v100, vcc_lo
; %bb.71:                               ;   in Loop: Header=BB66_6 Depth=1
	s_or_b32 exec_lo, exec_lo, s0
	v_and_b32_e32 v99, 0x7f800000, v93
	s_delay_alu instid0(VALU_DEP_2)
	v_perm_b32 v97, v98, v97, 0x7060302
	s_mov_b32 s0, exec_lo
	ds_store_b32 v109, v97 offset:432
                                        ; implicit-def: $vgpr97
	v_cmpx_ne_u32_e32 0x7f800000, v99
	s_xor_b32 s0, exec_lo, s0
; %bb.72:                               ;   in Loop: Header=BB66_6 Depth=1
	v_bfe_u32 v97, v93, 16, 1
	s_delay_alu instid0(VALU_DEP_1)
	v_add3_u32 v97, v93, v97, 0x7fff
; %bb.73:                               ;   in Loop: Header=BB66_6 Depth=1
	s_and_not1_saveexec_b32 s0, s0
; %bb.74:                               ;   in Loop: Header=BB66_6 Depth=1
	v_and_b32_e32 v97, 0xffff, v93
	v_or_b32_e32 v98, 0x10000, v93
	s_delay_alu instid0(VALU_DEP_2) | instskip(NEXT) | instid1(VALU_DEP_2)
	v_cmp_eq_u32_e32 vcc_lo, 0, v97
	v_cndmask_b32_e32 v97, v98, v93, vcc_lo
; %bb.75:                               ;   in Loop: Header=BB66_6 Depth=1
	s_or_b32 exec_lo, exec_lo, s0
	v_and_b32_e32 v93, 0x7f800000, v94
	s_delay_alu instid0(VALU_DEP_1) | instskip(SKIP_1) | instid1(SALU_CYCLE_1)
	v_cmp_ne_u32_e32 vcc_lo, 0x7f800000, v93
                                        ; implicit-def: $vgpr93
	s_and_saveexec_b32 s0, vcc_lo
	s_xor_b32 s0, exec_lo, s0
; %bb.76:                               ;   in Loop: Header=BB66_6 Depth=1
	v_bfe_u32 v93, v94, 16, 1
	s_delay_alu instid0(VALU_DEP_1)
	v_add3_u32 v93, v94, v93, 0x7fff
                                        ; implicit-def: $vgpr94
; %bb.77:                               ;   in Loop: Header=BB66_6 Depth=1
	s_and_not1_saveexec_b32 s0, s0
; %bb.78:                               ;   in Loop: Header=BB66_6 Depth=1
	v_and_b32_e32 v93, 0xffff, v94
	v_or_b32_e32 v98, 0x10000, v94
	s_delay_alu instid0(VALU_DEP_2) | instskip(NEXT) | instid1(VALU_DEP_2)
	v_cmp_eq_u32_e32 vcc_lo, 0, v93
	v_cndmask_b32_e32 v93, v98, v94, vcc_lo
; %bb.79:                               ;   in Loop: Header=BB66_6 Depth=1
	s_or_b32 exec_lo, exec_lo, s0
	v_and_b32_e32 v94, 0x7f800000, v95
	s_delay_alu instid0(VALU_DEP_2)
	v_perm_b32 v93, v93, v97, 0x7060302
	s_mov_b32 s0, exec_lo
	ds_store_b32 v109, v93 offset:576
                                        ; implicit-def: $vgpr93
	v_cmpx_ne_u32_e32 0x7f800000, v94
	s_xor_b32 s0, exec_lo, s0
; %bb.80:                               ;   in Loop: Header=BB66_6 Depth=1
	v_bfe_u32 v93, v95, 16, 1
	s_delay_alu instid0(VALU_DEP_1)
	v_add3_u32 v93, v95, v93, 0x7fff
; %bb.81:                               ;   in Loop: Header=BB66_6 Depth=1
	s_and_not1_saveexec_b32 s0, s0
; %bb.82:                               ;   in Loop: Header=BB66_6 Depth=1
	v_and_b32_e32 v93, 0xffff, v95
	v_or_b32_e32 v94, 0x10000, v95
	s_delay_alu instid0(VALU_DEP_2) | instskip(NEXT) | instid1(VALU_DEP_2)
	v_cmp_eq_u32_e32 vcc_lo, 0, v93
	v_cndmask_b32_e32 v93, v94, v95, vcc_lo
; %bb.83:                               ;   in Loop: Header=BB66_6 Depth=1
	s_or_b32 exec_lo, exec_lo, s0
	v_and_b32_e32 v94, 0x7f800000, v96
	s_delay_alu instid0(VALU_DEP_1) | instskip(SKIP_1) | instid1(SALU_CYCLE_1)
	v_cmp_ne_u32_e32 vcc_lo, 0x7f800000, v94
                                        ; implicit-def: $vgpr94
	s_and_saveexec_b32 s0, vcc_lo
	s_xor_b32 s0, exec_lo, s0
; %bb.84:                               ;   in Loop: Header=BB66_6 Depth=1
	v_bfe_u32 v94, v96, 16, 1
	s_delay_alu instid0(VALU_DEP_1)
	v_add3_u32 v94, v96, v94, 0x7fff
                                        ; implicit-def: $vgpr96
; %bb.85:                               ;   in Loop: Header=BB66_6 Depth=1
	s_and_not1_saveexec_b32 s0, s0
; %bb.86:                               ;   in Loop: Header=BB66_6 Depth=1
	v_and_b32_e32 v94, 0xffff, v96
	v_or_b32_e32 v95, 0x10000, v96
	s_delay_alu instid0(VALU_DEP_2) | instskip(NEXT) | instid1(VALU_DEP_2)
	v_cmp_eq_u32_e32 vcc_lo, 0, v94
	v_cndmask_b32_e32 v94, v95, v96, vcc_lo
; %bb.87:                               ;   in Loop: Header=BB66_6 Depth=1
	s_or_b32 exec_lo, exec_lo, s0
	v_and_b32_e32 v95, 0x7f800000, v89
	s_delay_alu instid0(VALU_DEP_2)
	v_perm_b32 v93, v94, v93, 0x7060302
	s_mov_b32 s0, exec_lo
	ds_store_b32 v109, v93 offset:720
                                        ; implicit-def: $vgpr93
	v_cmpx_ne_u32_e32 0x7f800000, v95
	s_xor_b32 s0, exec_lo, s0
; %bb.88:                               ;   in Loop: Header=BB66_6 Depth=1
	v_bfe_u32 v93, v89, 16, 1
	s_delay_alu instid0(VALU_DEP_1)
	v_add3_u32 v93, v89, v93, 0x7fff
; %bb.89:                               ;   in Loop: Header=BB66_6 Depth=1
	s_and_not1_saveexec_b32 s0, s0
; %bb.90:                               ;   in Loop: Header=BB66_6 Depth=1
	v_and_b32_e32 v93, 0xffff, v89
	v_or_b32_e32 v94, 0x10000, v89
	s_delay_alu instid0(VALU_DEP_2) | instskip(NEXT) | instid1(VALU_DEP_2)
	v_cmp_eq_u32_e32 vcc_lo, 0, v93
	v_cndmask_b32_e32 v93, v94, v89, vcc_lo
; %bb.91:                               ;   in Loop: Header=BB66_6 Depth=1
	s_or_b32 exec_lo, exec_lo, s0
	v_and_b32_e32 v89, 0x7f800000, v90
	s_delay_alu instid0(VALU_DEP_1) | instskip(SKIP_1) | instid1(SALU_CYCLE_1)
	v_cmp_ne_u32_e32 vcc_lo, 0x7f800000, v89
                                        ; implicit-def: $vgpr89
	s_and_saveexec_b32 s0, vcc_lo
	s_xor_b32 s0, exec_lo, s0
; %bb.92:                               ;   in Loop: Header=BB66_6 Depth=1
	v_bfe_u32 v89, v90, 16, 1
	s_delay_alu instid0(VALU_DEP_1)
	v_add3_u32 v89, v90, v89, 0x7fff
                                        ; implicit-def: $vgpr90
; %bb.93:                               ;   in Loop: Header=BB66_6 Depth=1
	s_and_not1_saveexec_b32 s0, s0
; %bb.94:                               ;   in Loop: Header=BB66_6 Depth=1
	v_and_b32_e32 v89, 0xffff, v90
	v_or_b32_e32 v94, 0x10000, v90
	s_delay_alu instid0(VALU_DEP_2) | instskip(NEXT) | instid1(VALU_DEP_2)
	v_cmp_eq_u32_e32 vcc_lo, 0, v89
	v_cndmask_b32_e32 v89, v94, v90, vcc_lo
; %bb.95:                               ;   in Loop: Header=BB66_6 Depth=1
	s_or_b32 exec_lo, exec_lo, s0
	v_and_b32_e32 v90, 0x7f800000, v91
	s_delay_alu instid0(VALU_DEP_2)
	v_perm_b32 v89, v89, v93, 0x7060302
	s_mov_b32 s0, exec_lo
	ds_store_b32 v109, v89 offset:864
                                        ; implicit-def: $vgpr89
	v_cmpx_ne_u32_e32 0x7f800000, v90
	s_xor_b32 s0, exec_lo, s0
; %bb.96:                               ;   in Loop: Header=BB66_6 Depth=1
	v_bfe_u32 v89, v91, 16, 1
	s_delay_alu instid0(VALU_DEP_1)
	v_add3_u32 v89, v91, v89, 0x7fff
; %bb.97:                               ;   in Loop: Header=BB66_6 Depth=1
	s_and_not1_saveexec_b32 s0, s0
; %bb.98:                               ;   in Loop: Header=BB66_6 Depth=1
	v_and_b32_e32 v89, 0xffff, v91
	v_or_b32_e32 v90, 0x10000, v91
	s_delay_alu instid0(VALU_DEP_2) | instskip(NEXT) | instid1(VALU_DEP_2)
	v_cmp_eq_u32_e32 vcc_lo, 0, v89
	v_cndmask_b32_e32 v89, v90, v91, vcc_lo
; %bb.99:                               ;   in Loop: Header=BB66_6 Depth=1
	s_or_b32 exec_lo, exec_lo, s0
	v_and_b32_e32 v90, 0x7f800000, v92
	s_delay_alu instid0(VALU_DEP_1) | instskip(SKIP_1) | instid1(SALU_CYCLE_1)
	v_cmp_ne_u32_e32 vcc_lo, 0x7f800000, v90
                                        ; implicit-def: $vgpr90
	s_and_saveexec_b32 s0, vcc_lo
	s_xor_b32 s0, exec_lo, s0
; %bb.100:                              ;   in Loop: Header=BB66_6 Depth=1
	v_bfe_u32 v90, v92, 16, 1
	s_delay_alu instid0(VALU_DEP_1)
	v_add3_u32 v90, v92, v90, 0x7fff
                                        ; implicit-def: $vgpr92
; %bb.101:                              ;   in Loop: Header=BB66_6 Depth=1
	s_and_not1_saveexec_b32 s0, s0
; %bb.102:                              ;   in Loop: Header=BB66_6 Depth=1
	v_and_b32_e32 v90, 0xffff, v92
	v_or_b32_e32 v91, 0x10000, v92
	s_delay_alu instid0(VALU_DEP_2) | instskip(NEXT) | instid1(VALU_DEP_2)
	v_cmp_eq_u32_e32 vcc_lo, 0, v90
	v_cndmask_b32_e32 v90, v91, v92, vcc_lo
; %bb.103:                              ;   in Loop: Header=BB66_6 Depth=1
	s_or_b32 exec_lo, exec_lo, s0
	v_and_b32_e32 v91, 0x7f800000, v85
	s_delay_alu instid0(VALU_DEP_2)
	v_perm_b32 v89, v90, v89, 0x7060302
	s_mov_b32 s0, exec_lo
	ds_store_b32 v109, v89 offset:1008
                                        ; implicit-def: $vgpr89
	v_cmpx_ne_u32_e32 0x7f800000, v91
	s_xor_b32 s0, exec_lo, s0
; %bb.104:                              ;   in Loop: Header=BB66_6 Depth=1
	v_bfe_u32 v89, v85, 16, 1
	s_delay_alu instid0(VALU_DEP_1)
	v_add3_u32 v89, v85, v89, 0x7fff
; %bb.105:                              ;   in Loop: Header=BB66_6 Depth=1
	s_and_not1_saveexec_b32 s0, s0
; %bb.106:                              ;   in Loop: Header=BB66_6 Depth=1
	v_and_b32_e32 v89, 0xffff, v85
	v_or_b32_e32 v90, 0x10000, v85
	s_delay_alu instid0(VALU_DEP_2) | instskip(NEXT) | instid1(VALU_DEP_2)
	v_cmp_eq_u32_e32 vcc_lo, 0, v89
	v_cndmask_b32_e32 v89, v90, v85, vcc_lo
; %bb.107:                              ;   in Loop: Header=BB66_6 Depth=1
	s_or_b32 exec_lo, exec_lo, s0
	v_and_b32_e32 v85, 0x7f800000, v86
	s_delay_alu instid0(VALU_DEP_1) | instskip(SKIP_1) | instid1(SALU_CYCLE_1)
	v_cmp_ne_u32_e32 vcc_lo, 0x7f800000, v85
                                        ; implicit-def: $vgpr85
	s_and_saveexec_b32 s0, vcc_lo
	s_xor_b32 s0, exec_lo, s0
; %bb.108:                              ;   in Loop: Header=BB66_6 Depth=1
	v_bfe_u32 v85, v86, 16, 1
	s_delay_alu instid0(VALU_DEP_1)
	v_add3_u32 v85, v86, v85, 0x7fff
                                        ; implicit-def: $vgpr86
; %bb.109:                              ;   in Loop: Header=BB66_6 Depth=1
	s_and_not1_saveexec_b32 s0, s0
; %bb.110:                              ;   in Loop: Header=BB66_6 Depth=1
	v_and_b32_e32 v85, 0xffff, v86
	v_or_b32_e32 v90, 0x10000, v86
	s_delay_alu instid0(VALU_DEP_2) | instskip(NEXT) | instid1(VALU_DEP_2)
	v_cmp_eq_u32_e32 vcc_lo, 0, v85
	v_cndmask_b32_e32 v85, v90, v86, vcc_lo
; %bb.111:                              ;   in Loop: Header=BB66_6 Depth=1
	s_or_b32 exec_lo, exec_lo, s0
	v_and_b32_e32 v86, 0x7f800000, v87
	s_delay_alu instid0(VALU_DEP_2)
	v_perm_b32 v85, v85, v89, 0x7060302
	s_mov_b32 s0, exec_lo
	ds_store_b32 v109, v85 offset:1152
                                        ; implicit-def: $vgpr85
	v_cmpx_ne_u32_e32 0x7f800000, v86
	s_xor_b32 s0, exec_lo, s0
; %bb.112:                              ;   in Loop: Header=BB66_6 Depth=1
	v_bfe_u32 v85, v87, 16, 1
	s_delay_alu instid0(VALU_DEP_1)
	v_add3_u32 v85, v87, v85, 0x7fff
; %bb.113:                              ;   in Loop: Header=BB66_6 Depth=1
	s_and_not1_saveexec_b32 s0, s0
; %bb.114:                              ;   in Loop: Header=BB66_6 Depth=1
	v_and_b32_e32 v85, 0xffff, v87
	v_or_b32_e32 v86, 0x10000, v87
	s_delay_alu instid0(VALU_DEP_2) | instskip(NEXT) | instid1(VALU_DEP_2)
	v_cmp_eq_u32_e32 vcc_lo, 0, v85
	v_cndmask_b32_e32 v85, v86, v87, vcc_lo
; %bb.115:                              ;   in Loop: Header=BB66_6 Depth=1
	s_or_b32 exec_lo, exec_lo, s0
	v_and_b32_e32 v86, 0x7f800000, v88
	s_delay_alu instid0(VALU_DEP_1) | instskip(SKIP_1) | instid1(SALU_CYCLE_1)
	v_cmp_ne_u32_e32 vcc_lo, 0x7f800000, v86
                                        ; implicit-def: $vgpr86
	s_and_saveexec_b32 s0, vcc_lo
	s_xor_b32 s0, exec_lo, s0
; %bb.116:                              ;   in Loop: Header=BB66_6 Depth=1
	v_bfe_u32 v86, v88, 16, 1
	s_delay_alu instid0(VALU_DEP_1)
	v_add3_u32 v86, v88, v86, 0x7fff
                                        ; implicit-def: $vgpr88
; %bb.117:                              ;   in Loop: Header=BB66_6 Depth=1
	s_and_not1_saveexec_b32 s0, s0
; %bb.118:                              ;   in Loop: Header=BB66_6 Depth=1
	v_and_b32_e32 v86, 0xffff, v88
	v_or_b32_e32 v87, 0x10000, v88
	s_delay_alu instid0(VALU_DEP_2) | instskip(NEXT) | instid1(VALU_DEP_2)
	v_cmp_eq_u32_e32 vcc_lo, 0, v86
	v_cndmask_b32_e32 v86, v87, v88, vcc_lo
; %bb.119:                              ;   in Loop: Header=BB66_6 Depth=1
	s_or_b32 exec_lo, exec_lo, s0
	v_and_b32_e32 v87, 0x7f800000, v83
	s_delay_alu instid0(VALU_DEP_2)
	v_perm_b32 v85, v86, v85, 0x7060302
	s_mov_b32 s0, exec_lo
	ds_store_b32 v109, v85 offset:1296
                                        ; implicit-def: $vgpr85
	v_cmpx_ne_u32_e32 0x7f800000, v87
	s_xor_b32 s0, exec_lo, s0
; %bb.120:                              ;   in Loop: Header=BB66_6 Depth=1
	v_bfe_u32 v85, v83, 16, 1
	s_delay_alu instid0(VALU_DEP_1)
	v_add3_u32 v85, v83, v85, 0x7fff
; %bb.121:                              ;   in Loop: Header=BB66_6 Depth=1
	s_and_not1_saveexec_b32 s0, s0
; %bb.122:                              ;   in Loop: Header=BB66_6 Depth=1
	v_and_b32_e32 v85, 0xffff, v83
	v_or_b32_e32 v86, 0x10000, v83
	s_delay_alu instid0(VALU_DEP_2) | instskip(NEXT) | instid1(VALU_DEP_2)
	v_cmp_eq_u32_e32 vcc_lo, 0, v85
	v_cndmask_b32_e32 v85, v86, v83, vcc_lo
; %bb.123:                              ;   in Loop: Header=BB66_6 Depth=1
	s_or_b32 exec_lo, exec_lo, s0
	v_and_b32_e32 v83, 0x7f800000, v84
	s_delay_alu instid0(VALU_DEP_1) | instskip(SKIP_1) | instid1(SALU_CYCLE_1)
	v_cmp_ne_u32_e32 vcc_lo, 0x7f800000, v83
                                        ; implicit-def: $vgpr83
	s_and_saveexec_b32 s0, vcc_lo
	s_xor_b32 s0, exec_lo, s0
; %bb.124:                              ;   in Loop: Header=BB66_6 Depth=1
	v_bfe_u32 v83, v84, 16, 1
	s_delay_alu instid0(VALU_DEP_1)
	v_add3_u32 v83, v84, v83, 0x7fff
                                        ; implicit-def: $vgpr84
; %bb.125:                              ;   in Loop: Header=BB66_6 Depth=1
	s_and_not1_saveexec_b32 s0, s0
	s_cbranch_execz .LBB66_5
; %bb.126:                              ;   in Loop: Header=BB66_6 Depth=1
	v_and_b32_e32 v83, 0xffff, v84
	v_or_b32_e32 v86, 0x10000, v84
	s_delay_alu instid0(VALU_DEP_2) | instskip(NEXT) | instid1(VALU_DEP_2)
	v_cmp_eq_u32_e32 vcc_lo, 0, v83
	v_cndmask_b32_e32 v83, v86, v84, vcc_lo
	s_branch .LBB66_5
.LBB66_127:
	s_or_b32 exec_lo, exec_lo, s41
.LBB66_128:
	s_delay_alu instid0(SALU_CYCLE_1)
	s_or_b32 exec_lo, exec_lo, s36
	v_lshrrev_b32_e32 v16, 2, v106
	v_mad_u32_u24 v17, 0x310, v108, 0
	v_lshlrev_b32_e32 v18, 2, v107
	s_waitcnt lgkmcnt(0)
	s_barrier
	v_and_b32_e32 v16, 0xfc, v16
	buffer_gl0_inv
	s_lshl_b64 s[4:5], s[30:31], 2
	v_cmp_gt_u32_e64 s0, 11, v105
	s_add_u32 s1, s34, s4
	v_add3_u32 v16, v17, v16, v18
	s_addc_u32 s3, s35, s5
	s_cmp_gt_i32 s10, 0
	ds_store_2addr_b32 v16, v8, v9 offset1:2
	ds_store_2addr_b32 v16, v10, v11 offset0:4 offset1:6
	ds_store_2addr_b32 v16, v12, v13 offset0:8 offset1:10
	;; [unrolled: 1-line block ×6, first 2 shown]
	v_add_nc_u32_e32 v0, s2, v105
	s_cselect_b32 s4, -1, 0
	v_lshl_add_u32 v3, v106, 2, 0
	v_add_nc_u32_e32 v2, s7, v106
	v_mul_u32_u24_e32 v4, 0x310, v105
	v_cmp_gt_i32_e32 vcc_lo, s33, v0
	ds_store_2addr_b32 v16, v6, v7 offset0:28 offset1:30
	s_waitcnt lgkmcnt(0)
	s_barrier
	buffer_gl0_inv
	s_and_b32 s5, s4, vcc_lo
	s_delay_alu instid0(SALU_CYCLE_1) | instskip(NEXT) | instid1(SALU_CYCLE_1)
	s_and_b32 s5, s0, s5
	s_and_saveexec_b32 s0, s5
	s_cbranch_execz .LBB66_131
; %bb.129:
	v_ashrrev_i32_e32 v1, 31, v0
	s_delay_alu instid0(VALU_DEP_1) | instskip(NEXT) | instid1(VALU_DEP_1)
	v_lshlrev_b64 v[5:6], 2, v[0:1]
	v_add_co_u32 v5, vcc_lo, s1, v5
	s_delay_alu instid0(VALU_DEP_2) | instskip(SKIP_3) | instid1(VALU_DEP_1)
	v_add_co_ci_u32_e32 v6, vcc_lo, s3, v6, vcc_lo
	global_load_b32 v1, v[5:6], off
	s_waitcnt vmcnt(0)
	v_mul_hi_u32 v5, v1, s19
	v_add_nc_u32_e32 v5, v1, v5
	s_delay_alu instid0(VALU_DEP_1) | instskip(NEXT) | instid1(VALU_DEP_1)
	v_lshrrev_b32_e32 v5, s26, v5
	v_cmp_gt_i32_e32 vcc_lo, s9, v5
	s_and_b32 exec_lo, exec_lo, vcc_lo
	s_cbranch_execz .LBB66_131
; %bb.130:
	v_add_nc_u32_e32 v10, v3, v4
	v_mul_lo_u32 v12, v5, s27
	v_mul_lo_u32 v5, v5, s25
	ds_load_2addr_b32 v[6:7], v10 offset1:32
	ds_load_2addr_b32 v[8:9], v10 offset0:64 offset1:96
	ds_load_2addr_b32 v[10:11], v10 offset0:128 offset1:160
	v_sub_nc_u32_e32 v1, v1, v12
	s_delay_alu instid0(VALU_DEP_1) | instskip(NEXT) | instid1(VALU_DEP_1)
	v_mul_lo_u32 v1, v1, s6
	v_add3_u32 v5, v2, v5, v1
	s_waitcnt lgkmcnt(2)
	v_add_f32_e32 v6, 0, v6
	s_delay_alu instid0(VALU_DEP_1) | instskip(SKIP_1) | instid1(VALU_DEP_1)
	v_add_f32_e32 v6, v6, v7
	s_waitcnt lgkmcnt(1)
	v_dual_add_f32 v7, v6, v8 :: v_dual_mov_b32 v6, 0
	s_delay_alu instid0(VALU_DEP_1) | instskip(NEXT) | instid1(VALU_DEP_2)
	v_add_f32_e32 v7, v7, v9
	v_lshlrev_b64 v[5:6], 2, v[5:6]
	s_waitcnt lgkmcnt(0)
	s_delay_alu instid0(VALU_DEP_2) | instskip(NEXT) | instid1(VALU_DEP_2)
	v_add_f32_e32 v1, v7, v10
	v_add_co_u32 v5, vcc_lo, s28, v5
	s_delay_alu instid0(VALU_DEP_3) | instskip(NEXT) | instid1(VALU_DEP_3)
	v_add_co_ci_u32_e32 v6, vcc_lo, s29, v6, vcc_lo
	v_add_f32_e32 v1, v1, v11
	global_store_b32 v[5:6], v1, off
.LBB66_131:
	s_or_b32 exec_lo, exec_lo, s0
	s_delay_alu instid0(SALU_CYCLE_1)
	s_mov_b32 s0, exec_lo
	v_cmpx_gt_u32_e32 5, v105
	s_cbranch_execz .LBB66_135
; %bb.132:
	v_add_nc_u32_e32 v0, 6, v0
	s_delay_alu instid0(VALU_DEP_1) | instskip(SKIP_1) | instid1(SALU_CYCLE_1)
	v_cmp_gt_i32_e32 vcc_lo, s33, v0
	s_and_b32 s0, s4, vcc_lo
	s_and_b32 exec_lo, exec_lo, s0
	s_cbranch_execz .LBB66_135
; %bb.133:
	s_ashr_i32 s0, s2, 31
	v_add_co_u32 v0, s2, v105, s2
	s_delay_alu instid0(VALU_DEP_1) | instskip(NEXT) | instid1(VALU_DEP_1)
	v_add_co_ci_u32_e64 v1, null, 0, s0, s2
	v_lshlrev_b64 v[0:1], 2, v[0:1]
	s_delay_alu instid0(VALU_DEP_1) | instskip(NEXT) | instid1(VALU_DEP_2)
	v_add_co_u32 v0, vcc_lo, s1, v0
	v_add_co_ci_u32_e32 v1, vcc_lo, s3, v1, vcc_lo
	global_load_b32 v0, v[0:1], off offset:24
	s_waitcnt vmcnt(0)
	v_mul_hi_u32 v1, v0, s19
	s_delay_alu instid0(VALU_DEP_1) | instskip(NEXT) | instid1(VALU_DEP_1)
	v_add_nc_u32_e32 v1, v0, v1
	v_lshrrev_b32_e32 v5, s26, v1
	v_mov_b32_e32 v1, 0
	s_delay_alu instid0(VALU_DEP_2)
	v_cmp_gt_i32_e32 vcc_lo, s9, v5
	s_and_b32 exec_lo, exec_lo, vcc_lo
	s_cbranch_execz .LBB66_135
; %bb.134:
	v_add_nc_u32_e32 v8, v4, v3
	v_mul_lo_u32 v10, v5, s27
	s_delay_alu instid0(VALU_DEP_2) | instskip(SKIP_3) | instid1(VALU_DEP_1)
	v_add_nc_u32_e32 v6, 0x1000, v8
	ds_load_2addr_b32 v[3:4], v6 offset0:152 offset1:184
	ds_load_2addr_b32 v[6:7], v6 offset0:216 offset1:248
	v_sub_nc_u32_e32 v0, v0, v10
	v_mul_lo_u32 v0, v0, s6
	s_waitcnt lgkmcnt(1)
	v_add_f32_e32 v3, 0, v3
	s_delay_alu instid0(VALU_DEP_1) | instskip(SKIP_3) | instid1(VALU_DEP_3)
	v_add_f32_e32 v3, v3, v4
	v_add_nc_u32_e32 v8, 0x1400, v8
	v_mul_lo_u32 v4, v5, s25
	s_waitcnt lgkmcnt(0)
	v_add_f32_e32 v3, v3, v6
	ds_load_2addr_b32 v[8:9], v8 offset0:24 offset1:56
	v_add3_u32 v0, v2, v4, v0
	v_add_f32_e32 v3, v3, v7
	s_delay_alu instid0(VALU_DEP_2) | instskip(NEXT) | instid1(VALU_DEP_1)
	v_lshlrev_b64 v[0:1], 2, v[0:1]
	v_add_co_u32 v0, vcc_lo, s28, v0
	s_delay_alu instid0(VALU_DEP_2) | instskip(SKIP_2) | instid1(VALU_DEP_1)
	v_add_co_ci_u32_e32 v1, vcc_lo, s29, v1, vcc_lo
	s_waitcnt lgkmcnt(0)
	v_add_f32_e32 v2, v3, v8
	v_add_f32_e32 v2, v2, v9
	global_store_b32 v[0:1], v2, off
.LBB66_135:
	s_nop 0
	s_sendmsg sendmsg(MSG_DEALLOC_VGPRS)
	s_endpgm
	.section	.rodata,"a",@progbits
	.p2align	6, 0x0
	.amdhsa_kernel _ZL13mul_mat_f_idsI15__hip_bfloat162Li32ELi11ELi6EEvPKT_PKfPKiS7_S7_Pfiiiiiiiiiiiiii15HIP_vector_typeIjLj3EESA_
		.amdhsa_group_segment_fixed_size 0
		.amdhsa_private_segment_fixed_size 0
		.amdhsa_kernarg_size 128
		.amdhsa_user_sgpr_count 13
		.amdhsa_user_sgpr_dispatch_ptr 0
		.amdhsa_user_sgpr_queue_ptr 0
		.amdhsa_user_sgpr_kernarg_segment_ptr 1
		.amdhsa_user_sgpr_dispatch_id 0
		.amdhsa_user_sgpr_private_segment_size 0
		.amdhsa_wavefront_size32 1
		.amdhsa_uses_dynamic_stack 0
		.amdhsa_enable_private_segment 0
		.amdhsa_system_sgpr_workgroup_id_x 1
		.amdhsa_system_sgpr_workgroup_id_y 1
		.amdhsa_system_sgpr_workgroup_id_z 1
		.amdhsa_system_sgpr_workgroup_info 0
		.amdhsa_system_vgpr_workitem_id 1
		.amdhsa_next_free_vgpr 120
		.amdhsa_next_free_sgpr 76
		.amdhsa_reserve_vcc 1
		.amdhsa_float_round_mode_32 0
		.amdhsa_float_round_mode_16_64 0
		.amdhsa_float_denorm_mode_32 3
		.amdhsa_float_denorm_mode_16_64 3
		.amdhsa_dx10_clamp 1
		.amdhsa_ieee_mode 1
		.amdhsa_fp16_overflow 0
		.amdhsa_workgroup_processor_mode 1
		.amdhsa_memory_ordered 1
		.amdhsa_forward_progress 0
		.amdhsa_shared_vgpr_count 0
		.amdhsa_exception_fp_ieee_invalid_op 0
		.amdhsa_exception_fp_denorm_src 0
		.amdhsa_exception_fp_ieee_div_zero 0
		.amdhsa_exception_fp_ieee_overflow 0
		.amdhsa_exception_fp_ieee_underflow 0
		.amdhsa_exception_fp_ieee_inexact 0
		.amdhsa_exception_int_div_zero 0
	.end_amdhsa_kernel
	.section	.text._ZL13mul_mat_f_idsI15__hip_bfloat162Li32ELi11ELi6EEvPKT_PKfPKiS7_S7_Pfiiiiiiiiiiiiii15HIP_vector_typeIjLj3EESA_,"axG",@progbits,_ZL13mul_mat_f_idsI15__hip_bfloat162Li32ELi11ELi6EEvPKT_PKfPKiS7_S7_Pfiiiiiiiiiiiiii15HIP_vector_typeIjLj3EESA_,comdat
.Lfunc_end66:
	.size	_ZL13mul_mat_f_idsI15__hip_bfloat162Li32ELi11ELi6EEvPKT_PKfPKiS7_S7_Pfiiiiiiiiiiiiii15HIP_vector_typeIjLj3EESA_, .Lfunc_end66-_ZL13mul_mat_f_idsI15__hip_bfloat162Li32ELi11ELi6EEvPKT_PKfPKiS7_S7_Pfiiiiiiiiiiiiii15HIP_vector_typeIjLj3EESA_
                                        ; -- End function
	.section	.AMDGPU.csdata,"",@progbits
; Kernel info:
; codeLenInByte = 7172
; NumSgprs: 78
; NumVgprs: 120
; ScratchSize: 0
; MemoryBound: 0
; FloatMode: 240
; IeeeMode: 1
; LDSByteSize: 0 bytes/workgroup (compile time only)
; SGPRBlocks: 9
; VGPRBlocks: 14
; NumSGPRsForWavesPerEU: 78
; NumVGPRsForWavesPerEU: 120
; Occupancy: 12
; WaveLimiterHint : 1
; COMPUTE_PGM_RSRC2:SCRATCH_EN: 0
; COMPUTE_PGM_RSRC2:USER_SGPR: 13
; COMPUTE_PGM_RSRC2:TRAP_HANDLER: 0
; COMPUTE_PGM_RSRC2:TGID_X_EN: 1
; COMPUTE_PGM_RSRC2:TGID_Y_EN: 1
; COMPUTE_PGM_RSRC2:TGID_Z_EN: 1
; COMPUTE_PGM_RSRC2:TIDIG_COMP_CNT: 1
	.section	.text._ZL9mul_mat_fI15__hip_bfloat162Li32ELi11ELi6ELb1EEvPKT_PKfPKiPfiiiiiiiiiiiiiiii,"axG",@progbits,_ZL9mul_mat_fI15__hip_bfloat162Li32ELi11ELi6ELb1EEvPKT_PKfPKiPfiiiiiiiiiiiiiiii,comdat
	.globl	_ZL9mul_mat_fI15__hip_bfloat162Li32ELi11ELi6ELb1EEvPKT_PKfPKiPfiiiiiiiiiiiiiiii ; -- Begin function _ZL9mul_mat_fI15__hip_bfloat162Li32ELi11ELi6ELb1EEvPKT_PKfPKiPfiiiiiiiiiiiiiiii
	.p2align	8
	.type	_ZL9mul_mat_fI15__hip_bfloat162Li32ELi11ELi6ELb1EEvPKT_PKfPKiPfiiiiiiiiiiiiiiii,@function
_ZL9mul_mat_fI15__hip_bfloat162Li32ELi11ELi6ELb1EEvPKT_PKfPKiPfiiiiiiiiiiiiiiii: ; @_ZL9mul_mat_fI15__hip_bfloat162Li32ELi11ELi6ELb1EEvPKT_PKfPKiPfiiiiiiiiiiiiiiii
; %bb.0:
	s_clause 0x1
	s_load_b256 s[16:23], s[0:1], 0x20
	s_load_b64 s[24:25], s[0:1], 0x10
	v_and_b32_e32 v80, 0x3ff, v0
	v_bfe_u32 v86, v0, 10, 10
	s_load_b128 s[8:11], s[0:1], 0x44
	s_delay_alu instid0(VALU_DEP_2) | instskip(NEXT) | instid1(VALU_DEP_2)
	v_cmp_eq_u32_e32 vcc_lo, 0, v80
	v_lshl_add_u32 v87, v86, 2, 0x100
	s_waitcnt lgkmcnt(0)
	s_add_i32 s2, s17, 10
	s_delay_alu instid0(SALU_CYCLE_1) | instskip(NEXT) | instid1(SALU_CYCLE_1)
	s_mul_hi_i32 s2, s2, 0x2e8ba2e9
	s_lshr_b32 s3, s2, 31
	s_ashr_i32 s2, s2, 1
	s_delay_alu instid0(SALU_CYCLE_1)
	s_add_i32 s2, s2, s3
	s_load_b32 s3, s[0:1], 0x64
	v_cvt_f32_u32_e32 v1, s2
	s_add_u32 s6, s0, 0x60
	s_addc_u32 s7, s1, 0
	s_sub_i32 s5, 0, s2
	s_delay_alu instid0(VALU_DEP_1) | instskip(SKIP_2) | instid1(VALU_DEP_1)
	v_rcp_iflag_f32_e32 v1, v1
	s_waitcnt_depctr 0xfff
	v_mul_f32_e32 v1, 0x4f7ffffe, v1
	v_cvt_u32_f32_e32 v1, v1
	s_delay_alu instid0(VALU_DEP_1) | instskip(NEXT) | instid1(VALU_DEP_1)
	v_readfirstlane_b32 s4, v1
	s_mul_i32 s5, s5, s4
	s_delay_alu instid0(SALU_CYCLE_1) | instskip(NEXT) | instid1(SALU_CYCLE_1)
	s_mul_hi_u32 s5, s4, s5
	s_add_i32 s4, s4, s5
	s_waitcnt lgkmcnt(0)
	s_mul_hi_u32 s4, s3, s4
	s_delay_alu instid0(SALU_CYCLE_1) | instskip(NEXT) | instid1(SALU_CYCLE_1)
	s_mul_i32 s5, s4, s2
	s_sub_i32 s3, s3, s5
	s_add_i32 s5, s4, 1
	s_sub_i32 s12, s3, s2
	s_cmp_ge_u32 s3, s2
	s_cselect_b32 s4, s5, s4
	s_cselect_b32 s3, s12, s3
	s_add_i32 s5, s4, 1
	s_cmp_ge_u32 s3, s2
	s_cselect_b32 s2, s5, s4
	s_abs_i32 s28, s11
	v_cvt_f32_u32_e32 v1, s2
	v_cvt_f32_u32_e32 v2, s28
	s_sub_i32 s4, 0, s2
	s_sub_i32 s26, 0, s28
	s_delay_alu instid0(VALU_DEP_2) | instskip(NEXT) | instid1(VALU_DEP_1)
	v_rcp_iflag_f32_e32 v1, v1
	v_rcp_iflag_f32_e32 v2, v2
	s_waitcnt_depctr 0xfff
	v_dual_mul_f32 v1, 0x4f7ffffe, v1 :: v_dual_mul_f32 v2, 0x4f7ffffe, v2
	s_delay_alu instid0(VALU_DEP_1) | instskip(NEXT) | instid1(VALU_DEP_1)
	v_cvt_u32_f32_e32 v1, v1
	v_readfirstlane_b32 s3, v1
	s_delay_alu instid0(VALU_DEP_3) | instskip(NEXT) | instid1(VALU_DEP_2)
	v_cvt_u32_f32_e32 v1, v2
	s_mul_i32 s4, s4, s3
	s_delay_alu instid0(VALU_DEP_1) | instskip(SKIP_1) | instid1(SALU_CYCLE_1)
	v_readfirstlane_b32 s29, v1
	s_mul_hi_u32 s4, s3, s4
	s_add_i32 s3, s3, s4
	s_delay_alu instid0(SALU_CYCLE_1)
	s_mul_hi_u32 s3, s14, s3
	s_and_saveexec_b32 s4, vcc_lo
	s_cbranch_execz .LBB67_2
; %bb.1:
	v_mov_b32_e32 v1, -1
	ds_store_b32 v87, v1
.LBB67_2:
	s_or_b32 exec_lo, exec_lo, s4
	s_mul_i32 s4, s3, s2
	s_add_i32 s5, s3, 1
	s_sub_i32 s4, s14, s4
	v_mov_b32_e32 v3, 0
	s_sub_i32 s12, s4, s2
	s_cmp_ge_u32 s4, s2
	s_mul_i32 s26, s26, s29
	s_cselect_b32 s3, s5, s3
	s_cselect_b32 s4, s12, s4
	s_add_i32 s5, s3, 1
	s_cmp_ge_u32 s4, s2
	v_cmp_gt_i32_e64 s4, s18, v80
	s_cselect_b32 s3, s5, s3
	s_delay_alu instid0(SALU_CYCLE_1)
	s_mul_i32 s12, s3, 11
	s_mul_i32 s3, s3, s2
	v_add_nc_u32_e32 v1, s12, v86
	s_mul_hi_i32 s31, s12, s23
	s_mul_i32 s30, s12, s23
	s_sub_i32 s14, s14, s3
	s_lshl_b64 s[30:31], s[30:31], 2
	v_cmp_gt_i32_e64 s2, s17, v1
	s_add_u32 s30, s24, s30
	s_addc_u32 s31, s25, s31
	s_delay_alu instid0(VALU_DEP_1)
	s_and_saveexec_b32 s24, s2
	s_cbranch_execz .LBB67_10
; %bb.3:
	v_mov_b32_e32 v3, 0
	s_and_saveexec_b32 s25, s4
	s_cbranch_execz .LBB67_9
; %bb.4:
	v_mul_lo_u32 v1, v86, s23
	v_dual_mov_b32 v3, 0 :: v_dual_mov_b32 v6, v80
	s_lshl_b32 s33, s22, 5
	s_mov_b32 s27, 0
	s_delay_alu instid0(VALU_DEP_2) | instskip(NEXT) | instid1(VALU_DEP_1)
	v_ashrrev_i32_e32 v2, 31, v1
	v_lshlrev_b64 v[4:5], 2, v[1:2]
	v_mul_lo_u32 v1, v80, s22
	s_delay_alu instid0(VALU_DEP_2) | instskip(NEXT) | instid1(VALU_DEP_1)
	v_add_co_u32 v4, s3, s30, v4
	v_add_co_ci_u32_e64 v5, s3, s31, v5, s3
	s_set_inst_prefetch_distance 0x1
	s_branch .LBB67_6
	.p2align	6
.LBB67_5:                               ;   in Loop: Header=BB67_6 Depth=1
	s_or_b32 exec_lo, exec_lo, s34
	v_add_nc_u32_e32 v6, 32, v6
	s_xor_b32 s3, s3, -1
	v_add_nc_u32_e32 v1, s33, v1
	s_delay_alu instid0(VALU_DEP_2) | instskip(NEXT) | instid1(VALU_DEP_1)
	v_cmp_le_i32_e64 s5, s18, v6
	s_or_b32 s3, s3, s5
	s_delay_alu instid0(SALU_CYCLE_1) | instskip(NEXT) | instid1(SALU_CYCLE_1)
	s_and_b32 s3, exec_lo, s3
	s_or_b32 s27, s3, s27
	s_delay_alu instid0(SALU_CYCLE_1)
	s_and_not1_b32 exec_lo, exec_lo, s27
	s_cbranch_execz .LBB67_8
.LBB67_6:                               ; =>This Inner Loop Header: Depth=1
	s_delay_alu instid0(VALU_DEP_3) | instskip(SKIP_1) | instid1(VALU_DEP_1)
	v_ashrrev_i32_e32 v2, 31, v1
	s_mov_b32 s34, exec_lo
	v_lshlrev_b64 v[7:8], 2, v[1:2]
	s_delay_alu instid0(VALU_DEP_1) | instskip(NEXT) | instid1(VALU_DEP_1)
	v_add_co_u32 v7, s3, v4, v7
	v_add_co_ci_u32_e64 v8, s3, v5, v8, s3
	global_load_b32 v2, v[7:8], off
	s_waitcnt vmcnt(0)
	v_cmp_ne_u32_e64 s3, s14, v2
	v_cmpx_eq_u32_e64 s14, v2
	s_cbranch_execz .LBB67_5
; %bb.7:                                ;   in Loop: Header=BB67_6 Depth=1
	v_mov_b32_e32 v3, 1
	ds_store_b32 v87, v6
	s_branch .LBB67_5
.LBB67_8:
	s_set_inst_prefetch_distance 0x2
	s_or_b32 exec_lo, exec_lo, s27
.LBB67_9:
	s_delay_alu instid0(SALU_CYCLE_1)
	s_or_b32 exec_lo, exec_lo, s25
.LBB67_10:
	s_delay_alu instid0(SALU_CYCLE_1)
	s_or_b32 exec_lo, exec_lo, s24
	s_mul_hi_u32 s5, s29, s26
	s_and_saveexec_b32 s3, vcc_lo
	s_cbranch_execz .LBB67_12
; %bb.11:
	v_mov_b32_e32 v1, -1
	ds_store_b32 v87, v1 offset:24
.LBB67_12:
	s_or_b32 exec_lo, exec_lo, s3
	s_load_b128 s[24:27], s[0:1], 0x54
	v_add_nc_u32_e32 v88, 6, v86
	s_waitcnt lgkmcnt(0)
	s_abs_i32 s27, s15
	s_add_i32 s29, s29, s5
	s_delay_alu instid0(VALU_DEP_1) | instskip(NEXT) | instid1(VALU_DEP_1)
	v_add_nc_u32_e32 v1, s12, v88
	v_cmp_gt_i32_e64 s3, s17, v1
	s_delay_alu instid0(VALU_DEP_1)
	s_and_saveexec_b32 s5, s3
	s_cbranch_execz .LBB67_20
; %bb.13:
	s_and_saveexec_b32 s33, s4
	s_cbranch_execz .LBB67_19
; %bb.14:
	v_mul_lo_u32 v1, v88, s23
	v_mov_b32_e32 v6, v80
	s_lshl_b32 s23, s22, 5
	s_delay_alu instid0(VALU_DEP_2) | instskip(NEXT) | instid1(VALU_DEP_1)
	v_ashrrev_i32_e32 v2, 31, v1
	v_lshlrev_b64 v[4:5], 2, v[1:2]
	v_mul_lo_u32 v1, v80, s22
	s_mov_b32 s22, 0
	s_delay_alu instid0(VALU_DEP_2) | instskip(NEXT) | instid1(VALU_DEP_3)
	v_add_co_u32 v4, vcc_lo, s30, v4
	v_add_co_ci_u32_e32 v5, vcc_lo, s31, v5, vcc_lo
	s_set_inst_prefetch_distance 0x1
	s_branch .LBB67_16
	.p2align	6
.LBB67_15:                              ;   in Loop: Header=BB67_16 Depth=1
	s_or_b32 exec_lo, exec_lo, s30
	v_add_nc_u32_e32 v6, 32, v6
	s_xor_b32 s30, vcc_lo, -1
	v_add_nc_u32_e32 v1, s23, v1
	s_delay_alu instid0(VALU_DEP_2) | instskip(NEXT) | instid1(VALU_DEP_1)
	v_cmp_le_i32_e64 s4, s18, v6
	s_or_b32 s4, s30, s4
	s_delay_alu instid0(SALU_CYCLE_1) | instskip(NEXT) | instid1(SALU_CYCLE_1)
	s_and_b32 s4, exec_lo, s4
	s_or_b32 s22, s4, s22
	s_delay_alu instid0(SALU_CYCLE_1)
	s_and_not1_b32 exec_lo, exec_lo, s22
	s_cbranch_execz .LBB67_18
.LBB67_16:                              ; =>This Inner Loop Header: Depth=1
	s_delay_alu instid0(VALU_DEP_3) | instskip(SKIP_1) | instid1(VALU_DEP_1)
	v_ashrrev_i32_e32 v2, 31, v1
	s_mov_b32 s30, exec_lo
	v_lshlrev_b64 v[7:8], 2, v[1:2]
	s_delay_alu instid0(VALU_DEP_1) | instskip(NEXT) | instid1(VALU_DEP_2)
	v_add_co_u32 v7, vcc_lo, v4, v7
	v_add_co_ci_u32_e32 v8, vcc_lo, v5, v8, vcc_lo
	global_load_b32 v2, v[7:8], off
	s_waitcnt vmcnt(0)
	v_cmp_ne_u32_e32 vcc_lo, s14, v2
	v_cmpx_eq_u32_e64 s14, v2
	s_cbranch_execz .LBB67_15
; %bb.17:                               ;   in Loop: Header=BB67_16 Depth=1
	v_mov_b32_e32 v3, 1
	ds_store_b32 v87, v6 offset:24
	s_branch .LBB67_15
.LBB67_18:
	s_set_inst_prefetch_distance 0x2
	s_or_b32 exec_lo, exec_lo, s22
.LBB67_19:
	s_delay_alu instid0(SALU_CYCLE_1)
	s_or_b32 exec_lo, exec_lo, s33
.LBB67_20:
	s_delay_alu instid0(SALU_CYCLE_1)
	s_or_b32 exec_lo, exec_lo, s5
	v_cmp_ne_u32_e32 vcc_lo, 0, v3
	s_load_b64 s[30:31], s[6:7], 0xc
	s_clause 0x1
	s_load_b128 s[4:7], s[0:1], 0x0
	s_load_b64 s[22:23], s[0:1], 0x18
	v_cndmask_b32_e64 v1, 0, 1, vcc_lo
	s_delay_alu instid0(VALU_DEP_1) | instskip(NEXT) | instid1(VALU_DEP_1)
	v_or_b32_dpp v1, v1, v1 row_shl:1 row_mask:0xf bank_mask:0xf bound_ctrl:1
	v_or_b32_dpp v1, v1, v1 row_shl:2 row_mask:0xf bank_mask:0xf bound_ctrl:1
	s_delay_alu instid0(VALU_DEP_1)
	v_or_b32_dpp v1, v1, v1 row_shl:4 row_mask:0xf bank_mask:0xf bound_ctrl:1
	s_waitcnt lgkmcnt(0)
	s_lshr_b32 s1, s30, 16
	s_and_b32 s0, s30, 0xffff
	s_and_b32 s30, s31, 0xffff
	s_mul_i32 s18, s1, s0
	v_or_b32_dpp v1, v1, v1 row_shl:8 row_mask:0xf bank_mask:0xf bound_ctrl:1
	s_bfe_i32 s18, s18, 0x180000
	s_delay_alu instid0(SALU_CYCLE_1) | instskip(NEXT) | instid1(SALU_CYCLE_1)
	s_mul_i32 s18, s18, s30
	s_add_i32 s18, s18, 31
	s_delay_alu instid0(VALU_DEP_1) | instskip(SKIP_1) | instid1(SALU_CYCLE_1)
	v_mov_b32_dpp v1, v1 row_share:0 row_mask:0xf bank_mask:0xf bound_ctrl:1
	s_and_not1_b32 s18, s18, 31
	s_cmp_lg_u32 s18, 32
	s_mul_hi_u32 s18, s27, s29
	s_delay_alu instid0(VALU_DEP_1) | instskip(NEXT) | instid1(VALU_DEP_1)
	v_permlanex16_b32 v2, v1, 0, 0 op_sel:[0,1]
	v_or_b32_e32 v2, v2, v1
	s_cbranch_scc0 .LBB67_29
; %bb.21:
	v_bfe_u32 v0, v0, 20, 10
	s_delay_alu instid0(VALU_DEP_1) | instskip(NEXT) | instid1(VALU_DEP_1)
	v_mad_u32_u24 v3, v0, s1, v86
	v_mad_u64_u32 v[0:1], null, v3, s0, v[80:81]
	v_mbcnt_lo_u32_b32 v1, -1, 0
	s_mov_b32 s0, exec_lo
	s_delay_alu instid0(VALU_DEP_2) | instskip(NEXT) | instid1(VALU_DEP_1)
	v_lshrrev_b32_e32 v3, 5, v0
	v_or_b32_e32 v3, v1, v3
	s_delay_alu instid0(VALU_DEP_1)
	v_cmpx_eq_u32_e32 0, v3
	s_cbranch_execz .LBB67_23
; %bb.22:
	v_mov_b32_e32 v3, 0
	ds_store_b32 v3, v2
.LBB67_23:
	s_or_b32 exec_lo, exec_lo, s0
	v_cmp_eq_u32_e32 vcc_lo, 0, v1
	v_cmp_lt_u32_e64 s0, 31, v0
	s_mov_b32 s1, 0
	s_waitcnt lgkmcnt(0)
	s_barrier
	buffer_gl0_inv
	s_and_b32 s29, s0, vcc_lo
	s_delay_alu instid0(SALU_CYCLE_1)
	s_and_saveexec_b32 s0, s29
	s_cbranch_execz .LBB67_28
; %bb.24:
	s_mov_b32 s29, exec_lo
.LBB67_25:                              ; =>This Inner Loop Header: Depth=1
	s_delay_alu instid0(SALU_CYCLE_1) | instskip(NEXT) | instid1(SALU_CYCLE_1)
	s_ctz_i32_b32 s30, s29
	v_readlane_b32 s31, v2, s30
	s_lshl_b32 s30, 1, s30
	s_delay_alu instid0(SALU_CYCLE_1) | instskip(NEXT) | instid1(VALU_DEP_1)
	s_and_not1_b32 s29, s29, s30
	s_or_b32 s1, s1, s31
	s_cmp_lg_u32 s29, 0
	s_cbranch_scc1 .LBB67_25
; %bb.26:
	v_mbcnt_lo_u32_b32 v0, exec_lo, 0
	s_mov_b32 s29, exec_lo
	s_delay_alu instid0(VALU_DEP_1)
	v_cmpx_eq_u32_e32 0, v0
	s_xor_b32 s29, exec_lo, s29
	s_cbranch_execz .LBB67_28
; %bb.27:
	v_dual_mov_b32 v0, 0 :: v_dual_mov_b32 v1, s1
	ds_or_b32 v0, v1
.LBB67_28:
	s_or_b32 exec_lo, exec_lo, s0
	v_mov_b32_e32 v0, 0
	s_waitcnt lgkmcnt(0)
	s_barrier
	buffer_gl0_inv
	ds_load_b32 v2, v0
	s_waitcnt lgkmcnt(0)
	s_barrier
	buffer_gl0_inv
.LBB67_29:
	s_ashr_i32 s0, s15, 31
	s_ashr_i32 s29, s11, 31
	s_mov_b32 s1, exec_lo
	v_cmpx_ne_u32_e32 0, v2
	s_cbranch_execz .LBB67_164
; %bb.30:
	v_lshlrev_b32_e32 v89, 5, v86
	v_and_b32_e32 v90, 15, v80
	s_mov_b32 s11, exec_lo
                                        ; implicit-def: $sgpr1
	s_delay_alu instid0(VALU_DEP_2) | instskip(NEXT) | instid1(VALU_DEP_1)
	v_add_nc_u32_e32 v91, v89, v80
	v_cmpx_le_i32_e64 s16, v91
	s_xor_b32 s11, exec_lo, s11
; %bb.31:
	v_and_b32_e32 v90, 15, v80
	s_mov_b32 s1, 0
                                        ; implicit-def: $vgpr91
; %bb.32:
	s_or_saveexec_b32 s11, s11
	v_dual_mov_b32 v15, s1 :: v_dual_mov_b32 v14, s1
	v_dual_mov_b32 v13, s1 :: v_dual_mov_b32 v12, s1
	;; [unrolled: 1-line block ×8, first 2 shown]
	s_lshl_b32 s1, s13, 5
	s_xor_b32 exec_lo, exec_lo, s11
	s_cbranch_execz .LBB67_157
; %bb.33:
	s_mul_i32 s13, s18, s28
	s_xor_b32 s0, s0, s29
	s_sub_i32 s13, s27, s13
	s_add_i32 s27, s18, 1
	s_sub_i32 s29, s13, s28
	s_cmp_ge_u32 s13, s28
	s_mul_i32 s30, s1, s19
	s_cselect_b32 s18, s27, s18
	s_cselect_b32 s13, s29, s13
	s_add_i32 s27, s18, 1
	s_cmp_ge_u32 s13, s28
	s_mul_i32 s28, s14, s8
	s_cselect_b32 s13, s27, s18
	s_ashr_i32 s29, s28, 31
	s_xor_b32 s13, s13, s0
	s_mul_hi_i32 s37, s25, s15
	s_sub_i32 s0, s13, s0
	s_mul_i32 s36, s25, s15
	s_mul_hi_i32 s35, s0, s24
	s_mul_i32 s34, s0, s24
	s_mul_hi_i32 s25, s20, s12
	s_lshl_b64 s[42:43], s[34:35], 2
	s_mul_i32 s24, s20, s12
	s_add_u32 s0, s4, s42
	s_addc_u32 s8, s5, s43
	s_lshl_b64 s[44:45], s[28:29], 2
	v_dual_mov_b32 v93, 0 :: v_dual_lshlrev_b32 v2, 1, v80
	s_add_u32 s0, s0, s44
	s_addc_u32 s13, s8, s45
	s_ashr_i32 s31, s30, 31
	s_delay_alu instid0(VALU_DEP_1)
	v_lshl_add_u32 v81, v86, 6, v2
	s_lshl_b64 s[46:47], s[30:31], 2
	v_dual_mov_b32 v95, 0x100 :: v_dual_lshlrev_b32 v2, 2, v91
	s_add_u32 s8, s0, s46
	s_addc_u32 s13, s13, s47
	s_lshl_b64 s[28:29], s[36:37], 2
	s_lshl_b64 s[24:25], s[24:25], 3
	s_add_u32 s0, s6, s28
	s_addc_u32 s6, s7, s29
	s_add_u32 s14, s0, s24
	s_addc_u32 s18, s6, s25
	s_cmp_lt_i32 s12, s17
	s_movk_i32 s6, 0x900
	s_cselect_b32 s24, -1, 0
	s_add_i32 s0, s12, 1
	v_mad_u32_u24 v1, v86, s6, 0x100
	s_cmp_lt_i32 s0, s17
	s_mov_b32 s6, s19
	s_cselect_b32 s25, -1, 0
	s_add_i32 s0, s12, 2
	v_mul_u32_u24_e32 v0, 0x90, v90
	s_cmp_lt_i32 s0, s17
	v_lshl_add_u32 v92, v80, 2, v1
	s_cselect_b32 s27, -1, 0
	s_add_i32 s0, s12, 3
	s_lshl_b32 s28, s20, 2
	s_cmp_lt_i32 s0, s17
	v_add_nc_u32_e32 v94, v1, v0
	s_cselect_b32 s29, -1, 0
	s_add_i32 s0, s12, 4
	v_dual_mov_b32 v0, 0 :: v_dual_mov_b32 v1, v93
	s_cmp_lt_i32 s0, s17
	v_dual_mov_b32 v3, v93 :: v_dual_mov_b32 v8, 0
	s_cselect_b32 s30, -1, 0
	s_add_i32 s0, s12, 5
	s_lshl_b32 s31, s20, 3
	s_cmp_lt_i32 s0, s17
	v_mov_b32_e32 v4, v93
	s_cselect_b32 s33, -1, 0
	s_add_i32 s0, s12, 6
	v_mov_b32_e32 v5, v93
	s_cmp_lt_i32 s0, s17
	v_mov_b32_e32 v6, v93
	s_cselect_b32 s34, -1, 0
	s_add_i32 s0, s12, 7
	v_mov_b32_e32 v7, v93
	;; [unrolled: 5-line block ×3, first 2 shown]
	s_cmp_lt_i32 s0, s17
	v_mov_b32_e32 v11, v93
	s_cselect_b32 s38, -1, 0
	s_add_i32 s0, s12, 9
	s_lshl_b32 s39, s20, 4
	s_cmp_lt_i32 s0, s17
	v_mov_b32_e32 v12, v93
	s_cselect_b32 s40, -1, 0
	s_add_i32 s0, s12, 10
	v_mov_b32_e32 v13, v93
	s_cmp_lt_i32 s0, s17
	v_mov_b32_e32 v14, v93
	s_cselect_b32 s17, -1, 0
	s_ashr_i32 s7, s19, 31
	v_mov_b32_e32 v15, v93
	s_lshl_b64 s[6:7], s[6:7], 2
	s_add_u32 s0, s42, s46
	s_addc_u32 s41, s43, s47
	s_add_u32 s0, s0, s44
	s_addc_u32 s41, s41, s45
	;; [unrolled: 2-line block ×3, first 2 shown]
	v_add_co_u32 v82, s0, s0, v2
	s_delay_alu instid0(VALU_DEP_1)
	v_add_co_ci_u32_e64 v83, null, s4, 0, s0
	v_mov_b32_e32 v2, v93
	s_mul_i32 s36, s20, 6
	s_mul_i32 s37, s20, 10
	;; [unrolled: 1-line block ×6, first 2 shown]
	s_lshl_b32 s20, s20, 1
	s_lshl_b32 s43, s19, 1
	s_mul_i32 s44, s19, 3
	s_lshl_b32 s45, s19, 2
	s_mul_i32 s46, s19, 5
	s_mul_i32 s47, s19, 6
	s_mul_i32 s48, s19, 7
	s_lshl_b32 s49, s19, 3
	s_mul_i32 s50, s19, 9
	s_mul_i32 s51, s19, 10
	;; [unrolled: 1-line block ×7, first 2 shown]
	s_lshl_b32 s57, s19, 4
	s_mul_i32 s58, s19, 17
	s_mul_i32 s59, s19, 18
	s_mul_i32 s60, s19, 19
	s_mul_i32 s61, s19, 20
	s_mul_i32 s62, s19, 21
	s_mul_i32 s63, s19, 22
	s_mul_i32 s64, s19, 23
	s_mul_i32 s65, s19, 24
	s_mul_i32 s66, s19, 25
	s_mul_i32 s67, s19, 26
	s_mul_i32 s68, s19, 27
	s_mul_i32 s69, s19, 28
	s_mul_i32 s70, s19, 29
	s_mul_i32 s71, s19, 30
	s_mul_i32 s72, s19, 31
	s_mov_b32 s19, 0
	s_branch .LBB67_35
.LBB67_34:                              ;   in Loop: Header=BB67_35 Depth=1
	s_or_b32 exec_lo, exec_lo, s0
	s_delay_alu instid0(VALU_DEP_1)
	v_perm_b32 v84, v84, v96, 0x7060302
	v_add_nc_u32_e32 v85, 0x400, v92
	v_add_nc_u32_e32 v96, 0x800, v92
	v_add_nc_u32_e32 v91, 0xc0, v91
	v_add_co_u32 v82, s0, 0x300, v82
	ds_store_2addr_b32 v85, v84, v93 offset0:120 offset1:156
	ds_store_2addr_b32 v85, v93, v93 offset0:192 offset1:228
	;; [unrolled: 1-line block ×3, first 2 shown]
	ds_load_b128 v[96:99], v94 offset:64
	ds_load_b128 v[100:103], v94 offset:80
	;; [unrolled: 1-line block ×6, first 2 shown]
	v_cmp_le_i32_e32 vcc_lo, s16, v91
	v_add_nc_u32_e32 v81, 0x180, v81
	v_add_co_ci_u32_e64 v83, s0, 0, v83, s0
	s_or_b32 s19, vcc_lo, s19
	s_waitcnt lgkmcnt(4)
	v_wmma_f32_16x16x16_bf16 v[8:15], v[56:63], v[96:103], v[8:15]
	ds_load_b128 v[56:59], v94 offset:160
	ds_load_b128 v[60:63], v94 offset:176
	v_wmma_f32_16x16x16_bf16 v[0:7], v[72:79], v[96:103], v[0:7]
	s_waitcnt lgkmcnt(4)
	v_wmma_f32_16x16x16_bf16 v[8:15], v[40:47], v[104:111], v[8:15]
	s_delay_alu instid0(VALU_DEP_2) | instskip(SKIP_1) | instid1(VALU_DEP_2)
	v_wmma_f32_16x16x16_bf16 v[0:7], v[64:71], v[104:111], v[0:7]
	s_waitcnt lgkmcnt(2)
	v_wmma_f32_16x16x16_bf16 v[8:15], v[24:31], v[112:119], v[8:15]
	s_delay_alu instid0(VALU_DEP_2) | instskip(SKIP_1) | instid1(VALU_DEP_2)
	v_wmma_f32_16x16x16_bf16 v[0:7], v[48:55], v[112:119], v[0:7]
	s_waitcnt lgkmcnt(0)
	v_wmma_f32_16x16x16_bf16 v[8:15], v[16:23], v[56:63], v[8:15]
	s_delay_alu instid0(VALU_DEP_2)
	v_wmma_f32_16x16x16_bf16 v[0:7], v[32:39], v[56:63], v[0:7]
	s_and_not1_b32 exec_lo, exec_lo, s19
	s_cbranch_execz .LBB67_156
.LBB67_35:                              ; =>This Inner Loop Header: Depth=1
	v_dual_mov_b32 v85, 0 :: v_dual_add_nc_u32 v16, s43, v91
	v_add_nc_u32_e32 v22, s45, v91
	v_add_nc_u32_e32 v18, s44, v91
	v_add_co_u32 v20, vcc_lo, v82, s6
	s_delay_alu instid0(VALU_DEP_4)
	v_ashrrev_i32_e32 v17, 31, v16
	v_add_co_ci_u32_e32 v21, vcc_lo, s7, v83, vcc_lo
	v_ashrrev_i32_e32 v23, 31, v22
	v_ashrrev_i32_e32 v19, 31, v18
	v_add_nc_u32_e32 v24, s46, v91
	v_lshlrev_b64 v[16:17], 2, v[16:17]
	s_clause 0x1
	global_load_b32 v38, v[82:83], off
	global_load_b32 v39, v[20:21], off
	v_lshlrev_b64 v[20:21], 2, v[22:23]
	v_add_nc_u32_e32 v22, s47, v91
	v_lshlrev_b64 v[18:19], 2, v[18:19]
	v_ashrrev_i32_e32 v25, 31, v24
	v_add_nc_u32_e32 v26, s48, v91
	v_add_co_u32 v16, vcc_lo, s8, v16
	v_ashrrev_i32_e32 v23, 31, v22
	v_add_co_ci_u32_e32 v17, vcc_lo, s13, v17, vcc_lo
	v_add_nc_u32_e32 v28, s49, v91
	v_add_co_u32 v18, vcc_lo, s8, v18
	v_lshlrev_b64 v[24:25], 2, v[24:25]
	v_ashrrev_i32_e32 v27, 31, v26
	v_add_co_ci_u32_e32 v19, vcc_lo, s13, v19, vcc_lo
	v_add_nc_u32_e32 v30, s50, v91
	v_add_co_u32 v20, vcc_lo, s8, v20
	v_lshlrev_b64 v[22:23], 2, v[22:23]
	v_ashrrev_i32_e32 v29, 31, v28
	v_add_co_ci_u32_e32 v21, vcc_lo, s13, v21, vcc_lo
	v_add_co_u32 v24, vcc_lo, s8, v24
	v_lshlrev_b64 v[26:27], 2, v[26:27]
	v_ashrrev_i32_e32 v31, 31, v30
	v_add_co_ci_u32_e32 v25, vcc_lo, s13, v25, vcc_lo
	v_add_co_u32 v22, vcc_lo, s8, v22
	v_lshlrev_b64 v[28:29], 2, v[28:29]
	v_add_co_ci_u32_e32 v23, vcc_lo, s13, v23, vcc_lo
	v_add_nc_u32_e32 v32, s51, v91
	v_add_co_u32 v26, vcc_lo, s8, v26
	v_lshlrev_b64 v[30:31], 2, v[30:31]
	v_add_co_ci_u32_e32 v27, vcc_lo, s13, v27, vcc_lo
	v_add_nc_u32_e32 v34, s52, v91
	v_add_co_u32 v28, vcc_lo, s8, v28
	v_ashrrev_i32_e32 v33, 31, v32
	v_add_co_ci_u32_e32 v29, vcc_lo, s13, v29, vcc_lo
	v_add_nc_u32_e32 v36, s53, v91
	v_add_co_u32 v30, vcc_lo, s8, v30
	v_ashrrev_i32_e32 v35, 31, v34
	v_add_co_ci_u32_e32 v31, vcc_lo, s13, v31, vcc_lo
	s_clause 0x7
	global_load_b32 v40, v[16:17], off
	global_load_b32 v41, v[18:19], off
	global_load_b32 v42, v[20:21], off
	global_load_b32 v43, v[24:25], off
	global_load_b32 v44, v[22:23], off
	global_load_b32 v45, v[26:27], off
	global_load_b32 v46, v[28:29], off
	global_load_b32 v47, v[30:31], off
	v_add_nc_u32_e32 v18, s54, v91
	v_lshlrev_b64 v[32:33], 2, v[32:33]
	v_ashrrev_i32_e32 v37, 31, v36
	v_add_nc_u32_e32 v24, s55, v91
	v_lshlrev_b64 v[16:17], 2, v[34:35]
	v_ashrrev_i32_e32 v19, 31, v18
	v_add_nc_u32_e32 v26, s56, v91
	v_add_co_u32 v20, vcc_lo, s8, v32
	v_lshlrev_b64 v[22:23], 2, v[36:37]
	v_ashrrev_i32_e32 v25, 31, v24
	v_add_co_ci_u32_e32 v21, vcc_lo, s13, v33, vcc_lo
	v_add_nc_u32_e32 v28, s57, v91
	v_add_co_u32 v16, vcc_lo, s8, v16
	v_lshlrev_b64 v[18:19], 2, v[18:19]
	v_ashrrev_i32_e32 v27, 31, v26
	v_add_co_ci_u32_e32 v17, vcc_lo, s13, v17, vcc_lo
	v_add_nc_u32_e32 v30, s58, v91
	v_add_co_u32 v22, vcc_lo, s8, v22
	v_lshlrev_b64 v[24:25], 2, v[24:25]
	v_ashrrev_i32_e32 v29, 31, v28
	v_add_co_ci_u32_e32 v23, vcc_lo, s13, v23, vcc_lo
	v_add_co_u32 v18, vcc_lo, s8, v18
	v_lshlrev_b64 v[26:27], 2, v[26:27]
	v_ashrrev_i32_e32 v31, 31, v30
	v_add_co_ci_u32_e32 v19, vcc_lo, s13, v19, vcc_lo
	v_add_co_u32 v24, vcc_lo, s8, v24
	v_lshlrev_b64 v[28:29], 2, v[28:29]
	v_add_co_ci_u32_e32 v25, vcc_lo, s13, v25, vcc_lo
	v_add_nc_u32_e32 v32, s59, v91
	v_add_co_u32 v26, vcc_lo, s8, v26
	v_lshlrev_b64 v[30:31], 2, v[30:31]
	v_add_co_ci_u32_e32 v27, vcc_lo, s13, v27, vcc_lo
	v_add_nc_u32_e32 v34, s60, v91
	v_add_co_u32 v28, vcc_lo, s8, v28
	v_ashrrev_i32_e32 v33, 31, v32
	v_add_co_ci_u32_e32 v29, vcc_lo, s13, v29, vcc_lo
	v_add_nc_u32_e32 v36, s61, v91
	v_add_co_u32 v30, vcc_lo, s8, v30
	v_ashrrev_i32_e32 v35, 31, v34
	v_add_co_ci_u32_e32 v31, vcc_lo, s13, v31, vcc_lo
	s_clause 0x7
	global_load_b32 v48, v[20:21], off
	global_load_b32 v49, v[16:17], off
	global_load_b32 v50, v[22:23], off
	global_load_b32 v51, v[18:19], off
	global_load_b32 v52, v[24:25], off
	global_load_b32 v53, v[26:27], off
	global_load_b32 v54, v[28:29], off
	global_load_b32 v55, v[30:31], off
	v_add_nc_u32_e32 v18, s62, v91
	v_lshlrev_b64 v[32:33], 2, v[32:33]
	v_ashrrev_i32_e32 v37, 31, v36
	v_add_nc_u32_e32 v24, s63, v91
	v_lshlrev_b64 v[16:17], 2, v[34:35]
	v_ashrrev_i32_e32 v19, 31, v18
	v_add_nc_u32_e32 v26, s64, v91
	v_add_co_u32 v20, vcc_lo, s8, v32
	v_lshlrev_b64 v[22:23], 2, v[36:37]
	;; [unrolled: 49-line block ×3, first 2 shown]
	v_ashrrev_i32_e32 v25, 31, v24
	v_add_co_ci_u32_e32 v21, vcc_lo, s13, v33, vcc_lo
	v_add_co_u32 v16, vcc_lo, s8, v16
	v_lshlrev_b64 v[18:19], 2, v[18:19]
	v_ashrrev_i32_e32 v27, 31, v26
	v_add_co_ci_u32_e32 v17, vcc_lo, s13, v17, vcc_lo
	v_add_co_u32 v22, vcc_lo, s8, v22
	v_lshlrev_b64 v[24:25], 2, v[24:25]
	v_add_co_ci_u32_e32 v23, vcc_lo, s13, v23, vcc_lo
	v_add_co_u32 v18, vcc_lo, s8, v18
	v_lshlrev_b64 v[26:27], 2, v[26:27]
	v_add_co_ci_u32_e32 v19, vcc_lo, s13, v19, vcc_lo
	v_add_co_u32 v24, vcc_lo, s8, v24
	v_add_co_ci_u32_e32 v25, vcc_lo, s13, v25, vcc_lo
	s_delay_alu instid0(VALU_DEP_4)
	v_add_co_u32 v26, vcc_lo, s8, v26
	v_add_co_ci_u32_e32 v27, vcc_lo, s13, v27, vcc_lo
	s_clause 0x5
	global_load_b32 v32, v[20:21], off
	global_load_b32 v33, v[16:17], off
	;; [unrolled: 1-line block ×6, first 2 shown]
	v_mov_b32_e32 v84, 0
	s_and_not1_b32 vcc_lo, exec_lo, s24
	s_waitcnt vmcnt(31)
	ds_store_b32 v92, v38 offset:64
	s_waitcnt vmcnt(30)
	ds_store_b32 v92, v39 offset:208
	;; [unrolled: 2-line block ×16, first 2 shown]
	ds_load_b128 v[56:59], v94 offset:64
	ds_load_b128 v[60:63], v94 offset:80
	;; [unrolled: 1-line block ×8, first 2 shown]
	s_waitcnt vmcnt(15)
	ds_store_b32 v92, v54 offset:64
	s_waitcnt vmcnt(14)
	ds_store_b32 v92, v55 offset:208
	;; [unrolled: 2-line block ×16, first 2 shown]
	ds_load_b128 v[72:75], v94 offset:64
	ds_load_b128 v[76:79], v94 offset:80
	;; [unrolled: 1-line block ×8, first 2 shown]
	s_cbranch_vccnz .LBB67_38
; %bb.36:                               ;   in Loop: Header=BB67_35 Depth=1
	ds_load_b32 v96, v95
	v_dual_mov_b32 v84, 0 :: v_dual_mov_b32 v85, 0
	s_waitcnt lgkmcnt(0)
	v_cmp_gt_i32_e32 vcc_lo, 0, v96
	s_cbranch_vccnz .LBB67_38
; %bb.37:                               ;   in Loop: Header=BB67_35 Depth=1
	v_mad_u64_u32 v[84:85], null, v96, s9, v[81:82]
	s_delay_alu instid0(VALU_DEP_1) | instskip(NEXT) | instid1(VALU_DEP_1)
	v_ashrrev_i32_e32 v85, 31, v84
	v_lshlrev_b64 v[84:85], 2, v[84:85]
	s_delay_alu instid0(VALU_DEP_1) | instskip(NEXT) | instid1(VALU_DEP_2)
	v_add_co_u32 v84, vcc_lo, s14, v84
	v_add_co_ci_u32_e32 v85, vcc_lo, s18, v85, vcc_lo
	global_load_b64 v[84:85], v[84:85], off
.LBB67_38:                              ;   in Loop: Header=BB67_35 Depth=1
	s_waitcnt vmcnt(0)
	v_and_b32_e32 v96, 0x7f800000, v84
	s_delay_alu instid0(VALU_DEP_1) | instskip(SKIP_1) | instid1(SALU_CYCLE_1)
	v_cmp_ne_u32_e32 vcc_lo, 0x7f800000, v96
                                        ; implicit-def: $vgpr96
	s_and_saveexec_b32 s0, vcc_lo
	s_xor_b32 s0, exec_lo, s0
; %bb.39:                               ;   in Loop: Header=BB67_35 Depth=1
	v_bfe_u32 v96, v84, 16, 1
	s_delay_alu instid0(VALU_DEP_1)
	v_add3_u32 v96, v84, v96, 0x7fff
; %bb.40:                               ;   in Loop: Header=BB67_35 Depth=1
	s_and_not1_saveexec_b32 s0, s0
; %bb.41:                               ;   in Loop: Header=BB67_35 Depth=1
	v_and_b32_e32 v96, 0xffff, v84
	v_or_b32_e32 v97, 0x10000, v84
	s_delay_alu instid0(VALU_DEP_2) | instskip(NEXT) | instid1(VALU_DEP_2)
	v_cmp_eq_u32_e32 vcc_lo, 0, v96
	v_cndmask_b32_e32 v96, v97, v84, vcc_lo
; %bb.42:                               ;   in Loop: Header=BB67_35 Depth=1
	s_or_b32 exec_lo, exec_lo, s0
	v_and_b32_e32 v84, 0x7f800000, v85
	s_delay_alu instid0(VALU_DEP_1) | instskip(SKIP_1) | instid1(SALU_CYCLE_1)
	v_cmp_ne_u32_e32 vcc_lo, 0x7f800000, v84
                                        ; implicit-def: $vgpr84
	s_and_saveexec_b32 s0, vcc_lo
	s_xor_b32 s0, exec_lo, s0
; %bb.43:                               ;   in Loop: Header=BB67_35 Depth=1
	v_bfe_u32 v84, v85, 16, 1
	s_delay_alu instid0(VALU_DEP_1)
	v_add3_u32 v84, v85, v84, 0x7fff
                                        ; implicit-def: $vgpr85
; %bb.44:                               ;   in Loop: Header=BB67_35 Depth=1
	s_and_not1_saveexec_b32 s0, s0
; %bb.45:                               ;   in Loop: Header=BB67_35 Depth=1
	v_and_b32_e32 v84, 0xffff, v85
	v_or_b32_e32 v97, 0x10000, v85
	s_delay_alu instid0(VALU_DEP_2) | instskip(NEXT) | instid1(VALU_DEP_2)
	v_cmp_eq_u32_e32 vcc_lo, 0, v84
	v_cndmask_b32_e32 v84, v97, v85, vcc_lo
; %bb.46:                               ;   in Loop: Header=BB67_35 Depth=1
	s_or_b32 exec_lo, exec_lo, s0
	s_delay_alu instid0(VALU_DEP_1)
	v_perm_b32 v96, v84, v96, 0x7060302
	v_dual_mov_b32 v85, 0 :: v_dual_mov_b32 v84, 0
	s_and_not1_b32 vcc_lo, exec_lo, s25
	ds_store_b32 v92, v96 offset:64
	s_cbranch_vccnz .LBB67_49
; %bb.47:                               ;   in Loop: Header=BB67_35 Depth=1
	ds_load_b32 v96, v95 offset:4
	v_dual_mov_b32 v84, 0 :: v_dual_mov_b32 v85, 0
	s_waitcnt lgkmcnt(0)
	v_cmp_gt_i32_e32 vcc_lo, 0, v96
	s_cbranch_vccnz .LBB67_49
; %bb.48:                               ;   in Loop: Header=BB67_35 Depth=1
	v_mul_lo_u32 v84, v96, s9
	s_delay_alu instid0(VALU_DEP_1) | instskip(NEXT) | instid1(VALU_DEP_1)
	v_add3_u32 v84, v84, s20, v81
	v_ashrrev_i32_e32 v85, 31, v84
	s_delay_alu instid0(VALU_DEP_1) | instskip(NEXT) | instid1(VALU_DEP_1)
	v_lshlrev_b64 v[84:85], 2, v[84:85]
	v_add_co_u32 v84, vcc_lo, s14, v84
	s_delay_alu instid0(VALU_DEP_2)
	v_add_co_ci_u32_e32 v85, vcc_lo, s18, v85, vcc_lo
	global_load_b64 v[84:85], v[84:85], off
.LBB67_49:                              ;   in Loop: Header=BB67_35 Depth=1
	s_waitcnt vmcnt(0)
	v_and_b32_e32 v96, 0x7f800000, v84
	s_delay_alu instid0(VALU_DEP_1) | instskip(SKIP_1) | instid1(SALU_CYCLE_1)
	v_cmp_ne_u32_e32 vcc_lo, 0x7f800000, v96
                                        ; implicit-def: $vgpr96
	s_and_saveexec_b32 s0, vcc_lo
	s_xor_b32 s0, exec_lo, s0
; %bb.50:                               ;   in Loop: Header=BB67_35 Depth=1
	v_bfe_u32 v96, v84, 16, 1
	s_delay_alu instid0(VALU_DEP_1)
	v_add3_u32 v96, v84, v96, 0x7fff
; %bb.51:                               ;   in Loop: Header=BB67_35 Depth=1
	s_and_not1_saveexec_b32 s0, s0
; %bb.52:                               ;   in Loop: Header=BB67_35 Depth=1
	v_and_b32_e32 v96, 0xffff, v84
	v_or_b32_e32 v97, 0x10000, v84
	s_delay_alu instid0(VALU_DEP_2) | instskip(NEXT) | instid1(VALU_DEP_2)
	v_cmp_eq_u32_e32 vcc_lo, 0, v96
	v_cndmask_b32_e32 v96, v97, v84, vcc_lo
; %bb.53:                               ;   in Loop: Header=BB67_35 Depth=1
	s_or_b32 exec_lo, exec_lo, s0
	v_and_b32_e32 v84, 0x7f800000, v85
	s_delay_alu instid0(VALU_DEP_1) | instskip(SKIP_1) | instid1(SALU_CYCLE_1)
	v_cmp_ne_u32_e32 vcc_lo, 0x7f800000, v84
                                        ; implicit-def: $vgpr84
	s_and_saveexec_b32 s0, vcc_lo
	s_xor_b32 s0, exec_lo, s0
; %bb.54:                               ;   in Loop: Header=BB67_35 Depth=1
	v_bfe_u32 v84, v85, 16, 1
	s_delay_alu instid0(VALU_DEP_1)
	v_add3_u32 v84, v85, v84, 0x7fff
                                        ; implicit-def: $vgpr85
; %bb.55:                               ;   in Loop: Header=BB67_35 Depth=1
	s_and_not1_saveexec_b32 s0, s0
; %bb.56:                               ;   in Loop: Header=BB67_35 Depth=1
	v_and_b32_e32 v84, 0xffff, v85
	v_or_b32_e32 v97, 0x10000, v85
	s_delay_alu instid0(VALU_DEP_2) | instskip(NEXT) | instid1(VALU_DEP_2)
	v_cmp_eq_u32_e32 vcc_lo, 0, v84
	v_cndmask_b32_e32 v84, v97, v85, vcc_lo
; %bb.57:                               ;   in Loop: Header=BB67_35 Depth=1
	s_or_b32 exec_lo, exec_lo, s0
	s_delay_alu instid0(VALU_DEP_1)
	v_perm_b32 v96, v84, v96, 0x7060302
	v_dual_mov_b32 v85, 0 :: v_dual_mov_b32 v84, 0
	s_and_not1_b32 vcc_lo, exec_lo, s27
	ds_store_b32 v92, v96 offset:208
	s_cbranch_vccnz .LBB67_60
; %bb.58:                               ;   in Loop: Header=BB67_35 Depth=1
	ds_load_b32 v96, v95 offset:8
	v_dual_mov_b32 v84, 0 :: v_dual_mov_b32 v85, 0
	s_waitcnt lgkmcnt(0)
	v_cmp_gt_i32_e32 vcc_lo, 0, v96
	s_cbranch_vccnz .LBB67_60
; %bb.59:                               ;   in Loop: Header=BB67_35 Depth=1
	v_mul_lo_u32 v84, v96, s9
	s_delay_alu instid0(VALU_DEP_1) | instskip(NEXT) | instid1(VALU_DEP_1)
	v_add3_u32 v84, v84, s28, v81
	v_ashrrev_i32_e32 v85, 31, v84
	s_delay_alu instid0(VALU_DEP_1) | instskip(NEXT) | instid1(VALU_DEP_1)
	v_lshlrev_b64 v[84:85], 2, v[84:85]
	v_add_co_u32 v84, vcc_lo, s14, v84
	s_delay_alu instid0(VALU_DEP_2)
	v_add_co_ci_u32_e32 v85, vcc_lo, s18, v85, vcc_lo
	global_load_b64 v[84:85], v[84:85], off
.LBB67_60:                              ;   in Loop: Header=BB67_35 Depth=1
	s_waitcnt vmcnt(0)
	v_and_b32_e32 v96, 0x7f800000, v84
	s_delay_alu instid0(VALU_DEP_1) | instskip(SKIP_1) | instid1(SALU_CYCLE_1)
	v_cmp_ne_u32_e32 vcc_lo, 0x7f800000, v96
                                        ; implicit-def: $vgpr96
	s_and_saveexec_b32 s0, vcc_lo
	s_xor_b32 s0, exec_lo, s0
; %bb.61:                               ;   in Loop: Header=BB67_35 Depth=1
	v_bfe_u32 v96, v84, 16, 1
	s_delay_alu instid0(VALU_DEP_1)
	v_add3_u32 v96, v84, v96, 0x7fff
; %bb.62:                               ;   in Loop: Header=BB67_35 Depth=1
	s_and_not1_saveexec_b32 s0, s0
; %bb.63:                               ;   in Loop: Header=BB67_35 Depth=1
	v_and_b32_e32 v96, 0xffff, v84
	v_or_b32_e32 v97, 0x10000, v84
	s_delay_alu instid0(VALU_DEP_2) | instskip(NEXT) | instid1(VALU_DEP_2)
	v_cmp_eq_u32_e32 vcc_lo, 0, v96
	v_cndmask_b32_e32 v96, v97, v84, vcc_lo
; %bb.64:                               ;   in Loop: Header=BB67_35 Depth=1
	s_or_b32 exec_lo, exec_lo, s0
	v_and_b32_e32 v84, 0x7f800000, v85
	s_delay_alu instid0(VALU_DEP_1) | instskip(SKIP_1) | instid1(SALU_CYCLE_1)
	v_cmp_ne_u32_e32 vcc_lo, 0x7f800000, v84
                                        ; implicit-def: $vgpr84
	s_and_saveexec_b32 s0, vcc_lo
	s_xor_b32 s0, exec_lo, s0
; %bb.65:                               ;   in Loop: Header=BB67_35 Depth=1
	v_bfe_u32 v84, v85, 16, 1
	s_delay_alu instid0(VALU_DEP_1)
	v_add3_u32 v84, v85, v84, 0x7fff
                                        ; implicit-def: $vgpr85
; %bb.66:                               ;   in Loop: Header=BB67_35 Depth=1
	s_and_not1_saveexec_b32 s0, s0
; %bb.67:                               ;   in Loop: Header=BB67_35 Depth=1
	v_and_b32_e32 v84, 0xffff, v85
	v_or_b32_e32 v97, 0x10000, v85
	s_delay_alu instid0(VALU_DEP_2) | instskip(NEXT) | instid1(VALU_DEP_2)
	v_cmp_eq_u32_e32 vcc_lo, 0, v84
	v_cndmask_b32_e32 v84, v97, v85, vcc_lo
; %bb.68:                               ;   in Loop: Header=BB67_35 Depth=1
	s_or_b32 exec_lo, exec_lo, s0
	s_delay_alu instid0(VALU_DEP_1)
	v_perm_b32 v96, v84, v96, 0x7060302
	v_dual_mov_b32 v85, 0 :: v_dual_mov_b32 v84, 0
	s_and_not1_b32 vcc_lo, exec_lo, s29
	ds_store_b32 v92, v96 offset:352
	s_cbranch_vccnz .LBB67_71
; %bb.69:                               ;   in Loop: Header=BB67_35 Depth=1
	ds_load_b32 v96, v95 offset:12
	v_dual_mov_b32 v84, 0 :: v_dual_mov_b32 v85, 0
	s_waitcnt lgkmcnt(0)
	v_cmp_gt_i32_e32 vcc_lo, 0, v96
	s_cbranch_vccnz .LBB67_71
; %bb.70:                               ;   in Loop: Header=BB67_35 Depth=1
	v_mul_lo_u32 v84, v96, s9
	s_delay_alu instid0(VALU_DEP_1) | instskip(NEXT) | instid1(VALU_DEP_1)
	v_add3_u32 v84, v84, s36, v81
	v_ashrrev_i32_e32 v85, 31, v84
	s_delay_alu instid0(VALU_DEP_1) | instskip(NEXT) | instid1(VALU_DEP_1)
	v_lshlrev_b64 v[84:85], 2, v[84:85]
	v_add_co_u32 v84, vcc_lo, s14, v84
	s_delay_alu instid0(VALU_DEP_2)
	v_add_co_ci_u32_e32 v85, vcc_lo, s18, v85, vcc_lo
	global_load_b64 v[84:85], v[84:85], off
.LBB67_71:                              ;   in Loop: Header=BB67_35 Depth=1
	s_waitcnt vmcnt(0)
	v_and_b32_e32 v96, 0x7f800000, v84
	s_delay_alu instid0(VALU_DEP_1) | instskip(SKIP_1) | instid1(SALU_CYCLE_1)
	v_cmp_ne_u32_e32 vcc_lo, 0x7f800000, v96
                                        ; implicit-def: $vgpr96
	s_and_saveexec_b32 s0, vcc_lo
	s_xor_b32 s0, exec_lo, s0
; %bb.72:                               ;   in Loop: Header=BB67_35 Depth=1
	v_bfe_u32 v96, v84, 16, 1
	s_delay_alu instid0(VALU_DEP_1)
	v_add3_u32 v96, v84, v96, 0x7fff
; %bb.73:                               ;   in Loop: Header=BB67_35 Depth=1
	s_and_not1_saveexec_b32 s0, s0
; %bb.74:                               ;   in Loop: Header=BB67_35 Depth=1
	v_and_b32_e32 v96, 0xffff, v84
	v_or_b32_e32 v97, 0x10000, v84
	s_delay_alu instid0(VALU_DEP_2) | instskip(NEXT) | instid1(VALU_DEP_2)
	v_cmp_eq_u32_e32 vcc_lo, 0, v96
	v_cndmask_b32_e32 v96, v97, v84, vcc_lo
; %bb.75:                               ;   in Loop: Header=BB67_35 Depth=1
	s_or_b32 exec_lo, exec_lo, s0
	v_and_b32_e32 v84, 0x7f800000, v85
	s_delay_alu instid0(VALU_DEP_1) | instskip(SKIP_1) | instid1(SALU_CYCLE_1)
	v_cmp_ne_u32_e32 vcc_lo, 0x7f800000, v84
                                        ; implicit-def: $vgpr84
	s_and_saveexec_b32 s0, vcc_lo
	s_xor_b32 s0, exec_lo, s0
; %bb.76:                               ;   in Loop: Header=BB67_35 Depth=1
	v_bfe_u32 v84, v85, 16, 1
	s_delay_alu instid0(VALU_DEP_1)
	v_add3_u32 v84, v85, v84, 0x7fff
                                        ; implicit-def: $vgpr85
; %bb.77:                               ;   in Loop: Header=BB67_35 Depth=1
	s_and_not1_saveexec_b32 s0, s0
; %bb.78:                               ;   in Loop: Header=BB67_35 Depth=1
	v_and_b32_e32 v84, 0xffff, v85
	v_or_b32_e32 v97, 0x10000, v85
	s_delay_alu instid0(VALU_DEP_2) | instskip(NEXT) | instid1(VALU_DEP_2)
	v_cmp_eq_u32_e32 vcc_lo, 0, v84
	v_cndmask_b32_e32 v84, v97, v85, vcc_lo
; %bb.79:                               ;   in Loop: Header=BB67_35 Depth=1
	s_or_b32 exec_lo, exec_lo, s0
	s_delay_alu instid0(VALU_DEP_1)
	v_perm_b32 v96, v84, v96, 0x7060302
	v_dual_mov_b32 v85, 0 :: v_dual_mov_b32 v84, 0
	s_and_not1_b32 vcc_lo, exec_lo, s30
	ds_store_b32 v92, v96 offset:496
	s_cbranch_vccnz .LBB67_82
; %bb.80:                               ;   in Loop: Header=BB67_35 Depth=1
	ds_load_b32 v96, v95 offset:16
	v_dual_mov_b32 v84, 0 :: v_dual_mov_b32 v85, 0
	s_waitcnt lgkmcnt(0)
	v_cmp_gt_i32_e32 vcc_lo, 0, v96
	s_cbranch_vccnz .LBB67_82
; %bb.81:                               ;   in Loop: Header=BB67_35 Depth=1
	v_mul_lo_u32 v84, v96, s9
	s_delay_alu instid0(VALU_DEP_1) | instskip(NEXT) | instid1(VALU_DEP_1)
	v_add3_u32 v84, v84, s31, v81
	v_ashrrev_i32_e32 v85, 31, v84
	s_delay_alu instid0(VALU_DEP_1) | instskip(NEXT) | instid1(VALU_DEP_1)
	v_lshlrev_b64 v[84:85], 2, v[84:85]
	v_add_co_u32 v84, vcc_lo, s14, v84
	s_delay_alu instid0(VALU_DEP_2)
	v_add_co_ci_u32_e32 v85, vcc_lo, s18, v85, vcc_lo
	global_load_b64 v[84:85], v[84:85], off
.LBB67_82:                              ;   in Loop: Header=BB67_35 Depth=1
	s_waitcnt vmcnt(0)
	v_and_b32_e32 v96, 0x7f800000, v84
	s_delay_alu instid0(VALU_DEP_1) | instskip(SKIP_1) | instid1(SALU_CYCLE_1)
	v_cmp_ne_u32_e32 vcc_lo, 0x7f800000, v96
                                        ; implicit-def: $vgpr96
	s_and_saveexec_b32 s0, vcc_lo
	s_xor_b32 s0, exec_lo, s0
; %bb.83:                               ;   in Loop: Header=BB67_35 Depth=1
	v_bfe_u32 v96, v84, 16, 1
	s_delay_alu instid0(VALU_DEP_1)
	v_add3_u32 v96, v84, v96, 0x7fff
; %bb.84:                               ;   in Loop: Header=BB67_35 Depth=1
	s_and_not1_saveexec_b32 s0, s0
; %bb.85:                               ;   in Loop: Header=BB67_35 Depth=1
	v_and_b32_e32 v96, 0xffff, v84
	v_or_b32_e32 v97, 0x10000, v84
	s_delay_alu instid0(VALU_DEP_2) | instskip(NEXT) | instid1(VALU_DEP_2)
	v_cmp_eq_u32_e32 vcc_lo, 0, v96
	v_cndmask_b32_e32 v96, v97, v84, vcc_lo
; %bb.86:                               ;   in Loop: Header=BB67_35 Depth=1
	s_or_b32 exec_lo, exec_lo, s0
	v_and_b32_e32 v84, 0x7f800000, v85
	s_delay_alu instid0(VALU_DEP_1) | instskip(SKIP_1) | instid1(SALU_CYCLE_1)
	v_cmp_ne_u32_e32 vcc_lo, 0x7f800000, v84
                                        ; implicit-def: $vgpr84
	s_and_saveexec_b32 s0, vcc_lo
	s_xor_b32 s0, exec_lo, s0
; %bb.87:                               ;   in Loop: Header=BB67_35 Depth=1
	v_bfe_u32 v84, v85, 16, 1
	s_delay_alu instid0(VALU_DEP_1)
	v_add3_u32 v84, v85, v84, 0x7fff
                                        ; implicit-def: $vgpr85
; %bb.88:                               ;   in Loop: Header=BB67_35 Depth=1
	s_and_not1_saveexec_b32 s0, s0
; %bb.89:                               ;   in Loop: Header=BB67_35 Depth=1
	v_and_b32_e32 v84, 0xffff, v85
	v_or_b32_e32 v97, 0x10000, v85
	s_delay_alu instid0(VALU_DEP_2) | instskip(NEXT) | instid1(VALU_DEP_2)
	v_cmp_eq_u32_e32 vcc_lo, 0, v84
	v_cndmask_b32_e32 v84, v97, v85, vcc_lo
; %bb.90:                               ;   in Loop: Header=BB67_35 Depth=1
	s_or_b32 exec_lo, exec_lo, s0
	s_delay_alu instid0(VALU_DEP_1)
	v_perm_b32 v96, v84, v96, 0x7060302
	v_dual_mov_b32 v85, 0 :: v_dual_mov_b32 v84, 0
	s_and_not1_b32 vcc_lo, exec_lo, s33
	ds_store_b32 v92, v96 offset:640
	s_cbranch_vccnz .LBB67_93
; %bb.91:                               ;   in Loop: Header=BB67_35 Depth=1
	ds_load_b32 v96, v95 offset:20
	v_dual_mov_b32 v84, 0 :: v_dual_mov_b32 v85, 0
	s_waitcnt lgkmcnt(0)
	v_cmp_gt_i32_e32 vcc_lo, 0, v96
	s_cbranch_vccnz .LBB67_93
; %bb.92:                               ;   in Loop: Header=BB67_35 Depth=1
	v_mul_lo_u32 v84, v96, s9
	s_delay_alu instid0(VALU_DEP_1) | instskip(NEXT) | instid1(VALU_DEP_1)
	v_add3_u32 v84, v84, s37, v81
	v_ashrrev_i32_e32 v85, 31, v84
	s_delay_alu instid0(VALU_DEP_1) | instskip(NEXT) | instid1(VALU_DEP_1)
	v_lshlrev_b64 v[84:85], 2, v[84:85]
	v_add_co_u32 v84, vcc_lo, s14, v84
	s_delay_alu instid0(VALU_DEP_2)
	v_add_co_ci_u32_e32 v85, vcc_lo, s18, v85, vcc_lo
	global_load_b64 v[84:85], v[84:85], off
.LBB67_93:                              ;   in Loop: Header=BB67_35 Depth=1
	s_waitcnt vmcnt(0)
	v_and_b32_e32 v96, 0x7f800000, v84
	s_delay_alu instid0(VALU_DEP_1) | instskip(SKIP_1) | instid1(SALU_CYCLE_1)
	v_cmp_ne_u32_e32 vcc_lo, 0x7f800000, v96
                                        ; implicit-def: $vgpr96
	s_and_saveexec_b32 s0, vcc_lo
	s_xor_b32 s0, exec_lo, s0
; %bb.94:                               ;   in Loop: Header=BB67_35 Depth=1
	v_bfe_u32 v96, v84, 16, 1
	s_delay_alu instid0(VALU_DEP_1)
	v_add3_u32 v96, v84, v96, 0x7fff
; %bb.95:                               ;   in Loop: Header=BB67_35 Depth=1
	s_and_not1_saveexec_b32 s0, s0
; %bb.96:                               ;   in Loop: Header=BB67_35 Depth=1
	v_and_b32_e32 v96, 0xffff, v84
	v_or_b32_e32 v97, 0x10000, v84
	s_delay_alu instid0(VALU_DEP_2) | instskip(NEXT) | instid1(VALU_DEP_2)
	v_cmp_eq_u32_e32 vcc_lo, 0, v96
	v_cndmask_b32_e32 v96, v97, v84, vcc_lo
; %bb.97:                               ;   in Loop: Header=BB67_35 Depth=1
	s_or_b32 exec_lo, exec_lo, s0
	v_and_b32_e32 v84, 0x7f800000, v85
	s_delay_alu instid0(VALU_DEP_1) | instskip(SKIP_1) | instid1(SALU_CYCLE_1)
	v_cmp_ne_u32_e32 vcc_lo, 0x7f800000, v84
                                        ; implicit-def: $vgpr84
	s_and_saveexec_b32 s0, vcc_lo
	s_xor_b32 s0, exec_lo, s0
; %bb.98:                               ;   in Loop: Header=BB67_35 Depth=1
	v_bfe_u32 v84, v85, 16, 1
	s_delay_alu instid0(VALU_DEP_1)
	v_add3_u32 v84, v85, v84, 0x7fff
                                        ; implicit-def: $vgpr85
; %bb.99:                               ;   in Loop: Header=BB67_35 Depth=1
	s_and_not1_saveexec_b32 s0, s0
; %bb.100:                              ;   in Loop: Header=BB67_35 Depth=1
	v_and_b32_e32 v84, 0xffff, v85
	v_or_b32_e32 v97, 0x10000, v85
	s_delay_alu instid0(VALU_DEP_2) | instskip(NEXT) | instid1(VALU_DEP_2)
	v_cmp_eq_u32_e32 vcc_lo, 0, v84
	v_cndmask_b32_e32 v84, v97, v85, vcc_lo
; %bb.101:                              ;   in Loop: Header=BB67_35 Depth=1
	s_or_b32 exec_lo, exec_lo, s0
	s_delay_alu instid0(VALU_DEP_1)
	v_perm_b32 v96, v84, v96, 0x7060302
	v_dual_mov_b32 v85, 0 :: v_dual_mov_b32 v84, 0
	s_and_not1_b32 vcc_lo, exec_lo, s34
	ds_store_b32 v92, v96 offset:784
	s_cbranch_vccnz .LBB67_104
; %bb.102:                              ;   in Loop: Header=BB67_35 Depth=1
	ds_load_b32 v96, v95 offset:24
	v_dual_mov_b32 v84, 0 :: v_dual_mov_b32 v85, 0
	s_waitcnt lgkmcnt(0)
	v_cmp_gt_i32_e32 vcc_lo, 0, v96
	s_cbranch_vccnz .LBB67_104
; %bb.103:                              ;   in Loop: Header=BB67_35 Depth=1
	v_mul_lo_u32 v84, v96, s9
	s_delay_alu instid0(VALU_DEP_1) | instskip(NEXT) | instid1(VALU_DEP_1)
	v_add3_u32 v84, v84, s42, v81
	v_ashrrev_i32_e32 v85, 31, v84
	s_delay_alu instid0(VALU_DEP_1) | instskip(NEXT) | instid1(VALU_DEP_1)
	v_lshlrev_b64 v[84:85], 2, v[84:85]
	v_add_co_u32 v84, vcc_lo, s14, v84
	s_delay_alu instid0(VALU_DEP_2)
	v_add_co_ci_u32_e32 v85, vcc_lo, s18, v85, vcc_lo
	global_load_b64 v[84:85], v[84:85], off
.LBB67_104:                             ;   in Loop: Header=BB67_35 Depth=1
	s_waitcnt vmcnt(0)
	v_and_b32_e32 v96, 0x7f800000, v84
	s_delay_alu instid0(VALU_DEP_1) | instskip(SKIP_1) | instid1(SALU_CYCLE_1)
	v_cmp_ne_u32_e32 vcc_lo, 0x7f800000, v96
                                        ; implicit-def: $vgpr96
	s_and_saveexec_b32 s0, vcc_lo
	s_xor_b32 s0, exec_lo, s0
; %bb.105:                              ;   in Loop: Header=BB67_35 Depth=1
	v_bfe_u32 v96, v84, 16, 1
	s_delay_alu instid0(VALU_DEP_1)
	v_add3_u32 v96, v84, v96, 0x7fff
; %bb.106:                              ;   in Loop: Header=BB67_35 Depth=1
	s_and_not1_saveexec_b32 s0, s0
; %bb.107:                              ;   in Loop: Header=BB67_35 Depth=1
	v_and_b32_e32 v96, 0xffff, v84
	v_or_b32_e32 v97, 0x10000, v84
	s_delay_alu instid0(VALU_DEP_2) | instskip(NEXT) | instid1(VALU_DEP_2)
	v_cmp_eq_u32_e32 vcc_lo, 0, v96
	v_cndmask_b32_e32 v96, v97, v84, vcc_lo
; %bb.108:                              ;   in Loop: Header=BB67_35 Depth=1
	s_or_b32 exec_lo, exec_lo, s0
	v_and_b32_e32 v84, 0x7f800000, v85
	s_delay_alu instid0(VALU_DEP_1) | instskip(SKIP_1) | instid1(SALU_CYCLE_1)
	v_cmp_ne_u32_e32 vcc_lo, 0x7f800000, v84
                                        ; implicit-def: $vgpr84
	s_and_saveexec_b32 s0, vcc_lo
	s_xor_b32 s0, exec_lo, s0
; %bb.109:                              ;   in Loop: Header=BB67_35 Depth=1
	v_bfe_u32 v84, v85, 16, 1
	s_delay_alu instid0(VALU_DEP_1)
	v_add3_u32 v84, v85, v84, 0x7fff
                                        ; implicit-def: $vgpr85
; %bb.110:                              ;   in Loop: Header=BB67_35 Depth=1
	s_and_not1_saveexec_b32 s0, s0
; %bb.111:                              ;   in Loop: Header=BB67_35 Depth=1
	v_and_b32_e32 v84, 0xffff, v85
	v_or_b32_e32 v97, 0x10000, v85
	s_delay_alu instid0(VALU_DEP_2) | instskip(NEXT) | instid1(VALU_DEP_2)
	v_cmp_eq_u32_e32 vcc_lo, 0, v84
	v_cndmask_b32_e32 v84, v97, v85, vcc_lo
; %bb.112:                              ;   in Loop: Header=BB67_35 Depth=1
	s_or_b32 exec_lo, exec_lo, s0
	s_delay_alu instid0(VALU_DEP_1)
	v_perm_b32 v96, v84, v96, 0x7060302
	v_dual_mov_b32 v85, 0 :: v_dual_mov_b32 v84, 0
	s_and_not1_b32 vcc_lo, exec_lo, s35
	ds_store_b32 v92, v96 offset:928
	s_cbranch_vccnz .LBB67_115
; %bb.113:                              ;   in Loop: Header=BB67_35 Depth=1
	ds_load_b32 v96, v95 offset:28
	v_dual_mov_b32 v84, 0 :: v_dual_mov_b32 v85, 0
	s_waitcnt lgkmcnt(0)
	v_cmp_gt_i32_e32 vcc_lo, 0, v96
	s_cbranch_vccnz .LBB67_115
; %bb.114:                              ;   in Loop: Header=BB67_35 Depth=1
	v_mul_lo_u32 v84, v96, s9
	s_delay_alu instid0(VALU_DEP_1) | instskip(NEXT) | instid1(VALU_DEP_1)
	v_add3_u32 v84, v84, s41, v81
	v_ashrrev_i32_e32 v85, 31, v84
	s_delay_alu instid0(VALU_DEP_1) | instskip(NEXT) | instid1(VALU_DEP_1)
	v_lshlrev_b64 v[84:85], 2, v[84:85]
	v_add_co_u32 v84, vcc_lo, s14, v84
	s_delay_alu instid0(VALU_DEP_2)
	v_add_co_ci_u32_e32 v85, vcc_lo, s18, v85, vcc_lo
	global_load_b64 v[84:85], v[84:85], off
.LBB67_115:                             ;   in Loop: Header=BB67_35 Depth=1
	s_waitcnt vmcnt(0)
	v_and_b32_e32 v96, 0x7f800000, v84
	s_delay_alu instid0(VALU_DEP_1) | instskip(SKIP_1) | instid1(SALU_CYCLE_1)
	v_cmp_ne_u32_e32 vcc_lo, 0x7f800000, v96
                                        ; implicit-def: $vgpr96
	s_and_saveexec_b32 s0, vcc_lo
	s_xor_b32 s0, exec_lo, s0
; %bb.116:                              ;   in Loop: Header=BB67_35 Depth=1
	v_bfe_u32 v96, v84, 16, 1
	s_delay_alu instid0(VALU_DEP_1)
	v_add3_u32 v96, v84, v96, 0x7fff
; %bb.117:                              ;   in Loop: Header=BB67_35 Depth=1
	s_and_not1_saveexec_b32 s0, s0
; %bb.118:                              ;   in Loop: Header=BB67_35 Depth=1
	v_and_b32_e32 v96, 0xffff, v84
	v_or_b32_e32 v97, 0x10000, v84
	s_delay_alu instid0(VALU_DEP_2) | instskip(NEXT) | instid1(VALU_DEP_2)
	v_cmp_eq_u32_e32 vcc_lo, 0, v96
	v_cndmask_b32_e32 v96, v97, v84, vcc_lo
; %bb.119:                              ;   in Loop: Header=BB67_35 Depth=1
	s_or_b32 exec_lo, exec_lo, s0
	v_and_b32_e32 v84, 0x7f800000, v85
	s_delay_alu instid0(VALU_DEP_1) | instskip(SKIP_1) | instid1(SALU_CYCLE_1)
	v_cmp_ne_u32_e32 vcc_lo, 0x7f800000, v84
                                        ; implicit-def: $vgpr84
	s_and_saveexec_b32 s0, vcc_lo
	s_xor_b32 s0, exec_lo, s0
; %bb.120:                              ;   in Loop: Header=BB67_35 Depth=1
	v_bfe_u32 v84, v85, 16, 1
	s_delay_alu instid0(VALU_DEP_1)
	v_add3_u32 v84, v85, v84, 0x7fff
                                        ; implicit-def: $vgpr85
; %bb.121:                              ;   in Loop: Header=BB67_35 Depth=1
	s_and_not1_saveexec_b32 s0, s0
; %bb.122:                              ;   in Loop: Header=BB67_35 Depth=1
	v_and_b32_e32 v84, 0xffff, v85
	v_or_b32_e32 v97, 0x10000, v85
	s_delay_alu instid0(VALU_DEP_2) | instskip(NEXT) | instid1(VALU_DEP_2)
	v_cmp_eq_u32_e32 vcc_lo, 0, v84
	v_cndmask_b32_e32 v84, v97, v85, vcc_lo
; %bb.123:                              ;   in Loop: Header=BB67_35 Depth=1
	s_or_b32 exec_lo, exec_lo, s0
	s_delay_alu instid0(VALU_DEP_1)
	v_perm_b32 v96, v84, v96, 0x7060302
	v_dual_mov_b32 v85, 0 :: v_dual_mov_b32 v84, 0
	s_and_not1_b32 vcc_lo, exec_lo, s38
	ds_store_b32 v92, v96 offset:1072
	s_cbranch_vccnz .LBB67_126
; %bb.124:                              ;   in Loop: Header=BB67_35 Depth=1
	ds_load_b32 v96, v95 offset:32
	v_dual_mov_b32 v84, 0 :: v_dual_mov_b32 v85, 0
	s_waitcnt lgkmcnt(0)
	v_cmp_gt_i32_e32 vcc_lo, 0, v96
	s_cbranch_vccnz .LBB67_126
; %bb.125:                              ;   in Loop: Header=BB67_35 Depth=1
	v_mul_lo_u32 v84, v96, s9
	s_delay_alu instid0(VALU_DEP_1) | instskip(NEXT) | instid1(VALU_DEP_1)
	v_add3_u32 v84, v84, s39, v81
	v_ashrrev_i32_e32 v85, 31, v84
	s_delay_alu instid0(VALU_DEP_1) | instskip(NEXT) | instid1(VALU_DEP_1)
	v_lshlrev_b64 v[84:85], 2, v[84:85]
	v_add_co_u32 v84, vcc_lo, s14, v84
	s_delay_alu instid0(VALU_DEP_2)
	v_add_co_ci_u32_e32 v85, vcc_lo, s18, v85, vcc_lo
	global_load_b64 v[84:85], v[84:85], off
.LBB67_126:                             ;   in Loop: Header=BB67_35 Depth=1
	s_waitcnt vmcnt(0)
	v_and_b32_e32 v96, 0x7f800000, v84
	s_delay_alu instid0(VALU_DEP_1) | instskip(SKIP_1) | instid1(SALU_CYCLE_1)
	v_cmp_ne_u32_e32 vcc_lo, 0x7f800000, v96
                                        ; implicit-def: $vgpr96
	s_and_saveexec_b32 s0, vcc_lo
	s_xor_b32 s0, exec_lo, s0
; %bb.127:                              ;   in Loop: Header=BB67_35 Depth=1
	v_bfe_u32 v96, v84, 16, 1
	s_delay_alu instid0(VALU_DEP_1)
	v_add3_u32 v96, v84, v96, 0x7fff
; %bb.128:                              ;   in Loop: Header=BB67_35 Depth=1
	s_and_not1_saveexec_b32 s0, s0
; %bb.129:                              ;   in Loop: Header=BB67_35 Depth=1
	v_and_b32_e32 v96, 0xffff, v84
	v_or_b32_e32 v97, 0x10000, v84
	s_delay_alu instid0(VALU_DEP_2) | instskip(NEXT) | instid1(VALU_DEP_2)
	v_cmp_eq_u32_e32 vcc_lo, 0, v96
	v_cndmask_b32_e32 v96, v97, v84, vcc_lo
; %bb.130:                              ;   in Loop: Header=BB67_35 Depth=1
	s_or_b32 exec_lo, exec_lo, s0
	v_and_b32_e32 v84, 0x7f800000, v85
	s_delay_alu instid0(VALU_DEP_1) | instskip(SKIP_1) | instid1(SALU_CYCLE_1)
	v_cmp_ne_u32_e32 vcc_lo, 0x7f800000, v84
                                        ; implicit-def: $vgpr84
	s_and_saveexec_b32 s0, vcc_lo
	s_xor_b32 s0, exec_lo, s0
; %bb.131:                              ;   in Loop: Header=BB67_35 Depth=1
	v_bfe_u32 v84, v85, 16, 1
	s_delay_alu instid0(VALU_DEP_1)
	v_add3_u32 v84, v85, v84, 0x7fff
                                        ; implicit-def: $vgpr85
; %bb.132:                              ;   in Loop: Header=BB67_35 Depth=1
	s_and_not1_saveexec_b32 s0, s0
; %bb.133:                              ;   in Loop: Header=BB67_35 Depth=1
	v_and_b32_e32 v84, 0xffff, v85
	v_or_b32_e32 v97, 0x10000, v85
	s_delay_alu instid0(VALU_DEP_2) | instskip(NEXT) | instid1(VALU_DEP_2)
	v_cmp_eq_u32_e32 vcc_lo, 0, v84
	v_cndmask_b32_e32 v84, v97, v85, vcc_lo
; %bb.134:                              ;   in Loop: Header=BB67_35 Depth=1
	s_or_b32 exec_lo, exec_lo, s0
	s_delay_alu instid0(VALU_DEP_1)
	v_perm_b32 v96, v84, v96, 0x7060302
	v_dual_mov_b32 v85, 0 :: v_dual_mov_b32 v84, 0
	s_and_not1_b32 vcc_lo, exec_lo, s40
	ds_store_b32 v92, v96 offset:1216
	s_cbranch_vccnz .LBB67_137
; %bb.135:                              ;   in Loop: Header=BB67_35 Depth=1
	ds_load_b32 v96, v95 offset:36
	v_dual_mov_b32 v84, 0 :: v_dual_mov_b32 v85, 0
	s_waitcnt lgkmcnt(0)
	v_cmp_gt_i32_e32 vcc_lo, 0, v96
	s_cbranch_vccnz .LBB67_137
; %bb.136:                              ;   in Loop: Header=BB67_35 Depth=1
	v_mul_lo_u32 v84, v96, s9
	s_delay_alu instid0(VALU_DEP_1) | instskip(NEXT) | instid1(VALU_DEP_1)
	v_add3_u32 v84, v84, s5, v81
	v_ashrrev_i32_e32 v85, 31, v84
	s_delay_alu instid0(VALU_DEP_1) | instskip(NEXT) | instid1(VALU_DEP_1)
	v_lshlrev_b64 v[84:85], 2, v[84:85]
	v_add_co_u32 v84, vcc_lo, s14, v84
	s_delay_alu instid0(VALU_DEP_2)
	v_add_co_ci_u32_e32 v85, vcc_lo, s18, v85, vcc_lo
	global_load_b64 v[84:85], v[84:85], off
.LBB67_137:                             ;   in Loop: Header=BB67_35 Depth=1
	s_waitcnt vmcnt(0)
	v_and_b32_e32 v96, 0x7f800000, v84
	s_delay_alu instid0(VALU_DEP_1) | instskip(SKIP_1) | instid1(SALU_CYCLE_1)
	v_cmp_ne_u32_e32 vcc_lo, 0x7f800000, v96
                                        ; implicit-def: $vgpr96
	s_and_saveexec_b32 s0, vcc_lo
	s_xor_b32 s0, exec_lo, s0
; %bb.138:                              ;   in Loop: Header=BB67_35 Depth=1
	v_bfe_u32 v96, v84, 16, 1
	s_delay_alu instid0(VALU_DEP_1)
	v_add3_u32 v96, v84, v96, 0x7fff
; %bb.139:                              ;   in Loop: Header=BB67_35 Depth=1
	s_and_not1_saveexec_b32 s0, s0
; %bb.140:                              ;   in Loop: Header=BB67_35 Depth=1
	v_and_b32_e32 v96, 0xffff, v84
	v_or_b32_e32 v97, 0x10000, v84
	s_delay_alu instid0(VALU_DEP_2) | instskip(NEXT) | instid1(VALU_DEP_2)
	v_cmp_eq_u32_e32 vcc_lo, 0, v96
	v_cndmask_b32_e32 v96, v97, v84, vcc_lo
; %bb.141:                              ;   in Loop: Header=BB67_35 Depth=1
	s_or_b32 exec_lo, exec_lo, s0
	v_and_b32_e32 v84, 0x7f800000, v85
	s_delay_alu instid0(VALU_DEP_1) | instskip(SKIP_1) | instid1(SALU_CYCLE_1)
	v_cmp_ne_u32_e32 vcc_lo, 0x7f800000, v84
                                        ; implicit-def: $vgpr84
	s_and_saveexec_b32 s0, vcc_lo
	s_xor_b32 s0, exec_lo, s0
; %bb.142:                              ;   in Loop: Header=BB67_35 Depth=1
	v_bfe_u32 v84, v85, 16, 1
	s_delay_alu instid0(VALU_DEP_1)
	v_add3_u32 v84, v85, v84, 0x7fff
                                        ; implicit-def: $vgpr85
; %bb.143:                              ;   in Loop: Header=BB67_35 Depth=1
	s_and_not1_saveexec_b32 s0, s0
; %bb.144:                              ;   in Loop: Header=BB67_35 Depth=1
	v_and_b32_e32 v84, 0xffff, v85
	v_or_b32_e32 v97, 0x10000, v85
	s_delay_alu instid0(VALU_DEP_2) | instskip(NEXT) | instid1(VALU_DEP_2)
	v_cmp_eq_u32_e32 vcc_lo, 0, v84
	v_cndmask_b32_e32 v84, v97, v85, vcc_lo
; %bb.145:                              ;   in Loop: Header=BB67_35 Depth=1
	s_or_b32 exec_lo, exec_lo, s0
	s_delay_alu instid0(VALU_DEP_1)
	v_perm_b32 v96, v84, v96, 0x7060302
	v_dual_mov_b32 v85, 0 :: v_dual_mov_b32 v84, 0
	s_and_not1_b32 vcc_lo, exec_lo, s17
	ds_store_b32 v92, v96 offset:1360
	s_cbranch_vccnz .LBB67_148
; %bb.146:                              ;   in Loop: Header=BB67_35 Depth=1
	ds_load_b32 v96, v95 offset:40
	v_dual_mov_b32 v84, 0 :: v_dual_mov_b32 v85, 0
	s_waitcnt lgkmcnt(0)
	v_cmp_gt_i32_e32 vcc_lo, 0, v96
	s_cbranch_vccnz .LBB67_148
; %bb.147:                              ;   in Loop: Header=BB67_35 Depth=1
	v_mul_lo_u32 v84, v96, s9
	s_delay_alu instid0(VALU_DEP_1) | instskip(NEXT) | instid1(VALU_DEP_1)
	v_add3_u32 v84, v84, s4, v81
	v_ashrrev_i32_e32 v85, 31, v84
	s_delay_alu instid0(VALU_DEP_1) | instskip(NEXT) | instid1(VALU_DEP_1)
	v_lshlrev_b64 v[84:85], 2, v[84:85]
	v_add_co_u32 v84, vcc_lo, s14, v84
	s_delay_alu instid0(VALU_DEP_2)
	v_add_co_ci_u32_e32 v85, vcc_lo, s18, v85, vcc_lo
	global_load_b64 v[84:85], v[84:85], off
.LBB67_148:                             ;   in Loop: Header=BB67_35 Depth=1
	s_waitcnt vmcnt(0)
	v_and_b32_e32 v96, 0x7f800000, v84
	s_delay_alu instid0(VALU_DEP_1) | instskip(SKIP_1) | instid1(SALU_CYCLE_1)
	v_cmp_ne_u32_e32 vcc_lo, 0x7f800000, v96
                                        ; implicit-def: $vgpr96
	s_and_saveexec_b32 s0, vcc_lo
	s_xor_b32 s0, exec_lo, s0
; %bb.149:                              ;   in Loop: Header=BB67_35 Depth=1
	v_bfe_u32 v96, v84, 16, 1
	s_delay_alu instid0(VALU_DEP_1)
	v_add3_u32 v96, v84, v96, 0x7fff
; %bb.150:                              ;   in Loop: Header=BB67_35 Depth=1
	s_and_not1_saveexec_b32 s0, s0
; %bb.151:                              ;   in Loop: Header=BB67_35 Depth=1
	v_and_b32_e32 v96, 0xffff, v84
	v_or_b32_e32 v97, 0x10000, v84
	s_delay_alu instid0(VALU_DEP_2) | instskip(NEXT) | instid1(VALU_DEP_2)
	v_cmp_eq_u32_e32 vcc_lo, 0, v96
	v_cndmask_b32_e32 v96, v97, v84, vcc_lo
; %bb.152:                              ;   in Loop: Header=BB67_35 Depth=1
	s_or_b32 exec_lo, exec_lo, s0
	v_and_b32_e32 v84, 0x7f800000, v85
	s_delay_alu instid0(VALU_DEP_1) | instskip(SKIP_1) | instid1(SALU_CYCLE_1)
	v_cmp_ne_u32_e32 vcc_lo, 0x7f800000, v84
                                        ; implicit-def: $vgpr84
	s_and_saveexec_b32 s0, vcc_lo
	s_xor_b32 s0, exec_lo, s0
; %bb.153:                              ;   in Loop: Header=BB67_35 Depth=1
	v_bfe_u32 v84, v85, 16, 1
	s_delay_alu instid0(VALU_DEP_1)
	v_add3_u32 v84, v85, v84, 0x7fff
                                        ; implicit-def: $vgpr85
; %bb.154:                              ;   in Loop: Header=BB67_35 Depth=1
	s_and_not1_saveexec_b32 s0, s0
	s_cbranch_execz .LBB67_34
; %bb.155:                              ;   in Loop: Header=BB67_35 Depth=1
	v_and_b32_e32 v84, 0xffff, v85
	v_or_b32_e32 v97, 0x10000, v85
	s_delay_alu instid0(VALU_DEP_2) | instskip(NEXT) | instid1(VALU_DEP_2)
	v_cmp_eq_u32_e32 vcc_lo, 0, v84
	v_cndmask_b32_e32 v84, v97, v85, vcc_lo
	s_branch .LBB67_34
.LBB67_156:
	s_or_b32 exec_lo, exec_lo, s19
.LBB67_157:
	s_delay_alu instid0(SALU_CYCLE_1) | instskip(SKIP_4) | instid1(VALU_DEP_3)
	s_or_b32 exec_lo, exec_lo, s11
	v_lshrrev_b32_e32 v16, 2, v80
	s_movk_i32 s0, 0x310
	v_lshlrev_b32_e32 v17, 2, v89
	v_mad_u32_u24 v18, v90, s0, 0x100
	v_and_b32_e32 v16, 0xfc, v16
	s_barrier
	buffer_gl0_inv
	s_mov_b32 s0, exec_lo
	v_add3_u32 v17, v18, v16, v17
	v_lshl_add_u32 v16, v80, 2, 0x100
	ds_store_2addr_b32 v17, v8, v9 offset0:16 offset1:18
	ds_store_2addr_b32 v17, v10, v11 offset0:20 offset1:22
	;; [unrolled: 1-line block ×7, first 2 shown]
	v_mad_u32_u24 v0, 0x310, v86, v16
	ds_store_2addr_b32 v17, v6, v7 offset0:44 offset1:46
	v_mov_b32_e32 v7, -1
	s_waitcnt lgkmcnt(0)
	s_barrier
	buffer_gl0_inv
	ds_load_2addr_b32 v[4:5], v0 offset0:16 offset1:48
	ds_load_2addr_b32 v[2:3], v0 offset0:80 offset1:112
	;; [unrolled: 1-line block ×3, first 2 shown]
	v_cmpx_gt_u32_e32 11, v86
	s_cbranch_execz .LBB67_159
; %bb.158:
	ds_load_b32 v7, v87
.LBB67_159:
	s_or_b32 exec_lo, exec_lo, s0
	s_mul_hi_i32 s5, s26, s15
	s_mul_i32 s4, s26, s15
	s_mul_hi_i32 s7, s12, s21
	s_lshl_b64 s[4:5], s[4:5], 2
	s_mul_i32 s6, s12, s21
	s_waitcnt lgkmcnt(0)
	v_cmp_lt_i32_e32 vcc_lo, -1, v7
	s_add_u32 s0, s22, s4
	s_addc_u32 s8, s23, s5
	s_lshl_b64 s[4:5], s[6:7], 2
	v_add_nc_u32_e32 v6, s1, v80
	s_add_u32 s0, s0, s4
	s_addc_u32 s1, s8, s5
	s_and_b32 s4, vcc_lo, s2
	s_delay_alu instid0(SALU_CYCLE_1)
	s_and_saveexec_b32 s2, s4
	s_cbranch_execz .LBB67_161
; %bb.160:
	v_add_f32_e32 v4, 0, v4
	s_delay_alu instid0(VALU_DEP_1) | instskip(SKIP_2) | instid1(VALU_DEP_3)
	v_add_f32_e32 v4, v4, v5
	v_mul_lo_u32 v5, v7, s10
	v_mul_lo_u32 v7, v86, s21
	v_add_f32_e32 v2, v4, v2
	v_mov_b32_e32 v4, 0
	s_delay_alu instid0(VALU_DEP_2) | instskip(NEXT) | instid1(VALU_DEP_4)
	v_add_f32_e32 v2, v2, v3
	v_add3_u32 v3, v6, v7, v5
	s_delay_alu instid0(VALU_DEP_2) | instskip(NEXT) | instid1(VALU_DEP_2)
	v_add_f32_e32 v0, v2, v0
	v_lshlrev_b64 v[2:3], 2, v[3:4]
	s_delay_alu instid0(VALU_DEP_2) | instskip(NEXT) | instid1(VALU_DEP_2)
	v_add_f32_e32 v4, v0, v1
	v_add_co_u32 v0, vcc_lo, s0, v2
	s_delay_alu instid0(VALU_DEP_3)
	v_add_co_ci_u32_e32 v1, vcc_lo, s1, v3, vcc_lo
	global_store_b32 v[0:1], v4, off
.LBB67_161:
	s_or_b32 exec_lo, exec_lo, s2
	v_cmp_gt_u32_e32 vcc_lo, 5, v86
	s_and_b32 exec_lo, exec_lo, vcc_lo
	s_cbranch_execz .LBB67_164
; %bb.162:
	ds_load_b32 v0, v87 offset:24
	s_waitcnt lgkmcnt(0)
	v_cmp_lt_i32_e32 vcc_lo, -1, v0
	s_and_b32 s2, vcc_lo, s3
	s_delay_alu instid0(SALU_CYCLE_1)
	s_and_b32 exec_lo, exec_lo, s2
	s_cbranch_execz .LBB67_164
; %bb.163:
	v_mul_u32_u24_e32 v1, 0x310, v86
	v_mul_lo_u32 v0, v0, s10
	s_delay_alu instid0(VALU_DEP_2) | instskip(NEXT) | instid1(VALU_DEP_1)
	v_add_nc_u32_e32 v5, v1, v16
	v_add_nc_u32_e32 v1, 0x1000, v5
	;; [unrolled: 1-line block ×4, first 2 shown]
	ds_load_2addr_b32 v[1:2], v1 offset0:168 offset1:200
	ds_load_2addr_b32 v[3:4], v3 offset0:104 offset1:136
	;; [unrolled: 1-line block ×3, first 2 shown]
	s_waitcnt lgkmcnt(2)
	v_add_f32_e32 v1, 0, v1
	s_delay_alu instid0(VALU_DEP_1) | instskip(SKIP_2) | instid1(VALU_DEP_2)
	v_add_f32_e32 v1, v1, v2
	v_mul_lo_u32 v2, v88, s21
	s_waitcnt lgkmcnt(1)
	v_add_f32_e32 v3, v1, v3
	v_mov_b32_e32 v1, 0
	s_delay_alu instid0(VALU_DEP_3) | instskip(NEXT) | instid1(VALU_DEP_3)
	v_add3_u32 v0, v6, v2, v0
	v_add_f32_e32 v3, v3, v4
	s_delay_alu instid0(VALU_DEP_2) | instskip(SKIP_1) | instid1(VALU_DEP_2)
	v_lshlrev_b64 v[0:1], 2, v[0:1]
	s_waitcnt lgkmcnt(0)
	v_add_f32_e32 v2, v3, v7
	s_delay_alu instid0(VALU_DEP_1) | instskip(NEXT) | instid1(VALU_DEP_3)
	v_add_f32_e32 v2, v2, v8
	v_add_co_u32 v0, vcc_lo, s0, v0
	s_delay_alu instid0(VALU_DEP_4)
	v_add_co_ci_u32_e32 v1, vcc_lo, s1, v1, vcc_lo
	global_store_b32 v[0:1], v2, off
.LBB67_164:
	s_nop 0
	s_sendmsg sendmsg(MSG_DEALLOC_VGPRS)
	s_endpgm
	.section	.rodata,"a",@progbits
	.p2align	6, 0x0
	.amdhsa_kernel _ZL9mul_mat_fI15__hip_bfloat162Li32ELi11ELi6ELb1EEvPKT_PKfPKiPfiiiiiiiiiiiiiiii
		.amdhsa_group_segment_fixed_size 256
		.amdhsa_private_segment_fixed_size 0
		.amdhsa_kernarg_size 352
		.amdhsa_user_sgpr_count 13
		.amdhsa_user_sgpr_dispatch_ptr 0
		.amdhsa_user_sgpr_queue_ptr 0
		.amdhsa_user_sgpr_kernarg_segment_ptr 1
		.amdhsa_user_sgpr_dispatch_id 0
		.amdhsa_user_sgpr_private_segment_size 0
		.amdhsa_wavefront_size32 1
		.amdhsa_uses_dynamic_stack 0
		.amdhsa_enable_private_segment 0
		.amdhsa_system_sgpr_workgroup_id_x 1
		.amdhsa_system_sgpr_workgroup_id_y 1
		.amdhsa_system_sgpr_workgroup_id_z 1
		.amdhsa_system_sgpr_workgroup_info 0
		.amdhsa_system_vgpr_workitem_id 2
		.amdhsa_next_free_vgpr 120
		.amdhsa_next_free_sgpr 73
		.amdhsa_reserve_vcc 1
		.amdhsa_float_round_mode_32 0
		.amdhsa_float_round_mode_16_64 0
		.amdhsa_float_denorm_mode_32 3
		.amdhsa_float_denorm_mode_16_64 3
		.amdhsa_dx10_clamp 1
		.amdhsa_ieee_mode 1
		.amdhsa_fp16_overflow 0
		.amdhsa_workgroup_processor_mode 1
		.amdhsa_memory_ordered 1
		.amdhsa_forward_progress 0
		.amdhsa_shared_vgpr_count 0
		.amdhsa_exception_fp_ieee_invalid_op 0
		.amdhsa_exception_fp_denorm_src 0
		.amdhsa_exception_fp_ieee_div_zero 0
		.amdhsa_exception_fp_ieee_overflow 0
		.amdhsa_exception_fp_ieee_underflow 0
		.amdhsa_exception_fp_ieee_inexact 0
		.amdhsa_exception_int_div_zero 0
	.end_amdhsa_kernel
	.section	.text._ZL9mul_mat_fI15__hip_bfloat162Li32ELi11ELi6ELb1EEvPKT_PKfPKiPfiiiiiiiiiiiiiiii,"axG",@progbits,_ZL9mul_mat_fI15__hip_bfloat162Li32ELi11ELi6ELb1EEvPKT_PKfPKiPfiiiiiiiiiiiiiiii,comdat
.Lfunc_end67:
	.size	_ZL9mul_mat_fI15__hip_bfloat162Li32ELi11ELi6ELb1EEvPKT_PKfPKiPfiiiiiiiiiiiiiiii, .Lfunc_end67-_ZL9mul_mat_fI15__hip_bfloat162Li32ELi11ELi6ELb1EEvPKT_PKfPKiPfiiiiiiiiiiiiiiii
                                        ; -- End function
	.section	.AMDGPU.csdata,"",@progbits
; Kernel info:
; codeLenInByte = 8144
; NumSgprs: 75
; NumVgprs: 120
; ScratchSize: 0
; MemoryBound: 0
; FloatMode: 240
; IeeeMode: 1
; LDSByteSize: 256 bytes/workgroup (compile time only)
; SGPRBlocks: 9
; VGPRBlocks: 14
; NumSGPRsForWavesPerEU: 75
; NumVGPRsForWavesPerEU: 120
; Occupancy: 12
; WaveLimiterHint : 0
; COMPUTE_PGM_RSRC2:SCRATCH_EN: 0
; COMPUTE_PGM_RSRC2:USER_SGPR: 13
; COMPUTE_PGM_RSRC2:TRAP_HANDLER: 0
; COMPUTE_PGM_RSRC2:TGID_X_EN: 1
; COMPUTE_PGM_RSRC2:TGID_Y_EN: 1
; COMPUTE_PGM_RSRC2:TGID_Z_EN: 1
; COMPUTE_PGM_RSRC2:TIDIG_COMP_CNT: 2
	.section	.text._ZL9mul_mat_fI15__hip_bfloat162Li32ELi11ELi6ELb0EEvPKT_PKfPKiPfiiiiiiiiiiiiiiii,"axG",@progbits,_ZL9mul_mat_fI15__hip_bfloat162Li32ELi11ELi6ELb0EEvPKT_PKfPKiPfiiiiiiiiiiiiiiii,comdat
	.globl	_ZL9mul_mat_fI15__hip_bfloat162Li32ELi11ELi6ELb0EEvPKT_PKfPKiPfiiiiiiiiiiiiiiii ; -- Begin function _ZL9mul_mat_fI15__hip_bfloat162Li32ELi11ELi6ELb0EEvPKT_PKfPKiPfiiiiiiiiiiiiiiii
	.p2align	8
	.type	_ZL9mul_mat_fI15__hip_bfloat162Li32ELi11ELi6ELb0EEvPKT_PKfPKiPfiiiiiiiiiiiiiiii,@function
_ZL9mul_mat_fI15__hip_bfloat162Li32ELi11ELi6ELb0EEvPKT_PKfPKiPfiiiiiiiiiiiiiiii: ; @_ZL9mul_mat_fI15__hip_bfloat162Li32ELi11ELi6ELb0EEvPKT_PKfPKiPfiiiiiiiiiiiiiiii
; %bb.0:
	s_clause 0x2
	s_load_b256 s[4:11], s[0:1], 0x40
	s_load_b32 s22, s[0:1], 0x20
	s_load_b128 s[16:19], s[0:1], 0x2c
	v_bfe_u32 v86, v0, 10, 10
	v_and_b32_e32 v87, 0x3ff, v0
	s_mov_b32 s12, 0
	s_ashr_i32 s24, s15, 31
	s_waitcnt lgkmcnt(0)
	s_mov_b32 s19, exec_lo
	v_lshlrev_b32_e32 v88, 5, v86
	v_and_b32_e32 v89, 15, v87
	s_delay_alu instid0(VALU_DEP_2) | instskip(SKIP_4) | instid1(VALU_DEP_2)
	v_add_nc_u32_e32 v90, v88, v87
	s_abs_i32 s2, s4
	s_abs_i32 s23, s8
	v_cvt_f32_u32_e32 v1, s2
	v_cvt_f32_u32_e32 v2, s23
	v_rcp_iflag_f32_e32 v1, v1
	s_delay_alu instid0(VALU_DEP_1) | instskip(SKIP_2) | instid1(VALU_DEP_1)
	v_rcp_iflag_f32_e32 v2, v2
	s_waitcnt_depctr 0xfff
	v_dual_mul_f32 v0, 0x4f7ffffe, v1 :: v_dual_mul_f32 v1, 0x4f7ffffe, v2
	v_cvt_u32_f32_e32 v0, v0
	s_delay_alu instid0(VALU_DEP_2) | instskip(NEXT) | instid1(VALU_DEP_2)
	v_cvt_u32_f32_e32 v1, v1
	v_readfirstlane_b32 s25, v0
	s_delay_alu instid0(VALU_DEP_2)
	v_readfirstlane_b32 s3, v1
	v_cmpx_le_i32_e64 s22, v90
	s_xor_b32 s19, exec_lo, s19
; %bb.1:
	v_and_b32_e32 v89, 15, v87
                                        ; implicit-def: $vgpr90
; %bb.2:
	s_or_saveexec_b32 s19, s19
	s_load_b64 s[20:21], s[0:1], 0x18
	v_dual_mov_b32 v15, s12 :: v_dual_mov_b32 v14, s12
	v_dual_mov_b32 v13, s12 :: v_dual_mov_b32 v12, s12
	;; [unrolled: 1-line block ×8, first 2 shown]
	s_lshl_b32 s12, s13, 5
	s_xor_b32 exec_lo, exec_lo, s19
	s_cbranch_execz .LBB68_94
; %bb.3:
	s_sub_i32 s13, 0, s2
	s_sub_i32 s26, 0, s23
	s_mul_i32 s13, s13, s25
	s_mul_i32 s26, s26, s3
	s_mul_hi_u32 s13, s25, s13
	s_mul_hi_u32 s26, s3, s26
	s_abs_i32 s27, s14
	s_add_i32 s25, s25, s13
	s_add_i32 s26, s3, s26
	s_mul_hi_u32 s3, s27, s25
	s_ashr_i32 s25, s14, 31
	s_ashr_i32 s4, s4, 31
	s_mul_i32 s28, s3, s2
	s_xor_b32 s4, s25, s4
	s_sub_i32 s25, s27, s28
	s_abs_i32 s13, s15
	s_ashr_i32 s8, s8, 31
	s_add_i32 s27, s3, 1
	s_sub_i32 s28, s25, s2
	s_cmp_ge_u32 s25, s2
	s_mul_hi_u32 s26, s13, s26
	s_cselect_b32 s3, s27, s3
	s_cselect_b32 s25, s28, s25
	s_add_i32 s27, s3, 1
	s_cmp_ge_u32 s25, s2
	s_mul_i32 s28, s14, s6
	s_cselect_b32 s25, s27, s3
	s_load_b128 s[0:3], s[0:1], 0x0
	s_xor_b32 s25, s25, s4
	s_xor_b32 s8, s24, s8
	s_sub_i32 s4, s25, s4
	s_mul_i32 s25, s26, s23
	s_add_i32 s24, s26, 1
	s_sub_i32 s13, s13, s25
	s_mul_i32 s4, s4, s5
	s_sub_i32 s25, s13, s23
	s_cmp_ge_u32 s13, s23
	s_mul_hi_i32 s27, s10, s15
	s_cselect_b32 s24, s24, s26
	s_cselect_b32 s13, s25, s13
	s_add_i32 s25, s24, 1
	s_cmp_ge_u32 s13, s23
	s_mul_i32 s26, s10, s15
	s_cselect_b32 s13, s25, s24
	s_ashr_i32 s5, s4, 31
	s_xor_b32 s13, s13, s8
	v_mad_u32_u24 v0, 0x900, v86, 0
	s_sub_i32 s8, s13, s8
	v_dual_mov_b32 v92, 0 :: v_dual_lshlrev_b32 v1, 2, v87
	s_mul_hi_i32 s25, s8, s9
	s_mul_i32 s24, s8, s9
	s_mul_i32 s8, s12, s16
	s_lshl_b64 s[24:25], s[24:25], 2
	v_mul_u32_u24_e32 v2, 0x90, v89
	s_waitcnt lgkmcnt(0)
	s_add_u32 s13, s0, s24
	s_addc_u32 s23, s1, s25
	s_ashr_i32 s9, s8, 31
	s_lshl_b64 s[4:5], s[4:5], 2
	s_lshl_b64 s[8:9], s[8:9], 2
	v_lshlrev_b32_e32 v3, 7, v86
	s_add_u32 s30, s4, s8
	s_addc_u32 s31, s5, s9
	s_add_u32 s6, s30, s13
	s_addc_u32 s8, s31, s23
	s_ashr_i32 s29, s28, 31
	s_lshl_b64 s[4:5], s[26:27], 2
	s_lshl_b64 s[26:27], s[28:29], 2
	v_dual_mov_b32 v8, 0 :: v_dual_add_nc_u32 v93, v0, v2
	s_add_u32 s13, s2, s26
	s_addc_u32 s23, s3, s27
	s_add_u32 s9, s13, s4
	s_addc_u32 s10, s23, s5
	s_ashr_i32 s3, s16, 31
	s_mov_b32 s2, s16
	s_ashr_i32 s27, s17, 31
	s_lshl_b64 s[2:3], s[2:3], 2
	s_add_u32 s24, s30, s24
	s_addc_u32 s25, s31, s25
	v_mov_b32_e32 v2, v92
	v_add_co_u32 v3, s24, s24, v3
	s_delay_alu instid0(VALU_DEP_1) | instskip(SKIP_2) | instid1(VALU_DEP_4)
	v_add_co_ci_u32_e64 v4, null, s25, 0, s24
	v_lshlrev_b32_e32 v5, 8, v86
	v_dual_mov_b32 v0, 0 :: v_dual_add_nc_u32 v91, v0, v1
	v_add_co_u32 v1, vcc_lo, v3, v1
	s_delay_alu instid0(VALU_DEP_4) | instskip(NEXT) | instid1(VALU_DEP_4)
	v_add_co_ci_u32_e32 v3, vcc_lo, 0, v4, vcc_lo
	v_add_co_u32 v4, s4, s4, v5
	v_lshlrev_b32_e32 v6, 3, v87
	v_add_co_ci_u32_e64 v5, null, s5, 0, s4
	v_add_co_u32 v80, vcc_lo, s0, v1
	v_add_co_ci_u32_e32 v81, vcc_lo, s1, v3, vcc_lo
	s_delay_alu instid0(VALU_DEP_4) | instskip(NEXT) | instid1(VALU_DEP_4)
	v_add_co_u32 v1, vcc_lo, v4, v6
	v_add_co_ci_u32_e32 v3, vcc_lo, 0, v5, vcc_lo
	v_mov_b32_e32 v4, v92
	s_delay_alu instid0(VALU_DEP_3) | instskip(SKIP_1) | instid1(VALU_DEP_4)
	v_add_co_u32 v82, vcc_lo, s13, v1
	v_mov_b32_e32 v1, v92
	v_add_co_ci_u32_e32 v83, vcc_lo, s23, v3, vcc_lo
	v_mov_b32_e32 v3, v92
	v_mov_b32_e32 v5, v92
	;; [unrolled: 1-line block ×11, first 2 shown]
	s_mov_b32 s26, s17
	s_mul_i32 s1, s16, 31
	s_lshl_b64 s[4:5], s[26:27], 3
	s_lshl_b32 s13, s17, 1
	s_mul_i32 s23, s17, 3
	s_lshl_b32 s24, s17, 2
	s_mul_i32 s25, s17, 5
	s_mul_i32 s26, s17, 6
	;; [unrolled: 1-line block ×3, first 2 shown]
	s_lshl_b32 s28, s17, 3
	s_mul_i32 s29, s17, 9
	s_mul_i32 s17, s17, 10
	s_lshl_b32 s30, s16, 1
	s_mul_i32 s31, s16, 3
	s_lshl_b32 s33, s16, 2
	s_mul_i32 s34, s16, 5
	s_mul_i32 s35, s16, 6
	;; [unrolled: 1-line block ×3, first 2 shown]
	s_lshl_b32 s37, s16, 3
	s_mul_i32 s38, s16, 9
	s_mul_i32 s39, s16, 10
	;; [unrolled: 1-line block ×7, first 2 shown]
	s_lshl_b32 s45, s16, 4
	s_mul_i32 s46, s16, 17
	s_mul_i32 s47, s16, 18
	;; [unrolled: 1-line block ×14, first 2 shown]
	s_mov_b32 s16, 0
	s_branch .LBB68_5
.LBB68_4:                               ;   in Loop: Header=BB68_5 Depth=1
	s_or_b32 exec_lo, exec_lo, s0
	s_delay_alu instid0(VALU_DEP_1)
	v_perm_b32 v84, v95, v94, 0x7060302
	v_add_nc_u32_e32 v85, 0x400, v91
	v_add_nc_u32_e32 v94, 0x600, v91
	;; [unrolled: 1-line block ×3, first 2 shown]
	v_add_co_u32 v80, vcc_lo, 0x300, v80
	ds_store_2addr_b32 v85, v84, v92 offset0:104 offset1:140
	ds_store_2addr_b32 v85, v92, v92 offset0:176 offset1:212
	;; [unrolled: 1-line block ×3, first 2 shown]
	ds_load_b128 v[94:97], v93
	ds_load_b128 v[98:101], v93 offset:16
	ds_load_b128 v[102:105], v93 offset:32
	;; [unrolled: 1-line block ×5, first 2 shown]
	v_add_co_ci_u32_e32 v81, vcc_lo, 0, v81, vcc_lo
	v_cmp_le_i32_e32 vcc_lo, s22, v90
	v_add_co_u32 v82, s0, 0x600, v82
	s_delay_alu instid0(VALU_DEP_1)
	v_add_co_ci_u32_e64 v83, s0, 0, v83, s0
	s_or_b32 s16, vcc_lo, s16
	s_waitcnt lgkmcnt(4)
	v_wmma_f32_16x16x16_bf16 v[8:15], v[72:79], v[94:101], v[8:15]
	ds_load_b128 v[72:75], v93 offset:96
	ds_load_b128 v[76:79], v93 offset:112
	v_wmma_f32_16x16x16_bf16 v[0:7], v[64:71], v[94:101], v[0:7]
	s_waitcnt lgkmcnt(4)
	v_wmma_f32_16x16x16_bf16 v[8:15], v[48:55], v[102:109], v[8:15]
	s_delay_alu instid0(VALU_DEP_2) | instskip(SKIP_1) | instid1(VALU_DEP_2)
	v_wmma_f32_16x16x16_bf16 v[0:7], v[56:63], v[102:109], v[0:7]
	s_waitcnt lgkmcnt(2)
	v_wmma_f32_16x16x16_bf16 v[8:15], v[24:31], v[110:117], v[8:15]
	s_delay_alu instid0(VALU_DEP_2) | instskip(SKIP_1) | instid1(VALU_DEP_2)
	v_wmma_f32_16x16x16_bf16 v[0:7], v[40:47], v[110:117], v[0:7]
	s_waitcnt lgkmcnt(0)
	v_wmma_f32_16x16x16_bf16 v[8:15], v[16:23], v[72:79], v[8:15]
	s_delay_alu instid0(VALU_DEP_2)
	v_wmma_f32_16x16x16_bf16 v[0:7], v[32:39], v[72:79], v[0:7]
	s_and_not1_b32 exec_lo, exec_lo, s16
	s_cbranch_execz .LBB68_93
.LBB68_5:                               ; =>This Inner Loop Header: Depth=1
	v_add_nc_u32_e32 v16, s30, v90
	v_add_nc_u32_e32 v22, s33, v90
	;; [unrolled: 1-line block ×3, first 2 shown]
	v_add_co_u32 v20, vcc_lo, v80, s2
	s_delay_alu instid0(VALU_DEP_4)
	v_ashrrev_i32_e32 v17, 31, v16
	v_add_co_ci_u32_e32 v21, vcc_lo, s3, v81, vcc_lo
	v_ashrrev_i32_e32 v23, 31, v22
	v_ashrrev_i32_e32 v19, 31, v18
	v_add_nc_u32_e32 v24, s34, v90
	v_lshlrev_b64 v[16:17], 2, v[16:17]
	s_clause 0x1
	global_load_b32 v38, v[80:81], off
	global_load_b32 v39, v[20:21], off
	v_lshlrev_b64 v[20:21], 2, v[22:23]
	v_add_nc_u32_e32 v22, s35, v90
	v_lshlrev_b64 v[18:19], 2, v[18:19]
	v_ashrrev_i32_e32 v25, 31, v24
	v_add_nc_u32_e32 v26, s36, v90
	v_add_co_u32 v16, vcc_lo, s6, v16
	v_ashrrev_i32_e32 v23, 31, v22
	v_add_co_ci_u32_e32 v17, vcc_lo, s8, v17, vcc_lo
	v_add_nc_u32_e32 v28, s37, v90
	v_add_co_u32 v18, vcc_lo, s6, v18
	v_lshlrev_b64 v[24:25], 2, v[24:25]
	v_ashrrev_i32_e32 v27, 31, v26
	v_add_co_ci_u32_e32 v19, vcc_lo, s8, v19, vcc_lo
	v_add_nc_u32_e32 v30, s38, v90
	v_add_co_u32 v20, vcc_lo, s6, v20
	v_lshlrev_b64 v[22:23], 2, v[22:23]
	v_ashrrev_i32_e32 v29, 31, v28
	v_add_co_ci_u32_e32 v21, vcc_lo, s8, v21, vcc_lo
	v_add_co_u32 v24, vcc_lo, s6, v24
	v_lshlrev_b64 v[26:27], 2, v[26:27]
	v_ashrrev_i32_e32 v31, 31, v30
	v_add_co_ci_u32_e32 v25, vcc_lo, s8, v25, vcc_lo
	v_add_co_u32 v22, vcc_lo, s6, v22
	v_lshlrev_b64 v[28:29], 2, v[28:29]
	v_add_co_ci_u32_e32 v23, vcc_lo, s8, v23, vcc_lo
	v_add_nc_u32_e32 v32, s39, v90
	v_add_co_u32 v26, vcc_lo, s6, v26
	v_lshlrev_b64 v[30:31], 2, v[30:31]
	v_add_co_ci_u32_e32 v27, vcc_lo, s8, v27, vcc_lo
	v_add_nc_u32_e32 v34, s40, v90
	v_add_co_u32 v28, vcc_lo, s6, v28
	v_ashrrev_i32_e32 v33, 31, v32
	v_add_co_ci_u32_e32 v29, vcc_lo, s8, v29, vcc_lo
	v_add_nc_u32_e32 v36, s41, v90
	v_add_co_u32 v30, vcc_lo, s6, v30
	v_ashrrev_i32_e32 v35, 31, v34
	v_add_co_ci_u32_e32 v31, vcc_lo, s8, v31, vcc_lo
	s_clause 0x7
	global_load_b32 v40, v[16:17], off
	global_load_b32 v41, v[18:19], off
	global_load_b32 v42, v[20:21], off
	global_load_b32 v43, v[24:25], off
	global_load_b32 v44, v[22:23], off
	global_load_b32 v45, v[26:27], off
	global_load_b32 v46, v[28:29], off
	global_load_b32 v47, v[30:31], off
	v_add_nc_u32_e32 v18, s42, v90
	v_lshlrev_b64 v[32:33], 2, v[32:33]
	v_ashrrev_i32_e32 v37, 31, v36
	v_add_nc_u32_e32 v24, s43, v90
	v_lshlrev_b64 v[16:17], 2, v[34:35]
	v_ashrrev_i32_e32 v19, 31, v18
	v_add_nc_u32_e32 v26, s44, v90
	v_add_co_u32 v20, vcc_lo, s6, v32
	v_lshlrev_b64 v[22:23], 2, v[36:37]
	v_ashrrev_i32_e32 v25, 31, v24
	v_add_co_ci_u32_e32 v21, vcc_lo, s8, v33, vcc_lo
	v_add_nc_u32_e32 v28, s45, v90
	v_add_co_u32 v16, vcc_lo, s6, v16
	v_lshlrev_b64 v[18:19], 2, v[18:19]
	v_ashrrev_i32_e32 v27, 31, v26
	v_add_co_ci_u32_e32 v17, vcc_lo, s8, v17, vcc_lo
	v_add_nc_u32_e32 v30, s46, v90
	v_add_co_u32 v22, vcc_lo, s6, v22
	v_lshlrev_b64 v[24:25], 2, v[24:25]
	v_ashrrev_i32_e32 v29, 31, v28
	v_add_co_ci_u32_e32 v23, vcc_lo, s8, v23, vcc_lo
	v_add_co_u32 v18, vcc_lo, s6, v18
	v_lshlrev_b64 v[26:27], 2, v[26:27]
	v_ashrrev_i32_e32 v31, 31, v30
	v_add_co_ci_u32_e32 v19, vcc_lo, s8, v19, vcc_lo
	v_add_co_u32 v24, vcc_lo, s6, v24
	v_lshlrev_b64 v[28:29], 2, v[28:29]
	v_add_co_ci_u32_e32 v25, vcc_lo, s8, v25, vcc_lo
	v_add_nc_u32_e32 v32, s47, v90
	v_add_co_u32 v26, vcc_lo, s6, v26
	v_lshlrev_b64 v[30:31], 2, v[30:31]
	v_add_co_ci_u32_e32 v27, vcc_lo, s8, v27, vcc_lo
	v_add_nc_u32_e32 v34, s48, v90
	v_add_co_u32 v28, vcc_lo, s6, v28
	v_ashrrev_i32_e32 v33, 31, v32
	v_add_co_ci_u32_e32 v29, vcc_lo, s8, v29, vcc_lo
	v_add_nc_u32_e32 v36, s49, v90
	v_add_co_u32 v30, vcc_lo, s6, v30
	v_ashrrev_i32_e32 v35, 31, v34
	v_add_co_ci_u32_e32 v31, vcc_lo, s8, v31, vcc_lo
	s_clause 0x7
	global_load_b32 v48, v[20:21], off
	global_load_b32 v49, v[16:17], off
	global_load_b32 v50, v[22:23], off
	global_load_b32 v51, v[18:19], off
	global_load_b32 v52, v[24:25], off
	global_load_b32 v53, v[26:27], off
	global_load_b32 v56, v[28:29], off
	global_load_b32 v57, v[30:31], off
	v_add_nc_u32_e32 v18, s50, v90
	v_lshlrev_b64 v[32:33], 2, v[32:33]
	v_ashrrev_i32_e32 v37, 31, v36
	v_add_nc_u32_e32 v24, s51, v90
	v_lshlrev_b64 v[16:17], 2, v[34:35]
	v_ashrrev_i32_e32 v19, 31, v18
	v_add_nc_u32_e32 v26, s52, v90
	v_add_co_u32 v20, vcc_lo, s6, v32
	v_lshlrev_b64 v[22:23], 2, v[36:37]
	v_ashrrev_i32_e32 v25, 31, v24
	v_add_co_ci_u32_e32 v21, vcc_lo, s8, v33, vcc_lo
	v_add_nc_u32_e32 v28, s53, v90
	v_add_co_u32 v16, vcc_lo, s6, v16
	v_lshlrev_b64 v[18:19], 2, v[18:19]
	v_ashrrev_i32_e32 v27, 31, v26
	v_add_co_ci_u32_e32 v17, vcc_lo, s8, v17, vcc_lo
	v_add_nc_u32_e32 v30, s54, v90
	v_add_co_u32 v22, vcc_lo, s6, v22
	v_lshlrev_b64 v[24:25], 2, v[24:25]
	v_ashrrev_i32_e32 v29, 31, v28
	v_add_co_ci_u32_e32 v23, vcc_lo, s8, v23, vcc_lo
	v_add_co_u32 v18, vcc_lo, s6, v18
	v_lshlrev_b64 v[26:27], 2, v[26:27]
	v_ashrrev_i32_e32 v31, 31, v30
	v_add_co_ci_u32_e32 v19, vcc_lo, s8, v19, vcc_lo
	v_add_co_u32 v24, vcc_lo, s6, v24
	v_lshlrev_b64 v[28:29], 2, v[28:29]
	v_add_co_ci_u32_e32 v25, vcc_lo, s8, v25, vcc_lo
	v_add_nc_u32_e32 v32, s55, v90
	v_add_co_u32 v26, vcc_lo, s6, v26
	v_lshlrev_b64 v[30:31], 2, v[30:31]
	v_add_co_ci_u32_e32 v27, vcc_lo, s8, v27, vcc_lo
	v_add_nc_u32_e32 v34, s56, v90
	v_add_co_u32 v28, vcc_lo, s6, v28
	v_ashrrev_i32_e32 v33, 31, v32
	v_add_co_ci_u32_e32 v29, vcc_lo, s8, v29, vcc_lo
	v_add_nc_u32_e32 v36, s57, v90
	v_add_co_u32 v30, vcc_lo, s6, v30
	v_ashrrev_i32_e32 v35, 31, v34
	v_add_co_ci_u32_e32 v31, vcc_lo, s8, v31, vcc_lo
	s_clause 0x7
	global_load_b32 v58, v[20:21], off
	global_load_b32 v59, v[16:17], off
	global_load_b32 v60, v[22:23], off
	global_load_b32 v61, v[18:19], off
	global_load_b32 v62, v[24:25], off
	global_load_b32 v63, v[26:27], off
	global_load_b32 v64, v[28:29], off
	global_load_b32 v65, v[30:31], off
	v_add_nc_u32_e32 v18, s58, v90
	v_lshlrev_b64 v[32:33], 2, v[32:33]
	v_ashrrev_i32_e32 v37, 31, v36
	v_add_nc_u32_e32 v24, s59, v90
	v_lshlrev_b64 v[16:17], 2, v[34:35]
	v_ashrrev_i32_e32 v19, 31, v18
	v_add_nc_u32_e32 v26, s1, v90
	v_add_co_u32 v20, vcc_lo, s6, v32
	v_lshlrev_b64 v[22:23], 2, v[36:37]
	v_ashrrev_i32_e32 v25, 31, v24
	v_add_co_ci_u32_e32 v21, vcc_lo, s8, v33, vcc_lo
	v_add_co_u32 v16, vcc_lo, s6, v16
	v_lshlrev_b64 v[18:19], 2, v[18:19]
	v_ashrrev_i32_e32 v27, 31, v26
	v_add_co_ci_u32_e32 v17, vcc_lo, s8, v17, vcc_lo
	v_add_co_u32 v22, vcc_lo, s6, v22
	v_lshlrev_b64 v[24:25], 2, v[24:25]
	v_add_co_ci_u32_e32 v23, vcc_lo, s8, v23, vcc_lo
	v_add_co_u32 v18, vcc_lo, s6, v18
	v_lshlrev_b64 v[26:27], 2, v[26:27]
	v_add_co_ci_u32_e32 v19, vcc_lo, s8, v19, vcc_lo
	v_add_co_u32 v24, vcc_lo, s6, v24
	v_add_co_ci_u32_e32 v25, vcc_lo, s8, v25, vcc_lo
	s_delay_alu instid0(VALU_DEP_4)
	v_add_co_u32 v26, vcc_lo, s6, v26
	v_add_co_ci_u32_e32 v27, vcc_lo, s8, v27, vcc_lo
	s_clause 0x5
	global_load_b32 v32, v[20:21], off
	global_load_b32 v33, v[16:17], off
	;; [unrolled: 1-line block ×6, first 2 shown]
	global_load_b64 v[84:85], v[82:83], off
	s_waitcnt vmcnt(32)
	ds_store_b32 v91, v38
	s_waitcnt vmcnt(31)
	ds_store_b32 v91, v39 offset:144
	s_waitcnt vmcnt(30)
	ds_store_b32 v91, v40 offset:288
	;; [unrolled: 2-line block ×15, first 2 shown]
	ds_load_b128 v[72:75], v93
	ds_load_b128 v[76:79], v93 offset:16
	ds_load_b128 v[48:51], v93 offset:32
	;; [unrolled: 1-line block ×7, first 2 shown]
	s_waitcnt vmcnt(16)
	ds_store_b32 v91, v56
	s_waitcnt vmcnt(15)
	ds_store_b32 v91, v57 offset:144
	s_waitcnt vmcnt(14)
	ds_store_b32 v91, v58 offset:288
	;; [unrolled: 2-line block ×15, first 2 shown]
	ds_load_b128 v[64:67], v93
	ds_load_b128 v[68:71], v93 offset:16
	ds_load_b128 v[56:59], v93 offset:32
	;; [unrolled: 1-line block ×7, first 2 shown]
	s_waitcnt vmcnt(0)
	v_and_b32_e32 v94, 0x7f800000, v84
	s_delay_alu instid0(VALU_DEP_1) | instskip(SKIP_1) | instid1(SALU_CYCLE_1)
	v_cmp_ne_u32_e32 vcc_lo, 0x7f800000, v94
                                        ; implicit-def: $vgpr94
	s_and_saveexec_b32 s0, vcc_lo
	s_xor_b32 s0, exec_lo, s0
; %bb.6:                                ;   in Loop: Header=BB68_5 Depth=1
	v_bfe_u32 v94, v84, 16, 1
	s_delay_alu instid0(VALU_DEP_1)
	v_add3_u32 v94, v84, v94, 0x7fff
; %bb.7:                                ;   in Loop: Header=BB68_5 Depth=1
	s_and_not1_saveexec_b32 s0, s0
; %bb.8:                                ;   in Loop: Header=BB68_5 Depth=1
	v_and_b32_e32 v94, 0xffff, v84
	v_or_b32_e32 v95, 0x10000, v84
	s_delay_alu instid0(VALU_DEP_2) | instskip(NEXT) | instid1(VALU_DEP_2)
	v_cmp_eq_u32_e32 vcc_lo, 0, v94
	v_cndmask_b32_e32 v94, v95, v84, vcc_lo
; %bb.9:                                ;   in Loop: Header=BB68_5 Depth=1
	s_or_b32 exec_lo, exec_lo, s0
	v_and_b32_e32 v84, 0x7f800000, v85
	s_mov_b32 s0, exec_lo
                                        ; implicit-def: $vgpr95
	s_delay_alu instid0(VALU_DEP_1)
	v_cmpx_ne_u32_e32 0x7f800000, v84
	s_xor_b32 s0, exec_lo, s0
; %bb.10:                               ;   in Loop: Header=BB68_5 Depth=1
	v_bfe_u32 v84, v85, 16, 1
	s_delay_alu instid0(VALU_DEP_1)
	v_add3_u32 v95, v85, v84, 0x7fff
                                        ; implicit-def: $vgpr84_vgpr85
; %bb.11:                               ;   in Loop: Header=BB68_5 Depth=1
	s_and_not1_saveexec_b32 s0, s0
; %bb.12:                               ;   in Loop: Header=BB68_5 Depth=1
	v_and_b32_e32 v84, 0xffff, v85
	v_or_b32_e32 v95, 0x10000, v85
	s_delay_alu instid0(VALU_DEP_2) | instskip(NEXT) | instid1(VALU_DEP_2)
	v_cmp_eq_u32_e32 vcc_lo, 0, v84
	v_cndmask_b32_e32 v95, v95, v85, vcc_lo
; %bb.13:                               ;   in Loop: Header=BB68_5 Depth=1
	s_or_b32 exec_lo, exec_lo, s0
	s_delay_alu instid0(VALU_DEP_1)
	v_perm_b32 v84, v95, v94, 0x7060302
	ds_store_b32 v91, v84
	v_add_co_u32 v84, vcc_lo, v82, s4
	v_add_co_ci_u32_e32 v85, vcc_lo, s5, v83, vcc_lo
	global_load_b64 v[84:85], v[84:85], off
	s_waitcnt vmcnt(0)
	v_and_b32_e32 v94, 0x7f800000, v84
	s_delay_alu instid0(VALU_DEP_1) | instskip(SKIP_1) | instid1(SALU_CYCLE_1)
	v_cmp_ne_u32_e32 vcc_lo, 0x7f800000, v94
                                        ; implicit-def: $vgpr94
	s_and_saveexec_b32 s0, vcc_lo
	s_xor_b32 s0, exec_lo, s0
; %bb.14:                               ;   in Loop: Header=BB68_5 Depth=1
	v_bfe_u32 v94, v84, 16, 1
	s_delay_alu instid0(VALU_DEP_1)
	v_add3_u32 v94, v84, v94, 0x7fff
; %bb.15:                               ;   in Loop: Header=BB68_5 Depth=1
	s_and_not1_saveexec_b32 s0, s0
; %bb.16:                               ;   in Loop: Header=BB68_5 Depth=1
	v_and_b32_e32 v94, 0xffff, v84
	v_or_b32_e32 v95, 0x10000, v84
	s_delay_alu instid0(VALU_DEP_2) | instskip(NEXT) | instid1(VALU_DEP_2)
	v_cmp_eq_u32_e32 vcc_lo, 0, v94
	v_cndmask_b32_e32 v94, v95, v84, vcc_lo
; %bb.17:                               ;   in Loop: Header=BB68_5 Depth=1
	s_or_b32 exec_lo, exec_lo, s0
	v_and_b32_e32 v84, 0x7f800000, v85
	s_mov_b32 s0, exec_lo
                                        ; implicit-def: $vgpr95
	s_delay_alu instid0(VALU_DEP_1)
	v_cmpx_ne_u32_e32 0x7f800000, v84
	s_xor_b32 s0, exec_lo, s0
; %bb.18:                               ;   in Loop: Header=BB68_5 Depth=1
	v_bfe_u32 v84, v85, 16, 1
	s_delay_alu instid0(VALU_DEP_1)
	v_add3_u32 v95, v85, v84, 0x7fff
                                        ; implicit-def: $vgpr84_vgpr85
; %bb.19:                               ;   in Loop: Header=BB68_5 Depth=1
	s_and_not1_saveexec_b32 s0, s0
; %bb.20:                               ;   in Loop: Header=BB68_5 Depth=1
	v_and_b32_e32 v84, 0xffff, v85
	v_or_b32_e32 v95, 0x10000, v85
	s_delay_alu instid0(VALU_DEP_2) | instskip(NEXT) | instid1(VALU_DEP_2)
	v_cmp_eq_u32_e32 vcc_lo, 0, v84
	v_cndmask_b32_e32 v95, v95, v85, vcc_lo
; %bb.21:                               ;   in Loop: Header=BB68_5 Depth=1
	s_or_b32 exec_lo, exec_lo, s0
	s_delay_alu instid0(VALU_DEP_1) | instskip(SKIP_2) | instid1(VALU_DEP_1)
	v_perm_b32 v84, v95, v94, 0x7060302
	ds_store_b32 v91, v84 offset:144
	v_add_nc_u32_e32 v84, s13, v90
	v_ashrrev_i32_e32 v85, 31, v84
	s_delay_alu instid0(VALU_DEP_1) | instskip(NEXT) | instid1(VALU_DEP_1)
	v_lshlrev_b64 v[84:85], 3, v[84:85]
	v_add_co_u32 v84, vcc_lo, s9, v84
	s_delay_alu instid0(VALU_DEP_2) | instskip(SKIP_3) | instid1(VALU_DEP_1)
	v_add_co_ci_u32_e32 v85, vcc_lo, s10, v85, vcc_lo
	global_load_b64 v[84:85], v[84:85], off
	s_waitcnt vmcnt(0)
	v_and_b32_e32 v94, 0x7f800000, v84
	v_cmp_ne_u32_e32 vcc_lo, 0x7f800000, v94
                                        ; implicit-def: $vgpr94
	s_and_saveexec_b32 s0, vcc_lo
	s_delay_alu instid0(SALU_CYCLE_1)
	s_xor_b32 s0, exec_lo, s0
; %bb.22:                               ;   in Loop: Header=BB68_5 Depth=1
	v_bfe_u32 v94, v84, 16, 1
	s_delay_alu instid0(VALU_DEP_1)
	v_add3_u32 v94, v84, v94, 0x7fff
; %bb.23:                               ;   in Loop: Header=BB68_5 Depth=1
	s_and_not1_saveexec_b32 s0, s0
; %bb.24:                               ;   in Loop: Header=BB68_5 Depth=1
	v_and_b32_e32 v94, 0xffff, v84
	v_or_b32_e32 v95, 0x10000, v84
	s_delay_alu instid0(VALU_DEP_2) | instskip(NEXT) | instid1(VALU_DEP_2)
	v_cmp_eq_u32_e32 vcc_lo, 0, v94
	v_cndmask_b32_e32 v94, v95, v84, vcc_lo
; %bb.25:                               ;   in Loop: Header=BB68_5 Depth=1
	s_or_b32 exec_lo, exec_lo, s0
	v_and_b32_e32 v84, 0x7f800000, v85
	s_mov_b32 s0, exec_lo
                                        ; implicit-def: $vgpr95
	s_delay_alu instid0(VALU_DEP_1)
	v_cmpx_ne_u32_e32 0x7f800000, v84
	s_xor_b32 s0, exec_lo, s0
; %bb.26:                               ;   in Loop: Header=BB68_5 Depth=1
	v_bfe_u32 v84, v85, 16, 1
	s_delay_alu instid0(VALU_DEP_1)
	v_add3_u32 v95, v85, v84, 0x7fff
                                        ; implicit-def: $vgpr84_vgpr85
; %bb.27:                               ;   in Loop: Header=BB68_5 Depth=1
	s_and_not1_saveexec_b32 s0, s0
; %bb.28:                               ;   in Loop: Header=BB68_5 Depth=1
	v_and_b32_e32 v84, 0xffff, v85
	v_or_b32_e32 v95, 0x10000, v85
	s_delay_alu instid0(VALU_DEP_2) | instskip(NEXT) | instid1(VALU_DEP_2)
	v_cmp_eq_u32_e32 vcc_lo, 0, v84
	v_cndmask_b32_e32 v95, v95, v85, vcc_lo
; %bb.29:                               ;   in Loop: Header=BB68_5 Depth=1
	s_or_b32 exec_lo, exec_lo, s0
	s_delay_alu instid0(VALU_DEP_1) | instskip(SKIP_2) | instid1(VALU_DEP_1)
	v_perm_b32 v84, v95, v94, 0x7060302
	ds_store_b32 v91, v84 offset:288
	v_add_nc_u32_e32 v84, s23, v90
	v_ashrrev_i32_e32 v85, 31, v84
	s_delay_alu instid0(VALU_DEP_1) | instskip(NEXT) | instid1(VALU_DEP_1)
	v_lshlrev_b64 v[84:85], 3, v[84:85]
	v_add_co_u32 v84, vcc_lo, s9, v84
	s_delay_alu instid0(VALU_DEP_2) | instskip(SKIP_3) | instid1(VALU_DEP_1)
	v_add_co_ci_u32_e32 v85, vcc_lo, s10, v85, vcc_lo
	global_load_b64 v[84:85], v[84:85], off
	s_waitcnt vmcnt(0)
	v_and_b32_e32 v94, 0x7f800000, v84
	v_cmp_ne_u32_e32 vcc_lo, 0x7f800000, v94
                                        ; implicit-def: $vgpr94
	s_and_saveexec_b32 s0, vcc_lo
	s_delay_alu instid0(SALU_CYCLE_1)
	;; [unrolled: 53-line block ×9, first 2 shown]
	s_xor_b32 s0, exec_lo, s0
; %bb.86:                               ;   in Loop: Header=BB68_5 Depth=1
	v_bfe_u32 v94, v84, 16, 1
	s_delay_alu instid0(VALU_DEP_1)
	v_add3_u32 v94, v84, v94, 0x7fff
; %bb.87:                               ;   in Loop: Header=BB68_5 Depth=1
	s_and_not1_saveexec_b32 s0, s0
; %bb.88:                               ;   in Loop: Header=BB68_5 Depth=1
	v_and_b32_e32 v94, 0xffff, v84
	v_or_b32_e32 v95, 0x10000, v84
	s_delay_alu instid0(VALU_DEP_2) | instskip(NEXT) | instid1(VALU_DEP_2)
	v_cmp_eq_u32_e32 vcc_lo, 0, v94
	v_cndmask_b32_e32 v94, v95, v84, vcc_lo
; %bb.89:                               ;   in Loop: Header=BB68_5 Depth=1
	s_or_b32 exec_lo, exec_lo, s0
	v_and_b32_e32 v84, 0x7f800000, v85
	s_mov_b32 s0, exec_lo
                                        ; implicit-def: $vgpr95
	s_delay_alu instid0(VALU_DEP_1)
	v_cmpx_ne_u32_e32 0x7f800000, v84
	s_xor_b32 s0, exec_lo, s0
; %bb.90:                               ;   in Loop: Header=BB68_5 Depth=1
	v_bfe_u32 v84, v85, 16, 1
	s_delay_alu instid0(VALU_DEP_1)
	v_add3_u32 v95, v85, v84, 0x7fff
                                        ; implicit-def: $vgpr84_vgpr85
; %bb.91:                               ;   in Loop: Header=BB68_5 Depth=1
	s_and_not1_saveexec_b32 s0, s0
	s_cbranch_execz .LBB68_4
; %bb.92:                               ;   in Loop: Header=BB68_5 Depth=1
	v_and_b32_e32 v84, 0xffff, v85
	v_or_b32_e32 v95, 0x10000, v85
	s_delay_alu instid0(VALU_DEP_2) | instskip(NEXT) | instid1(VALU_DEP_2)
	v_cmp_eq_u32_e32 vcc_lo, 0, v84
	v_cndmask_b32_e32 v95, v95, v85, vcc_lo
	s_branch .LBB68_4
.LBB68_93:
	s_or_b32 exec_lo, exec_lo, s16
.LBB68_94:
	s_delay_alu instid0(SALU_CYCLE_1)
	s_or_b32 exec_lo, exec_lo, s19
	v_lshrrev_b32_e32 v16, 2, v87
	v_mad_u32_u24 v17, 0x310, v89, 0
	v_lshlrev_b32_e32 v18, 2, v88
	s_waitcnt lgkmcnt(0)
	s_barrier
	v_and_b32_e32 v16, 0xfc, v16
	buffer_gl0_inv
	s_mul_hi_i32 s1, s11, s15
	s_mul_i32 s0, s11, s15
	s_mul_i32 s2, s14, s7
	v_add3_u32 v17, v17, v16, v18
	v_lshl_add_u32 v16, v87, 2, 0
	s_lshl_b64 s[0:1], s[0:1], 2
	ds_store_2addr_b32 v17, v8, v9 offset1:2
	ds_store_2addr_b32 v17, v10, v11 offset0:4 offset1:6
	ds_store_2addr_b32 v17, v12, v13 offset0:8 offset1:10
	;; [unrolled: 1-line block ×6, first 2 shown]
	v_mad_u32_u24 v4, 0x310, v86, v16
	ds_store_2addr_b32 v17, v6, v7 offset0:28 offset1:30
	s_waitcnt lgkmcnt(0)
	s_barrier
	buffer_gl0_inv
	ds_load_2addr_b32 v[0:1], v4 offset1:32
	ds_load_2addr_b32 v[2:3], v4 offset0:64 offset1:96
	ds_load_2addr_b32 v[4:5], v4 offset0:128 offset1:160
	v_mul_lo_u32 v6, v86, s18
	s_add_u32 s4, s20, s0
	s_addc_u32 s5, s21, s1
	s_ashr_i32 s3, s2, 31
	s_delay_alu instid0(SALU_CYCLE_1)
	s_lshl_b64 s[0:1], s[2:3], 2
	s_mov_b32 s2, exec_lo
	s_add_u32 s0, s4, s0
	s_addc_u32 s1, s5, s1
	s_waitcnt lgkmcnt(2)
	v_add_f32_e32 v0, 0, v0
	s_delay_alu instid0(VALU_DEP_1) | instskip(SKIP_1) | instid1(VALU_DEP_1)
	v_dual_add_f32 v0, v0, v1 :: v_dual_mov_b32 v1, 0
	s_waitcnt lgkmcnt(1)
	v_add_f32_e32 v0, v0, v2
	s_delay_alu instid0(VALU_DEP_1) | instskip(SKIP_2) | instid1(VALU_DEP_2)
	v_add_f32_e32 v2, v0, v3
	v_add3_u32 v0, s12, v87, v6
	s_waitcnt lgkmcnt(0)
	v_add_f32_e32 v4, v2, v4
	s_delay_alu instid0(VALU_DEP_2) | instskip(NEXT) | instid1(VALU_DEP_2)
	v_lshlrev_b64 v[2:3], 2, v[0:1]
	v_add_f32_e32 v4, v4, v5
	s_delay_alu instid0(VALU_DEP_2) | instskip(NEXT) | instid1(VALU_DEP_3)
	v_add_co_u32 v2, vcc_lo, s0, v2
	v_add_co_ci_u32_e32 v3, vcc_lo, s1, v3, vcc_lo
	global_store_b32 v[2:3], v4, off
	v_cmpx_gt_u32_e32 5, v86
	s_cbranch_execz .LBB68_96
; %bb.95:
	v_mul_u32_u24_e32 v2, 0x310, v86
	s_delay_alu instid0(VALU_DEP_1) | instskip(NEXT) | instid1(VALU_DEP_1)
	v_add_nc_u32_e32 v6, v2, v16
	v_add_nc_u32_e32 v4, 0x1000, v6
	ds_load_2addr_b32 v[2:3], v4 offset0:152 offset1:184
	ds_load_2addr_b32 v[4:5], v4 offset0:216 offset1:248
	s_waitcnt lgkmcnt(1)
	v_add_f32_e32 v2, 0, v2
	s_delay_alu instid0(VALU_DEP_1) | instskip(SKIP_1) | instid1(VALU_DEP_1)
	v_add_f32_e32 v2, v2, v3
	s_waitcnt lgkmcnt(0)
	v_add_f32_e32 v4, v2, v4
	v_mad_u64_u32 v[2:3], null, s18, 6, v[0:1]
	v_dual_mov_b32 v3, v1 :: v_dual_add_nc_u32 v6, 0x1400, v6
	s_delay_alu instid0(VALU_DEP_3) | instskip(SKIP_4) | instid1(VALU_DEP_2)
	v_add_f32_e32 v0, v4, v5
	ds_load_2addr_b32 v[6:7], v6 offset0:24 offset1:56
	s_waitcnt lgkmcnt(0)
	v_add_f32_e32 v4, v0, v6
	v_lshlrev_b64 v[0:1], 2, v[2:3]
	v_add_f32_e32 v2, v4, v7
	s_delay_alu instid0(VALU_DEP_2) | instskip(NEXT) | instid1(VALU_DEP_3)
	v_add_co_u32 v0, vcc_lo, s0, v0
	v_add_co_ci_u32_e32 v1, vcc_lo, s1, v1, vcc_lo
	global_store_b32 v[0:1], v2, off
.LBB68_96:
	s_nop 0
	s_sendmsg sendmsg(MSG_DEALLOC_VGPRS)
	s_endpgm
	.section	.rodata,"a",@progbits
	.p2align	6, 0x0
	.amdhsa_kernel _ZL9mul_mat_fI15__hip_bfloat162Li32ELi11ELi6ELb0EEvPKT_PKfPKiPfiiiiiiiiiiiiiiii
		.amdhsa_group_segment_fixed_size 0
		.amdhsa_private_segment_fixed_size 0
		.amdhsa_kernarg_size 96
		.amdhsa_user_sgpr_count 13
		.amdhsa_user_sgpr_dispatch_ptr 0
		.amdhsa_user_sgpr_queue_ptr 0
		.amdhsa_user_sgpr_kernarg_segment_ptr 1
		.amdhsa_user_sgpr_dispatch_id 0
		.amdhsa_user_sgpr_private_segment_size 0
		.amdhsa_wavefront_size32 1
		.amdhsa_uses_dynamic_stack 0
		.amdhsa_enable_private_segment 0
		.amdhsa_system_sgpr_workgroup_id_x 1
		.amdhsa_system_sgpr_workgroup_id_y 1
		.amdhsa_system_sgpr_workgroup_id_z 1
		.amdhsa_system_sgpr_workgroup_info 0
		.amdhsa_system_vgpr_workitem_id 1
		.amdhsa_next_free_vgpr 118
		.amdhsa_next_free_sgpr 60
		.amdhsa_reserve_vcc 1
		.amdhsa_float_round_mode_32 0
		.amdhsa_float_round_mode_16_64 0
		.amdhsa_float_denorm_mode_32 3
		.amdhsa_float_denorm_mode_16_64 3
		.amdhsa_dx10_clamp 1
		.amdhsa_ieee_mode 1
		.amdhsa_fp16_overflow 0
		.amdhsa_workgroup_processor_mode 1
		.amdhsa_memory_ordered 1
		.amdhsa_forward_progress 0
		.amdhsa_shared_vgpr_count 0
		.amdhsa_exception_fp_ieee_invalid_op 0
		.amdhsa_exception_fp_denorm_src 0
		.amdhsa_exception_fp_ieee_div_zero 0
		.amdhsa_exception_fp_ieee_overflow 0
		.amdhsa_exception_fp_ieee_underflow 0
		.amdhsa_exception_fp_ieee_inexact 0
		.amdhsa_exception_int_div_zero 0
	.end_amdhsa_kernel
	.section	.text._ZL9mul_mat_fI15__hip_bfloat162Li32ELi11ELi6ELb0EEvPKT_PKfPKiPfiiiiiiiiiiiiiiii,"axG",@progbits,_ZL9mul_mat_fI15__hip_bfloat162Li32ELi11ELi6ELb0EEvPKT_PKfPKiPfiiiiiiiiiiiiiiii,comdat
.Lfunc_end68:
	.size	_ZL9mul_mat_fI15__hip_bfloat162Li32ELi11ELi6ELb0EEvPKT_PKfPKiPfiiiiiiiiiiiiiiii, .Lfunc_end68-_ZL9mul_mat_fI15__hip_bfloat162Li32ELi11ELi6ELb0EEvPKT_PKfPKiPfiiiiiiiiiiiiiiii
                                        ; -- End function
	.section	.AMDGPU.csdata,"",@progbits
; Kernel info:
; codeLenInByte = 6004
; NumSgprs: 62
; NumVgprs: 118
; ScratchSize: 0
; MemoryBound: 0
; FloatMode: 240
; IeeeMode: 1
; LDSByteSize: 0 bytes/workgroup (compile time only)
; SGPRBlocks: 7
; VGPRBlocks: 14
; NumSGPRsForWavesPerEU: 62
; NumVGPRsForWavesPerEU: 118
; Occupancy: 12
; WaveLimiterHint : 0
; COMPUTE_PGM_RSRC2:SCRATCH_EN: 0
; COMPUTE_PGM_RSRC2:USER_SGPR: 13
; COMPUTE_PGM_RSRC2:TRAP_HANDLER: 0
; COMPUTE_PGM_RSRC2:TGID_X_EN: 1
; COMPUTE_PGM_RSRC2:TGID_Y_EN: 1
; COMPUTE_PGM_RSRC2:TGID_Z_EN: 1
; COMPUTE_PGM_RSRC2:TIDIG_COMP_CNT: 1
	.section	.text._ZL13mul_mat_f_idsI15__hip_bfloat162Li32ELi11ELi7EEvPKT_PKfPKiS7_S7_Pfiiiiiiiiiiiiii15HIP_vector_typeIjLj3EESA_,"axG",@progbits,_ZL13mul_mat_f_idsI15__hip_bfloat162Li32ELi11ELi7EEvPKT_PKfPKiS7_S7_Pfiiiiiiiiiiiiii15HIP_vector_typeIjLj3EESA_,comdat
	.globl	_ZL13mul_mat_f_idsI15__hip_bfloat162Li32ELi11ELi7EEvPKT_PKfPKiS7_S7_Pfiiiiiiiiiiiiii15HIP_vector_typeIjLj3EESA_ ; -- Begin function _ZL13mul_mat_f_idsI15__hip_bfloat162Li32ELi11ELi7EEvPKT_PKfPKiS7_S7_Pfiiiiiiiiiiiiii15HIP_vector_typeIjLj3EESA_
	.p2align	8
	.type	_ZL13mul_mat_f_idsI15__hip_bfloat162Li32ELi11ELi7EEvPKT_PKfPKiS7_S7_Pfiiiiiiiiiiiiii15HIP_vector_typeIjLj3EESA_,@function
_ZL13mul_mat_f_idsI15__hip_bfloat162Li32ELi11ELi7EEvPKT_PKfPKiS7_S7_Pfiiiiiiiiiiiiii15HIP_vector_typeIjLj3EESA_: ; @_ZL13mul_mat_f_idsI15__hip_bfloat162Li32ELi11ELi7EEvPKT_PKfPKiS7_S7_Pfiiiiiiiiiiiiii15HIP_vector_typeIjLj3EESA_
; %bb.0:
	s_load_b64 s[4:5], s[0:1], 0x20
	s_mov_b32 s2, s15
	s_ashr_i32 s15, s14, 31
	s_delay_alu instid0(SALU_CYCLE_1)
	s_lshl_b64 s[6:7], s[14:15], 2
	s_waitcnt lgkmcnt(0)
	s_add_u32 s4, s4, s6
	s_addc_u32 s5, s5, s7
	s_load_b64 s[30:31], s[4:5], 0x0
	s_waitcnt lgkmcnt(0)
	s_sub_i32 s33, s31, s30
	s_delay_alu instid0(SALU_CYCLE_1) | instskip(NEXT) | instid1(SALU_CYCLE_1)
	s_add_i32 s3, s33, 10
	s_mul_hi_i32 s3, s3, 0x2e8ba2e9
	s_delay_alu instid0(SALU_CYCLE_1) | instskip(SKIP_1) | instid1(SALU_CYCLE_1)
	s_lshr_b32 s4, s3, 31
	s_ashr_i32 s3, s3, 1
	s_add_i32 s3, s3, s4
	s_delay_alu instid0(SALU_CYCLE_1)
	s_cmp_ge_i32 s2, s3
	s_cbranch_scc1 .LBB69_135
; %bb.1:
	s_clause 0x4
	s_load_b128 s[8:11], s[0:1], 0x30
	s_load_b64 s[24:25], s[0:1], 0x40
	s_load_b128 s[4:7], s[0:1], 0x4c
	s_load_b128 s[16:19], s[0:1], 0x68
	s_load_b64 s[26:27], s[0:1], 0x78
	v_bfe_u32 v105, v0, 10, 10
	v_and_b32_e32 v106, 0x3ff, v0
	s_ashr_i32 s31, s30, 31
	s_waitcnt lgkmcnt(0)
	s_mov_b32 s7, exec_lo
                                        ; implicit-def: $sgpr3
	v_lshlrev_b32_e32 v107, 5, v105
	v_and_b32_e32 v108, 15, v106
	s_delay_alu instid0(VALU_DEP_2) | instskip(NEXT) | instid1(VALU_DEP_1)
	v_add_nc_u32_e32 v80, v107, v106
	v_cmpx_le_i32_e64 s8, v80
	s_xor_b32 s7, exec_lo, s7
; %bb.2:
	v_and_b32_e32 v108, 15, v106
	s_mov_b32 s3, 0
                                        ; implicit-def: $vgpr80
; %bb.3:
	s_or_saveexec_b32 s36, s7
	s_clause 0x1
	s_load_b64 s[34:35], s[0:1], 0x18
	s_load_b64 s[28:29], s[0:1], 0x28
	v_dual_mov_b32 v7, s3 :: v_dual_mov_b32 v6, s3
	v_dual_mov_b32 v5, s3 :: v_dual_mov_b32 v4, s3
	;; [unrolled: 1-line block ×8, first 2 shown]
	s_lshl_b32 s7, s13, 5
	s_mul_i32 s2, s2, 11
	s_xor_b32 exec_lo, exec_lo, s36
	s_cbranch_execz .LBB69_128
; %bb.4:
	s_clause 0x1
	s_load_b128 s[20:23], s[0:1], 0x0
	s_load_b64 s[12:13], s[0:1], 0x10
	s_mul_i32 s0, s7, s11
	s_mul_i32 s14, s14, s4
	s_ashr_i32 s1, s0, 31
	s_ashr_i32 s15, s14, 31
	s_lshl_b64 s[0:1], s[0:1], 2
	s_lshl_b64 s[14:15], s[14:15], 2
	v_dual_mov_b32 v8, 0 :: v_dual_lshlrev_b32 v3, 7, v105
	s_add_u32 s0, s14, s0
	s_addc_u32 s47, s15, s1
	v_mad_u32_u24 v0, 0x900, v105, 0
	v_dual_mov_b32 v110, 0 :: v_dual_lshlrev_b32 v1, 2, v106
	v_mul_u32_u24_e32 v2, 0x90, v108
	s_mov_b32 s41, 0
	s_mul_i32 s45, s11, 3
	s_delay_alu instid0(VALU_DEP_2)
	v_dual_mov_b32 v10, v110 :: v_dual_add_nc_u32 v109, v0, v1
	s_waitcnt lgkmcnt(0)
	s_add_u32 s1, s0, s20
	s_addc_u32 s4, s47, s21
	s_lshl_b64 s[14:15], s[30:31], 2
	v_add_co_u32 v3, s0, s0, v3
	s_add_u32 s14, s12, s14
	s_addc_u32 s15, s13, s15
	s_cmp_lt_i32 s2, s33
	v_add_co_ci_u32_e64 v4, null, s47, 0, s0
	s_cselect_b32 s37, -1, 0
	s_ashr_i32 s3, s2, 31
	v_add_co_u32 v1, vcc_lo, v3, v1
	s_lshl_b64 s[12:13], s[2:3], 2
	v_add_co_ci_u32_e32 v3, vcc_lo, 0, v4, vcc_lo
	s_add_u32 s12, s14, s12
	s_addc_u32 s13, s15, s13
	s_add_i32 s3, s2, 1
	v_add_co_u32 v81, vcc_lo, s20, v1
	s_cmp_lt_i32 s3, s33
	v_add_co_ci_u32_e32 v82, vcc_lo, s21, v3, vcc_lo
	s_cselect_b32 s3, -1, 0
	s_add_i32 s14, s2, 2
	v_dual_mov_b32 v12, v110 :: v_dual_add_nc_u32 v111, v0, v2
	s_cmp_lt_i32 s14, s33
	v_dual_mov_b32 v9, v110 :: v_dual_mov_b32 v0, 0
	s_cselect_b32 s38, -1, 0
	s_add_i32 s14, s2, 3
	v_mov_b32_e32 v11, v110
	s_cmp_lt_i32 s14, s33
	v_mov_b32_e32 v13, v110
	s_cselect_b32 s39, -1, 0
	s_add_i32 s14, s2, 4
	v_mov_b32_e32 v14, v110
	s_cmp_lt_i32 s14, s33
	v_mov_b32_e32 v15, v110
	;; [unrolled: 5-line block ×5, first 2 shown]
	s_cselect_b32 s44, -1, 0
	s_add_i32 s15, s2, 8
	v_mov_b32_e32 v7, v110
	s_cmp_lt_i32 s15, s33
	s_mov_b32 s14, s11
	s_cselect_b32 s46, -1, 0
	s_add_i32 s15, s2, 9
	s_mul_i32 s49, s11, 5
	s_cmp_lt_i32 s15, s33
	s_mul_i32 s50, s11, 6
	s_cselect_b32 s47, -1, 0
	s_add_i32 s0, s2, 10
	s_mul_i32 s51, s11, 7
	s_cmp_lt_i32 s0, s33
	s_mul_i32 s53, s11, 9
	s_cselect_b32 s20, -1, 0
	s_ashr_i32 s15, s11, 31
	s_lshl_b32 s21, s11, 1
	s_lshl_b32 s48, s11, 2
	s_lshl_b64 s[14:15], s[14:15], 2
	s_lshl_b32 s52, s11, 3
	s_mul_i32 s54, s11, 10
	s_mul_i32 s55, s11, 11
	;; [unrolled: 1-line block ×6, first 2 shown]
	s_lshl_b32 s60, s11, 4
	s_mul_i32 s61, s11, 17
	s_mul_i32 s62, s11, 18
	;; [unrolled: 1-line block ×15, first 2 shown]
	s_branch .LBB69_6
.LBB69_5:                               ;   in Loop: Header=BB69_6 Depth=1
	s_or_b32 exec_lo, exec_lo, s0
	s_delay_alu instid0(VALU_DEP_1)
	v_perm_b32 v83, v83, v85, 0x7060302
	v_add_nc_u32_e32 v84, 0x400, v109
	v_add_nc_u32_e32 v85, 0x600, v109
	;; [unrolled: 1-line block ×3, first 2 shown]
	v_add_co_u32 v81, s0, 0x380, v81
	ds_store_2addr_b32 v84, v83, v110 offset0:104 offset1:140
	ds_store_2addr_b32 v84, v110, v110 offset0:176 offset1:212
	;; [unrolled: 1-line block ×3, first 2 shown]
	ds_load_b128 v[83:86], v111
	ds_load_b128 v[87:90], v111 offset:16
	ds_load_b128 v[91:94], v111 offset:32
	;; [unrolled: 1-line block ×5, first 2 shown]
	v_cmp_le_i32_e32 vcc_lo, s8, v80
	v_add_co_ci_u32_e64 v82, s0, 0, v82, s0
	s_or_b32 s41, vcc_lo, s41
	s_waitcnt lgkmcnt(4)
	v_wmma_f32_16x16x16_bf16 v[8:15], v[56:63], v[83:90], v[8:15]
	ds_load_b128 v[56:59], v111 offset:96
	ds_load_b128 v[60:63], v111 offset:112
	v_wmma_f32_16x16x16_bf16 v[0:7], v[72:79], v[83:90], v[0:7]
	s_waitcnt lgkmcnt(4)
	v_wmma_f32_16x16x16_bf16 v[8:15], v[40:47], v[91:98], v[8:15]
	s_delay_alu instid0(VALU_DEP_2) | instskip(SKIP_1) | instid1(VALU_DEP_2)
	v_wmma_f32_16x16x16_bf16 v[0:7], v[64:71], v[91:98], v[0:7]
	s_waitcnt lgkmcnt(2)
	v_wmma_f32_16x16x16_bf16 v[8:15], v[24:31], v[112:119], v[8:15]
	s_delay_alu instid0(VALU_DEP_2) | instskip(SKIP_1) | instid1(VALU_DEP_2)
	v_wmma_f32_16x16x16_bf16 v[0:7], v[48:55], v[112:119], v[0:7]
	s_waitcnt lgkmcnt(0)
	v_wmma_f32_16x16x16_bf16 v[8:15], v[16:23], v[56:63], v[8:15]
	s_delay_alu instid0(VALU_DEP_2)
	v_wmma_f32_16x16x16_bf16 v[0:7], v[32:39], v[56:63], v[0:7]
	s_and_not1_b32 exec_lo, exec_lo, s41
	s_cbranch_execz .LBB69_127
.LBB69_6:                               ; =>This Inner Loop Header: Depth=1
	v_dual_mov_b32 v103, 0 :: v_dual_add_nc_u32 v16, s21, v80
	v_add_nc_u32_e32 v22, s48, v80
	v_add_nc_u32_e32 v18, s45, v80
	v_add_co_u32 v20, vcc_lo, v81, s14
	s_delay_alu instid0(VALU_DEP_4)
	v_ashrrev_i32_e32 v17, 31, v16
	v_add_co_ci_u32_e32 v21, vcc_lo, s15, v82, vcc_lo
	v_ashrrev_i32_e32 v23, 31, v22
	v_ashrrev_i32_e32 v19, 31, v18
	v_add_nc_u32_e32 v24, s49, v80
	v_lshlrev_b64 v[16:17], 2, v[16:17]
	s_clause 0x1
	global_load_b32 v38, v[81:82], off
	global_load_b32 v39, v[20:21], off
	v_lshlrev_b64 v[20:21], 2, v[22:23]
	v_add_nc_u32_e32 v22, s50, v80
	v_lshlrev_b64 v[18:19], 2, v[18:19]
	v_ashrrev_i32_e32 v25, 31, v24
	v_add_nc_u32_e32 v26, s51, v80
	v_add_co_u32 v16, vcc_lo, s1, v16
	v_ashrrev_i32_e32 v23, 31, v22
	v_add_co_ci_u32_e32 v17, vcc_lo, s4, v17, vcc_lo
	v_add_nc_u32_e32 v28, s52, v80
	v_add_co_u32 v18, vcc_lo, s1, v18
	v_lshlrev_b64 v[24:25], 2, v[24:25]
	v_ashrrev_i32_e32 v27, 31, v26
	v_add_co_ci_u32_e32 v19, vcc_lo, s4, v19, vcc_lo
	v_add_nc_u32_e32 v30, s53, v80
	v_add_co_u32 v20, vcc_lo, s1, v20
	v_lshlrev_b64 v[22:23], 2, v[22:23]
	v_ashrrev_i32_e32 v29, 31, v28
	v_add_co_ci_u32_e32 v21, vcc_lo, s4, v21, vcc_lo
	v_add_co_u32 v24, vcc_lo, s1, v24
	v_lshlrev_b64 v[26:27], 2, v[26:27]
	v_ashrrev_i32_e32 v31, 31, v30
	v_add_co_ci_u32_e32 v25, vcc_lo, s4, v25, vcc_lo
	v_add_co_u32 v22, vcc_lo, s1, v22
	v_lshlrev_b64 v[28:29], 2, v[28:29]
	v_add_co_ci_u32_e32 v23, vcc_lo, s4, v23, vcc_lo
	v_add_nc_u32_e32 v32, s54, v80
	v_add_co_u32 v26, vcc_lo, s1, v26
	v_lshlrev_b64 v[30:31], 2, v[30:31]
	v_add_co_ci_u32_e32 v27, vcc_lo, s4, v27, vcc_lo
	v_add_nc_u32_e32 v34, s55, v80
	v_add_co_u32 v28, vcc_lo, s1, v28
	v_ashrrev_i32_e32 v33, 31, v32
	v_add_co_ci_u32_e32 v29, vcc_lo, s4, v29, vcc_lo
	v_add_nc_u32_e32 v36, s56, v80
	v_add_co_u32 v30, vcc_lo, s1, v30
	v_ashrrev_i32_e32 v35, 31, v34
	v_add_co_ci_u32_e32 v31, vcc_lo, s4, v31, vcc_lo
	s_clause 0x7
	global_load_b32 v40, v[16:17], off
	global_load_b32 v41, v[18:19], off
	global_load_b32 v42, v[20:21], off
	global_load_b32 v43, v[24:25], off
	global_load_b32 v44, v[22:23], off
	global_load_b32 v45, v[26:27], off
	global_load_b32 v46, v[28:29], off
	global_load_b32 v47, v[30:31], off
	v_add_nc_u32_e32 v18, s57, v80
	v_lshlrev_b64 v[32:33], 2, v[32:33]
	v_ashrrev_i32_e32 v37, 31, v36
	v_add_nc_u32_e32 v24, s58, v80
	v_lshlrev_b64 v[16:17], 2, v[34:35]
	v_ashrrev_i32_e32 v19, 31, v18
	v_add_nc_u32_e32 v26, s59, v80
	v_add_co_u32 v20, vcc_lo, s1, v32
	v_lshlrev_b64 v[22:23], 2, v[36:37]
	v_ashrrev_i32_e32 v25, 31, v24
	v_add_co_ci_u32_e32 v21, vcc_lo, s4, v33, vcc_lo
	v_add_nc_u32_e32 v28, s60, v80
	v_add_co_u32 v16, vcc_lo, s1, v16
	v_lshlrev_b64 v[18:19], 2, v[18:19]
	v_ashrrev_i32_e32 v27, 31, v26
	v_add_co_ci_u32_e32 v17, vcc_lo, s4, v17, vcc_lo
	v_add_nc_u32_e32 v30, s61, v80
	v_add_co_u32 v22, vcc_lo, s1, v22
	v_lshlrev_b64 v[24:25], 2, v[24:25]
	v_ashrrev_i32_e32 v29, 31, v28
	v_add_co_ci_u32_e32 v23, vcc_lo, s4, v23, vcc_lo
	v_add_co_u32 v18, vcc_lo, s1, v18
	v_lshlrev_b64 v[26:27], 2, v[26:27]
	v_ashrrev_i32_e32 v31, 31, v30
	v_add_co_ci_u32_e32 v19, vcc_lo, s4, v19, vcc_lo
	v_add_co_u32 v24, vcc_lo, s1, v24
	v_lshlrev_b64 v[28:29], 2, v[28:29]
	v_add_co_ci_u32_e32 v25, vcc_lo, s4, v25, vcc_lo
	v_add_nc_u32_e32 v32, s62, v80
	v_add_co_u32 v26, vcc_lo, s1, v26
	v_lshlrev_b64 v[30:31], 2, v[30:31]
	v_add_co_ci_u32_e32 v27, vcc_lo, s4, v27, vcc_lo
	v_add_nc_u32_e32 v34, s63, v80
	v_add_co_u32 v28, vcc_lo, s1, v28
	v_ashrrev_i32_e32 v33, 31, v32
	v_add_co_ci_u32_e32 v29, vcc_lo, s4, v29, vcc_lo
	v_add_nc_u32_e32 v36, s64, v80
	v_add_co_u32 v30, vcc_lo, s1, v30
	v_ashrrev_i32_e32 v35, 31, v34
	v_add_co_ci_u32_e32 v31, vcc_lo, s4, v31, vcc_lo
	s_clause 0x7
	global_load_b32 v48, v[20:21], off
	global_load_b32 v49, v[16:17], off
	global_load_b32 v50, v[22:23], off
	global_load_b32 v51, v[18:19], off
	global_load_b32 v52, v[24:25], off
	global_load_b32 v53, v[26:27], off
	global_load_b32 v54, v[28:29], off
	global_load_b32 v55, v[30:31], off
	v_add_nc_u32_e32 v18, s65, v80
	v_lshlrev_b64 v[32:33], 2, v[32:33]
	v_ashrrev_i32_e32 v37, 31, v36
	v_add_nc_u32_e32 v24, s66, v80
	v_lshlrev_b64 v[16:17], 2, v[34:35]
	v_ashrrev_i32_e32 v19, 31, v18
	v_add_nc_u32_e32 v26, s67, v80
	v_add_co_u32 v20, vcc_lo, s1, v32
	v_lshlrev_b64 v[22:23], 2, v[36:37]
	;; [unrolled: 49-line block ×3, first 2 shown]
	v_ashrrev_i32_e32 v25, 31, v24
	v_add_co_ci_u32_e32 v21, vcc_lo, s4, v33, vcc_lo
	v_add_co_u32 v16, vcc_lo, s1, v16
	v_lshlrev_b64 v[18:19], 2, v[18:19]
	v_ashrrev_i32_e32 v27, 31, v26
	v_add_co_ci_u32_e32 v17, vcc_lo, s4, v17, vcc_lo
	v_add_co_u32 v22, vcc_lo, s1, v22
	v_lshlrev_b64 v[24:25], 2, v[24:25]
	v_add_co_ci_u32_e32 v23, vcc_lo, s4, v23, vcc_lo
	v_add_co_u32 v18, vcc_lo, s1, v18
	v_lshlrev_b64 v[26:27], 2, v[26:27]
	v_add_co_ci_u32_e32 v19, vcc_lo, s4, v19, vcc_lo
	v_add_co_u32 v24, vcc_lo, s1, v24
	v_add_co_ci_u32_e32 v25, vcc_lo, s4, v25, vcc_lo
	s_delay_alu instid0(VALU_DEP_4)
	v_add_co_u32 v26, vcc_lo, s1, v26
	v_add_co_ci_u32_e32 v27, vcc_lo, s4, v27, vcc_lo
	s_clause 0x5
	global_load_b32 v32, v[20:21], off
	global_load_b32 v33, v[16:17], off
	;; [unrolled: 1-line block ×6, first 2 shown]
	v_mov_b32_e32 v104, 0
	s_and_not1_b32 vcc_lo, exec_lo, s37
	s_waitcnt vmcnt(31)
	ds_store_b32 v109, v38
	s_waitcnt vmcnt(30)
	ds_store_b32 v109, v39 offset:144
	s_waitcnt vmcnt(29)
	ds_store_b32 v109, v40 offset:288
	;; [unrolled: 2-line block ×15, first 2 shown]
	ds_load_b128 v[56:59], v111
	ds_load_b128 v[60:63], v111 offset:16
	ds_load_b128 v[40:43], v111 offset:32
	;; [unrolled: 1-line block ×7, first 2 shown]
	s_waitcnt vmcnt(15)
	ds_store_b32 v109, v54
	s_waitcnt vmcnt(14)
	ds_store_b32 v109, v55 offset:144
	s_waitcnt vmcnt(13)
	ds_store_b32 v109, v64 offset:288
	;; [unrolled: 2-line block ×15, first 2 shown]
	ds_load_b128 v[72:75], v111
	ds_load_b128 v[76:79], v111 offset:16
	ds_load_b128 v[64:67], v111 offset:32
	;; [unrolled: 1-line block ×7, first 2 shown]
	s_cbranch_vccnz .LBB69_9
; %bb.7:                                ;   in Loop: Header=BB69_6 Depth=1
	s_load_b32 s0, s[12:13], 0x0
	v_dual_mov_b32 v104, 0 :: v_dual_mov_b32 v103, 0
	s_waitcnt lgkmcnt(0)
	s_mul_hi_u32 s75, s0, s16
	s_delay_alu instid0(SALU_CYCLE_1) | instskip(NEXT) | instid1(SALU_CYCLE_1)
	s_add_i32 s75, s0, s75
	s_lshr_b32 s75, s75, s17
	s_delay_alu instid0(SALU_CYCLE_1)
	s_cmp_ge_i32 s75, s9
	s_cbranch_scc1 .LBB69_9
; %bb.8:                                ;   in Loop: Header=BB69_6 Depth=1
	v_mad_u64_u32 v[83:84], null, s75, s24, v[80:81]
	s_mul_i32 s75, s75, s18
	s_delay_alu instid0(SALU_CYCLE_1) | instskip(NEXT) | instid1(SALU_CYCLE_1)
	s_sub_i32 s0, s0, s75
	s_mul_i32 s0, s0, s5
	s_delay_alu instid0(VALU_DEP_1) | instid1(SALU_CYCLE_1)
	v_lshl_add_u32 v83, v83, 1, s0
	s_delay_alu instid0(VALU_DEP_1) | instskip(NEXT) | instid1(VALU_DEP_1)
	v_ashrrev_i32_e32 v84, 31, v83
	v_lshlrev_b64 v[83:84], 2, v[83:84]
	s_delay_alu instid0(VALU_DEP_1) | instskip(NEXT) | instid1(VALU_DEP_2)
	v_add_co_u32 v83, vcc_lo, s22, v83
	v_add_co_ci_u32_e32 v84, vcc_lo, s23, v84, vcc_lo
	global_load_b64 v[103:104], v[83:84], off
.LBB69_9:                               ;   in Loop: Header=BB69_6 Depth=1
	v_dual_mov_b32 v97, 0 :: v_dual_mov_b32 v102, 0
	v_mov_b32_e32 v101, 0
	s_and_not1_b32 vcc_lo, exec_lo, s3
	s_cbranch_vccnz .LBB69_12
; %bb.10:                               ;   in Loop: Header=BB69_6 Depth=1
	s_load_b32 s0, s[12:13], 0x4
	v_dual_mov_b32 v102, 0 :: v_dual_mov_b32 v101, 0
	s_waitcnt lgkmcnt(0)
	s_mul_hi_u32 s75, s0, s16
	s_delay_alu instid0(SALU_CYCLE_1) | instskip(NEXT) | instid1(SALU_CYCLE_1)
	s_add_i32 s75, s0, s75
	s_lshr_b32 s75, s75, s17
	s_delay_alu instid0(SALU_CYCLE_1)
	s_cmp_ge_i32 s75, s9
	s_cbranch_scc1 .LBB69_12
; %bb.11:                               ;   in Loop: Header=BB69_6 Depth=1
	v_mad_u64_u32 v[83:84], null, s75, s24, v[80:81]
	s_mul_i32 s75, s75, s18
	s_delay_alu instid0(SALU_CYCLE_1) | instskip(NEXT) | instid1(SALU_CYCLE_1)
	s_sub_i32 s0, s0, s75
	s_mul_i32 s0, s0, s5
	s_delay_alu instid0(VALU_DEP_1) | instid1(SALU_CYCLE_1)
	v_lshl_add_u32 v83, v83, 1, s0
	s_delay_alu instid0(VALU_DEP_1) | instskip(NEXT) | instid1(VALU_DEP_1)
	v_ashrrev_i32_e32 v84, 31, v83
	v_lshlrev_b64 v[83:84], 2, v[83:84]
	s_delay_alu instid0(VALU_DEP_1) | instskip(NEXT) | instid1(VALU_DEP_2)
	v_add_co_u32 v83, vcc_lo, s22, v83
	v_add_co_ci_u32_e32 v84, vcc_lo, s23, v84, vcc_lo
	global_load_b64 v[101:102], v[83:84], off
.LBB69_12:                              ;   in Loop: Header=BB69_6 Depth=1
	v_mov_b32_e32 v98, 0
	s_and_not1_b32 vcc_lo, exec_lo, s38
	s_cbranch_vccnz .LBB69_15
; %bb.13:                               ;   in Loop: Header=BB69_6 Depth=1
	s_load_b32 s0, s[12:13], 0x8
	v_dual_mov_b32 v98, 0 :: v_dual_mov_b32 v97, 0
	s_waitcnt lgkmcnt(0)
	s_mul_hi_u32 s75, s0, s16
	s_delay_alu instid0(SALU_CYCLE_1) | instskip(NEXT) | instid1(SALU_CYCLE_1)
	s_add_i32 s75, s0, s75
	s_lshr_b32 s75, s75, s17
	s_delay_alu instid0(SALU_CYCLE_1)
	s_cmp_ge_i32 s75, s9
	s_cbranch_scc1 .LBB69_15
; %bb.14:                               ;   in Loop: Header=BB69_6 Depth=1
	v_mad_u64_u32 v[83:84], null, s75, s24, v[80:81]
	s_mul_i32 s75, s75, s18
	s_delay_alu instid0(SALU_CYCLE_1) | instskip(NEXT) | instid1(SALU_CYCLE_1)
	s_sub_i32 s0, s0, s75
	s_mul_i32 s0, s0, s5
	s_delay_alu instid0(VALU_DEP_1) | instid1(SALU_CYCLE_1)
	v_lshl_add_u32 v83, v83, 1, s0
	s_delay_alu instid0(VALU_DEP_1) | instskip(NEXT) | instid1(VALU_DEP_1)
	v_ashrrev_i32_e32 v84, 31, v83
	v_lshlrev_b64 v[83:84], 2, v[83:84]
	s_delay_alu instid0(VALU_DEP_1) | instskip(NEXT) | instid1(VALU_DEP_2)
	v_add_co_u32 v83, vcc_lo, s22, v83
	v_add_co_ci_u32_e32 v84, vcc_lo, s23, v84, vcc_lo
	global_load_b64 v[97:98], v[83:84], off
.LBB69_15:                              ;   in Loop: Header=BB69_6 Depth=1
	v_dual_mov_b32 v93, 0 :: v_dual_mov_b32 v100, 0
	v_mov_b32_e32 v99, 0
	s_and_not1_b32 vcc_lo, exec_lo, s39
	s_cbranch_vccnz .LBB69_18
; %bb.16:                               ;   in Loop: Header=BB69_6 Depth=1
	s_load_b32 s0, s[12:13], 0xc
	v_dual_mov_b32 v100, 0 :: v_dual_mov_b32 v99, 0
	s_waitcnt lgkmcnt(0)
	s_mul_hi_u32 s75, s0, s16
	s_delay_alu instid0(SALU_CYCLE_1) | instskip(NEXT) | instid1(SALU_CYCLE_1)
	s_add_i32 s75, s0, s75
	s_lshr_b32 s75, s75, s17
	s_delay_alu instid0(SALU_CYCLE_1)
	s_cmp_ge_i32 s75, s9
	s_cbranch_scc1 .LBB69_18
; %bb.17:                               ;   in Loop: Header=BB69_6 Depth=1
	v_mad_u64_u32 v[83:84], null, s75, s24, v[80:81]
	s_mul_i32 s75, s75, s18
	s_delay_alu instid0(SALU_CYCLE_1) | instskip(NEXT) | instid1(SALU_CYCLE_1)
	s_sub_i32 s0, s0, s75
	s_mul_i32 s0, s0, s5
	s_delay_alu instid0(VALU_DEP_1) | instid1(SALU_CYCLE_1)
	v_lshl_add_u32 v83, v83, 1, s0
	s_delay_alu instid0(VALU_DEP_1) | instskip(NEXT) | instid1(VALU_DEP_1)
	v_ashrrev_i32_e32 v84, 31, v83
	v_lshlrev_b64 v[83:84], 2, v[83:84]
	s_delay_alu instid0(VALU_DEP_1) | instskip(NEXT) | instid1(VALU_DEP_2)
	v_add_co_u32 v83, vcc_lo, s22, v83
	v_add_co_ci_u32_e32 v84, vcc_lo, s23, v84, vcc_lo
	global_load_b64 v[99:100], v[83:84], off
.LBB69_18:                              ;   in Loop: Header=BB69_6 Depth=1
	v_mov_b32_e32 v94, 0
	s_and_not1_b32 vcc_lo, exec_lo, s40
	s_cbranch_vccnz .LBB69_21
; %bb.19:                               ;   in Loop: Header=BB69_6 Depth=1
	s_load_b32 s0, s[12:13], 0x10
	v_dual_mov_b32 v94, 0 :: v_dual_mov_b32 v93, 0
	s_waitcnt lgkmcnt(0)
	s_mul_hi_u32 s75, s0, s16
	s_delay_alu instid0(SALU_CYCLE_1) | instskip(NEXT) | instid1(SALU_CYCLE_1)
	s_add_i32 s75, s0, s75
	s_lshr_b32 s75, s75, s17
	s_delay_alu instid0(SALU_CYCLE_1)
	s_cmp_ge_i32 s75, s9
	s_cbranch_scc1 .LBB69_21
; %bb.20:                               ;   in Loop: Header=BB69_6 Depth=1
	v_mad_u64_u32 v[83:84], null, s75, s24, v[80:81]
	s_mul_i32 s75, s75, s18
	s_delay_alu instid0(SALU_CYCLE_1) | instskip(NEXT) | instid1(SALU_CYCLE_1)
	s_sub_i32 s0, s0, s75
	s_mul_i32 s0, s0, s5
	s_delay_alu instid0(VALU_DEP_1) | instid1(SALU_CYCLE_1)
	v_lshl_add_u32 v83, v83, 1, s0
	s_delay_alu instid0(VALU_DEP_1) | instskip(NEXT) | instid1(VALU_DEP_1)
	v_ashrrev_i32_e32 v84, 31, v83
	v_lshlrev_b64 v[83:84], 2, v[83:84]
	s_delay_alu instid0(VALU_DEP_1) | instskip(NEXT) | instid1(VALU_DEP_2)
	v_add_co_u32 v83, vcc_lo, s22, v83
	v_add_co_ci_u32_e32 v84, vcc_lo, s23, v84, vcc_lo
	global_load_b64 v[93:94], v[83:84], off
.LBB69_21:                              ;   in Loop: Header=BB69_6 Depth=1
	v_dual_mov_b32 v89, 0 :: v_dual_mov_b32 v96, 0
	v_mov_b32_e32 v95, 0
	s_and_not1_b32 vcc_lo, exec_lo, s42
	s_cbranch_vccnz .LBB69_24
; %bb.22:                               ;   in Loop: Header=BB69_6 Depth=1
	s_load_b32 s0, s[12:13], 0x14
	v_dual_mov_b32 v96, 0 :: v_dual_mov_b32 v95, 0
	s_waitcnt lgkmcnt(0)
	s_mul_hi_u32 s75, s0, s16
	s_delay_alu instid0(SALU_CYCLE_1) | instskip(NEXT) | instid1(SALU_CYCLE_1)
	s_add_i32 s75, s0, s75
	s_lshr_b32 s75, s75, s17
	s_delay_alu instid0(SALU_CYCLE_1)
	s_cmp_ge_i32 s75, s9
	s_cbranch_scc1 .LBB69_24
; %bb.23:                               ;   in Loop: Header=BB69_6 Depth=1
	v_mad_u64_u32 v[83:84], null, s75, s24, v[80:81]
	s_mul_i32 s75, s75, s18
	s_delay_alu instid0(SALU_CYCLE_1) | instskip(NEXT) | instid1(SALU_CYCLE_1)
	s_sub_i32 s0, s0, s75
	s_mul_i32 s0, s0, s5
	s_delay_alu instid0(VALU_DEP_1) | instid1(SALU_CYCLE_1)
	v_lshl_add_u32 v83, v83, 1, s0
	s_delay_alu instid0(VALU_DEP_1) | instskip(NEXT) | instid1(VALU_DEP_1)
	v_ashrrev_i32_e32 v84, 31, v83
	v_lshlrev_b64 v[83:84], 2, v[83:84]
	s_delay_alu instid0(VALU_DEP_1) | instskip(NEXT) | instid1(VALU_DEP_2)
	v_add_co_u32 v83, vcc_lo, s22, v83
	v_add_co_ci_u32_e32 v84, vcc_lo, s23, v84, vcc_lo
	global_load_b64 v[95:96], v[83:84], off
.LBB69_24:                              ;   in Loop: Header=BB69_6 Depth=1
	v_mov_b32_e32 v90, 0
	s_and_not1_b32 vcc_lo, exec_lo, s43
	s_cbranch_vccnz .LBB69_27
; %bb.25:                               ;   in Loop: Header=BB69_6 Depth=1
	s_load_b32 s0, s[12:13], 0x18
	v_dual_mov_b32 v90, 0 :: v_dual_mov_b32 v89, 0
	s_waitcnt lgkmcnt(0)
	s_mul_hi_u32 s75, s0, s16
	s_delay_alu instid0(SALU_CYCLE_1) | instskip(NEXT) | instid1(SALU_CYCLE_1)
	s_add_i32 s75, s0, s75
	s_lshr_b32 s75, s75, s17
	s_delay_alu instid0(SALU_CYCLE_1)
	s_cmp_ge_i32 s75, s9
	s_cbranch_scc1 .LBB69_27
; %bb.26:                               ;   in Loop: Header=BB69_6 Depth=1
	v_mad_u64_u32 v[83:84], null, s75, s24, v[80:81]
	s_mul_i32 s75, s75, s18
	s_delay_alu instid0(SALU_CYCLE_1) | instskip(NEXT) | instid1(SALU_CYCLE_1)
	s_sub_i32 s0, s0, s75
	s_mul_i32 s0, s0, s5
	s_delay_alu instid0(VALU_DEP_1) | instid1(SALU_CYCLE_1)
	v_lshl_add_u32 v83, v83, 1, s0
	s_delay_alu instid0(VALU_DEP_1) | instskip(NEXT) | instid1(VALU_DEP_1)
	v_ashrrev_i32_e32 v84, 31, v83
	v_lshlrev_b64 v[83:84], 2, v[83:84]
	s_delay_alu instid0(VALU_DEP_1) | instskip(NEXT) | instid1(VALU_DEP_2)
	v_add_co_u32 v83, vcc_lo, s22, v83
	v_add_co_ci_u32_e32 v84, vcc_lo, s23, v84, vcc_lo
	global_load_b64 v[89:90], v[83:84], off
.LBB69_27:                              ;   in Loop: Header=BB69_6 Depth=1
	v_dual_mov_b32 v85, 0 :: v_dual_mov_b32 v92, 0
	v_mov_b32_e32 v91, 0
	s_and_not1_b32 vcc_lo, exec_lo, s44
	s_cbranch_vccnz .LBB69_30
; %bb.28:                               ;   in Loop: Header=BB69_6 Depth=1
	s_load_b32 s0, s[12:13], 0x1c
	v_dual_mov_b32 v92, 0 :: v_dual_mov_b32 v91, 0
	s_waitcnt lgkmcnt(0)
	s_mul_hi_u32 s75, s0, s16
	s_delay_alu instid0(SALU_CYCLE_1) | instskip(NEXT) | instid1(SALU_CYCLE_1)
	s_add_i32 s75, s0, s75
	s_lshr_b32 s75, s75, s17
	s_delay_alu instid0(SALU_CYCLE_1)
	s_cmp_ge_i32 s75, s9
	s_cbranch_scc1 .LBB69_30
; %bb.29:                               ;   in Loop: Header=BB69_6 Depth=1
	v_mad_u64_u32 v[83:84], null, s75, s24, v[80:81]
	s_mul_i32 s75, s75, s18
	s_delay_alu instid0(SALU_CYCLE_1) | instskip(NEXT) | instid1(SALU_CYCLE_1)
	s_sub_i32 s0, s0, s75
	s_mul_i32 s0, s0, s5
	s_delay_alu instid0(VALU_DEP_1) | instid1(SALU_CYCLE_1)
	v_lshl_add_u32 v83, v83, 1, s0
	s_delay_alu instid0(VALU_DEP_1) | instskip(NEXT) | instid1(VALU_DEP_1)
	v_ashrrev_i32_e32 v84, 31, v83
	v_lshlrev_b64 v[83:84], 2, v[83:84]
	s_delay_alu instid0(VALU_DEP_1) | instskip(NEXT) | instid1(VALU_DEP_2)
	v_add_co_u32 v83, vcc_lo, s22, v83
	v_add_co_ci_u32_e32 v84, vcc_lo, s23, v84, vcc_lo
	global_load_b64 v[91:92], v[83:84], off
.LBB69_30:                              ;   in Loop: Header=BB69_6 Depth=1
	v_mov_b32_e32 v86, 0
	s_and_not1_b32 vcc_lo, exec_lo, s46
	s_cbranch_vccnz .LBB69_33
; %bb.31:                               ;   in Loop: Header=BB69_6 Depth=1
	s_load_b32 s0, s[12:13], 0x20
	v_dual_mov_b32 v86, 0 :: v_dual_mov_b32 v85, 0
	s_waitcnt lgkmcnt(0)
	s_mul_hi_u32 s75, s0, s16
	s_delay_alu instid0(SALU_CYCLE_1) | instskip(NEXT) | instid1(SALU_CYCLE_1)
	s_add_i32 s75, s0, s75
	s_lshr_b32 s75, s75, s17
	s_delay_alu instid0(SALU_CYCLE_1)
	s_cmp_ge_i32 s75, s9
	s_cbranch_scc1 .LBB69_33
; %bb.32:                               ;   in Loop: Header=BB69_6 Depth=1
	v_mad_u64_u32 v[83:84], null, s75, s24, v[80:81]
	s_mul_i32 s75, s75, s18
	s_delay_alu instid0(SALU_CYCLE_1) | instskip(NEXT) | instid1(SALU_CYCLE_1)
	s_sub_i32 s0, s0, s75
	s_mul_i32 s0, s0, s5
	s_delay_alu instid0(VALU_DEP_1) | instid1(SALU_CYCLE_1)
	v_lshl_add_u32 v83, v83, 1, s0
	s_delay_alu instid0(VALU_DEP_1) | instskip(NEXT) | instid1(VALU_DEP_1)
	v_ashrrev_i32_e32 v84, 31, v83
	v_lshlrev_b64 v[83:84], 2, v[83:84]
	s_delay_alu instid0(VALU_DEP_1) | instskip(NEXT) | instid1(VALU_DEP_2)
	v_add_co_u32 v83, vcc_lo, s22, v83
	v_add_co_ci_u32_e32 v84, vcc_lo, s23, v84, vcc_lo
	global_load_b64 v[85:86], v[83:84], off
.LBB69_33:                              ;   in Loop: Header=BB69_6 Depth=1
	v_dual_mov_b32 v83, 0 :: v_dual_mov_b32 v88, 0
	v_mov_b32_e32 v87, 0
	s_and_not1_b32 vcc_lo, exec_lo, s47
	s_cbranch_vccnz .LBB69_36
; %bb.34:                               ;   in Loop: Header=BB69_6 Depth=1
	s_load_b32 s0, s[12:13], 0x24
	v_dual_mov_b32 v88, 0 :: v_dual_mov_b32 v87, 0
	s_waitcnt lgkmcnt(0)
	s_mul_hi_u32 s75, s0, s16
	s_delay_alu instid0(SALU_CYCLE_1) | instskip(NEXT) | instid1(SALU_CYCLE_1)
	s_add_i32 s75, s0, s75
	s_lshr_b32 s75, s75, s17
	s_delay_alu instid0(SALU_CYCLE_1)
	s_cmp_ge_i32 s75, s9
	s_cbranch_scc1 .LBB69_36
; %bb.35:                               ;   in Loop: Header=BB69_6 Depth=1
	v_mad_u64_u32 v[87:88], null, s75, s24, v[80:81]
	s_mul_i32 s75, s75, s18
	s_delay_alu instid0(SALU_CYCLE_1) | instskip(NEXT) | instid1(SALU_CYCLE_1)
	s_sub_i32 s0, s0, s75
	s_mul_i32 s0, s0, s5
	s_delay_alu instid0(VALU_DEP_1) | instid1(SALU_CYCLE_1)
	v_lshl_add_u32 v87, v87, 1, s0
	s_delay_alu instid0(VALU_DEP_1) | instskip(NEXT) | instid1(VALU_DEP_1)
	v_ashrrev_i32_e32 v88, 31, v87
	v_lshlrev_b64 v[87:88], 2, v[87:88]
	s_delay_alu instid0(VALU_DEP_1) | instskip(NEXT) | instid1(VALU_DEP_2)
	v_add_co_u32 v87, vcc_lo, s22, v87
	v_add_co_ci_u32_e32 v88, vcc_lo, s23, v88, vcc_lo
	global_load_b64 v[87:88], v[87:88], off
.LBB69_36:                              ;   in Loop: Header=BB69_6 Depth=1
	v_mov_b32_e32 v84, 0
	s_and_not1_b32 vcc_lo, exec_lo, s20
	s_cbranch_vccnz .LBB69_39
; %bb.37:                               ;   in Loop: Header=BB69_6 Depth=1
	s_load_b32 s0, s[12:13], 0x28
	v_dual_mov_b32 v84, 0 :: v_dual_mov_b32 v83, 0
	s_waitcnt lgkmcnt(0)
	s_mul_hi_u32 s75, s0, s16
	s_delay_alu instid0(SALU_CYCLE_1) | instskip(NEXT) | instid1(SALU_CYCLE_1)
	s_add_i32 s75, s0, s75
	s_lshr_b32 s75, s75, s17
	s_delay_alu instid0(SALU_CYCLE_1)
	s_cmp_ge_i32 s75, s9
	s_cbranch_scc1 .LBB69_39
; %bb.38:                               ;   in Loop: Header=BB69_6 Depth=1
	v_mad_u64_u32 v[83:84], null, s75, s24, v[80:81]
	s_mul_i32 s75, s75, s18
	s_delay_alu instid0(SALU_CYCLE_1) | instskip(NEXT) | instid1(SALU_CYCLE_1)
	s_sub_i32 s0, s0, s75
	s_mul_i32 s0, s0, s5
	s_delay_alu instid0(VALU_DEP_1) | instid1(SALU_CYCLE_1)
	v_lshl_add_u32 v83, v83, 1, s0
	s_delay_alu instid0(VALU_DEP_1) | instskip(NEXT) | instid1(VALU_DEP_1)
	v_ashrrev_i32_e32 v84, 31, v83
	v_lshlrev_b64 v[83:84], 2, v[83:84]
	s_delay_alu instid0(VALU_DEP_1) | instskip(NEXT) | instid1(VALU_DEP_2)
	v_add_co_u32 v83, vcc_lo, s22, v83
	v_add_co_ci_u32_e32 v84, vcc_lo, s23, v84, vcc_lo
	global_load_b64 v[83:84], v[83:84], off
.LBB69_39:                              ;   in Loop: Header=BB69_6 Depth=1
	s_waitcnt vmcnt(0)
	v_and_b32_e32 v112, 0x7f800000, v103
	s_delay_alu instid0(VALU_DEP_1) | instskip(SKIP_1) | instid1(SALU_CYCLE_1)
	v_cmp_ne_u32_e32 vcc_lo, 0x7f800000, v112
                                        ; implicit-def: $vgpr112
	s_and_saveexec_b32 s0, vcc_lo
	s_xor_b32 s0, exec_lo, s0
; %bb.40:                               ;   in Loop: Header=BB69_6 Depth=1
	v_bfe_u32 v112, v103, 16, 1
	s_delay_alu instid0(VALU_DEP_1)
	v_add3_u32 v112, v103, v112, 0x7fff
; %bb.41:                               ;   in Loop: Header=BB69_6 Depth=1
	s_and_not1_saveexec_b32 s0, s0
; %bb.42:                               ;   in Loop: Header=BB69_6 Depth=1
	v_and_b32_e32 v112, 0xffff, v103
	v_or_b32_e32 v113, 0x10000, v103
	s_delay_alu instid0(VALU_DEP_2) | instskip(NEXT) | instid1(VALU_DEP_2)
	v_cmp_eq_u32_e32 vcc_lo, 0, v112
	v_cndmask_b32_e32 v112, v113, v103, vcc_lo
; %bb.43:                               ;   in Loop: Header=BB69_6 Depth=1
	s_or_b32 exec_lo, exec_lo, s0
	v_and_b32_e32 v103, 0x7f800000, v104
	s_delay_alu instid0(VALU_DEP_1) | instskip(SKIP_1) | instid1(SALU_CYCLE_1)
	v_cmp_ne_u32_e32 vcc_lo, 0x7f800000, v103
                                        ; implicit-def: $vgpr103
	s_and_saveexec_b32 s0, vcc_lo
	s_xor_b32 s0, exec_lo, s0
; %bb.44:                               ;   in Loop: Header=BB69_6 Depth=1
	v_bfe_u32 v103, v104, 16, 1
	s_delay_alu instid0(VALU_DEP_1)
	v_add3_u32 v103, v104, v103, 0x7fff
                                        ; implicit-def: $vgpr104
; %bb.45:                               ;   in Loop: Header=BB69_6 Depth=1
	s_and_not1_saveexec_b32 s0, s0
; %bb.46:                               ;   in Loop: Header=BB69_6 Depth=1
	v_and_b32_e32 v103, 0xffff, v104
	v_or_b32_e32 v113, 0x10000, v104
	s_delay_alu instid0(VALU_DEP_2) | instskip(NEXT) | instid1(VALU_DEP_2)
	v_cmp_eq_u32_e32 vcc_lo, 0, v103
	v_cndmask_b32_e32 v103, v113, v104, vcc_lo
; %bb.47:                               ;   in Loop: Header=BB69_6 Depth=1
	s_or_b32 exec_lo, exec_lo, s0
	v_and_b32_e32 v104, 0x7f800000, v101
	s_delay_alu instid0(VALU_DEP_2)
	v_perm_b32 v103, v103, v112, 0x7060302
	s_mov_b32 s0, exec_lo
	ds_store_b32 v109, v103
                                        ; implicit-def: $vgpr103
	v_cmpx_ne_u32_e32 0x7f800000, v104
	s_xor_b32 s0, exec_lo, s0
; %bb.48:                               ;   in Loop: Header=BB69_6 Depth=1
	v_bfe_u32 v103, v101, 16, 1
	s_delay_alu instid0(VALU_DEP_1)
	v_add3_u32 v103, v101, v103, 0x7fff
; %bb.49:                               ;   in Loop: Header=BB69_6 Depth=1
	s_and_not1_saveexec_b32 s0, s0
; %bb.50:                               ;   in Loop: Header=BB69_6 Depth=1
	v_and_b32_e32 v103, 0xffff, v101
	v_or_b32_e32 v104, 0x10000, v101
	s_delay_alu instid0(VALU_DEP_2) | instskip(NEXT) | instid1(VALU_DEP_2)
	v_cmp_eq_u32_e32 vcc_lo, 0, v103
	v_cndmask_b32_e32 v103, v104, v101, vcc_lo
; %bb.51:                               ;   in Loop: Header=BB69_6 Depth=1
	s_or_b32 exec_lo, exec_lo, s0
	v_and_b32_e32 v101, 0x7f800000, v102
	s_delay_alu instid0(VALU_DEP_1) | instskip(SKIP_1) | instid1(SALU_CYCLE_1)
	v_cmp_ne_u32_e32 vcc_lo, 0x7f800000, v101
                                        ; implicit-def: $vgpr101
	s_and_saveexec_b32 s0, vcc_lo
	s_xor_b32 s0, exec_lo, s0
; %bb.52:                               ;   in Loop: Header=BB69_6 Depth=1
	v_bfe_u32 v101, v102, 16, 1
	s_delay_alu instid0(VALU_DEP_1)
	v_add3_u32 v101, v102, v101, 0x7fff
                                        ; implicit-def: $vgpr102
; %bb.53:                               ;   in Loop: Header=BB69_6 Depth=1
	s_and_not1_saveexec_b32 s0, s0
; %bb.54:                               ;   in Loop: Header=BB69_6 Depth=1
	v_and_b32_e32 v101, 0xffff, v102
	v_or_b32_e32 v104, 0x10000, v102
	s_delay_alu instid0(VALU_DEP_2) | instskip(NEXT) | instid1(VALU_DEP_2)
	v_cmp_eq_u32_e32 vcc_lo, 0, v101
	v_cndmask_b32_e32 v101, v104, v102, vcc_lo
; %bb.55:                               ;   in Loop: Header=BB69_6 Depth=1
	s_or_b32 exec_lo, exec_lo, s0
	v_and_b32_e32 v102, 0x7f800000, v97
	s_delay_alu instid0(VALU_DEP_2)
	v_perm_b32 v101, v101, v103, 0x7060302
	s_mov_b32 s0, exec_lo
	ds_store_b32 v109, v101 offset:144
                                        ; implicit-def: $vgpr101
	v_cmpx_ne_u32_e32 0x7f800000, v102
	s_xor_b32 s0, exec_lo, s0
; %bb.56:                               ;   in Loop: Header=BB69_6 Depth=1
	v_bfe_u32 v101, v97, 16, 1
	s_delay_alu instid0(VALU_DEP_1)
	v_add3_u32 v101, v97, v101, 0x7fff
; %bb.57:                               ;   in Loop: Header=BB69_6 Depth=1
	s_and_not1_saveexec_b32 s0, s0
; %bb.58:                               ;   in Loop: Header=BB69_6 Depth=1
	v_and_b32_e32 v101, 0xffff, v97
	v_or_b32_e32 v102, 0x10000, v97
	s_delay_alu instid0(VALU_DEP_2) | instskip(NEXT) | instid1(VALU_DEP_2)
	v_cmp_eq_u32_e32 vcc_lo, 0, v101
	v_cndmask_b32_e32 v101, v102, v97, vcc_lo
; %bb.59:                               ;   in Loop: Header=BB69_6 Depth=1
	s_or_b32 exec_lo, exec_lo, s0
	v_and_b32_e32 v97, 0x7f800000, v98
	s_delay_alu instid0(VALU_DEP_1) | instskip(SKIP_1) | instid1(SALU_CYCLE_1)
	v_cmp_ne_u32_e32 vcc_lo, 0x7f800000, v97
                                        ; implicit-def: $vgpr97
	s_and_saveexec_b32 s0, vcc_lo
	s_xor_b32 s0, exec_lo, s0
; %bb.60:                               ;   in Loop: Header=BB69_6 Depth=1
	v_bfe_u32 v97, v98, 16, 1
	s_delay_alu instid0(VALU_DEP_1)
	v_add3_u32 v97, v98, v97, 0x7fff
                                        ; implicit-def: $vgpr98
; %bb.61:                               ;   in Loop: Header=BB69_6 Depth=1
	s_and_not1_saveexec_b32 s0, s0
; %bb.62:                               ;   in Loop: Header=BB69_6 Depth=1
	v_and_b32_e32 v97, 0xffff, v98
	v_or_b32_e32 v102, 0x10000, v98
	s_delay_alu instid0(VALU_DEP_2) | instskip(NEXT) | instid1(VALU_DEP_2)
	v_cmp_eq_u32_e32 vcc_lo, 0, v97
	v_cndmask_b32_e32 v97, v102, v98, vcc_lo
; %bb.63:                               ;   in Loop: Header=BB69_6 Depth=1
	s_or_b32 exec_lo, exec_lo, s0
	v_and_b32_e32 v98, 0x7f800000, v99
	s_delay_alu instid0(VALU_DEP_2)
	v_perm_b32 v97, v97, v101, 0x7060302
	s_mov_b32 s0, exec_lo
	ds_store_b32 v109, v97 offset:288
                                        ; implicit-def: $vgpr97
	v_cmpx_ne_u32_e32 0x7f800000, v98
	s_xor_b32 s0, exec_lo, s0
; %bb.64:                               ;   in Loop: Header=BB69_6 Depth=1
	v_bfe_u32 v97, v99, 16, 1
	s_delay_alu instid0(VALU_DEP_1)
	v_add3_u32 v97, v99, v97, 0x7fff
; %bb.65:                               ;   in Loop: Header=BB69_6 Depth=1
	s_and_not1_saveexec_b32 s0, s0
; %bb.66:                               ;   in Loop: Header=BB69_6 Depth=1
	v_and_b32_e32 v97, 0xffff, v99
	v_or_b32_e32 v98, 0x10000, v99
	s_delay_alu instid0(VALU_DEP_2) | instskip(NEXT) | instid1(VALU_DEP_2)
	v_cmp_eq_u32_e32 vcc_lo, 0, v97
	v_cndmask_b32_e32 v97, v98, v99, vcc_lo
; %bb.67:                               ;   in Loop: Header=BB69_6 Depth=1
	s_or_b32 exec_lo, exec_lo, s0
	v_and_b32_e32 v98, 0x7f800000, v100
	s_delay_alu instid0(VALU_DEP_1) | instskip(SKIP_1) | instid1(SALU_CYCLE_1)
	v_cmp_ne_u32_e32 vcc_lo, 0x7f800000, v98
                                        ; implicit-def: $vgpr98
	s_and_saveexec_b32 s0, vcc_lo
	s_xor_b32 s0, exec_lo, s0
; %bb.68:                               ;   in Loop: Header=BB69_6 Depth=1
	v_bfe_u32 v98, v100, 16, 1
	s_delay_alu instid0(VALU_DEP_1)
	v_add3_u32 v98, v100, v98, 0x7fff
                                        ; implicit-def: $vgpr100
; %bb.69:                               ;   in Loop: Header=BB69_6 Depth=1
	s_and_not1_saveexec_b32 s0, s0
; %bb.70:                               ;   in Loop: Header=BB69_6 Depth=1
	v_and_b32_e32 v98, 0xffff, v100
	v_or_b32_e32 v99, 0x10000, v100
	s_delay_alu instid0(VALU_DEP_2) | instskip(NEXT) | instid1(VALU_DEP_2)
	v_cmp_eq_u32_e32 vcc_lo, 0, v98
	v_cndmask_b32_e32 v98, v99, v100, vcc_lo
; %bb.71:                               ;   in Loop: Header=BB69_6 Depth=1
	s_or_b32 exec_lo, exec_lo, s0
	v_and_b32_e32 v99, 0x7f800000, v93
	s_delay_alu instid0(VALU_DEP_2)
	v_perm_b32 v97, v98, v97, 0x7060302
	s_mov_b32 s0, exec_lo
	ds_store_b32 v109, v97 offset:432
                                        ; implicit-def: $vgpr97
	v_cmpx_ne_u32_e32 0x7f800000, v99
	s_xor_b32 s0, exec_lo, s0
; %bb.72:                               ;   in Loop: Header=BB69_6 Depth=1
	v_bfe_u32 v97, v93, 16, 1
	s_delay_alu instid0(VALU_DEP_1)
	v_add3_u32 v97, v93, v97, 0x7fff
; %bb.73:                               ;   in Loop: Header=BB69_6 Depth=1
	s_and_not1_saveexec_b32 s0, s0
; %bb.74:                               ;   in Loop: Header=BB69_6 Depth=1
	v_and_b32_e32 v97, 0xffff, v93
	v_or_b32_e32 v98, 0x10000, v93
	s_delay_alu instid0(VALU_DEP_2) | instskip(NEXT) | instid1(VALU_DEP_2)
	v_cmp_eq_u32_e32 vcc_lo, 0, v97
	v_cndmask_b32_e32 v97, v98, v93, vcc_lo
; %bb.75:                               ;   in Loop: Header=BB69_6 Depth=1
	s_or_b32 exec_lo, exec_lo, s0
	v_and_b32_e32 v93, 0x7f800000, v94
	s_delay_alu instid0(VALU_DEP_1) | instskip(SKIP_1) | instid1(SALU_CYCLE_1)
	v_cmp_ne_u32_e32 vcc_lo, 0x7f800000, v93
                                        ; implicit-def: $vgpr93
	s_and_saveexec_b32 s0, vcc_lo
	s_xor_b32 s0, exec_lo, s0
; %bb.76:                               ;   in Loop: Header=BB69_6 Depth=1
	v_bfe_u32 v93, v94, 16, 1
	s_delay_alu instid0(VALU_DEP_1)
	v_add3_u32 v93, v94, v93, 0x7fff
                                        ; implicit-def: $vgpr94
; %bb.77:                               ;   in Loop: Header=BB69_6 Depth=1
	s_and_not1_saveexec_b32 s0, s0
; %bb.78:                               ;   in Loop: Header=BB69_6 Depth=1
	v_and_b32_e32 v93, 0xffff, v94
	v_or_b32_e32 v98, 0x10000, v94
	s_delay_alu instid0(VALU_DEP_2) | instskip(NEXT) | instid1(VALU_DEP_2)
	v_cmp_eq_u32_e32 vcc_lo, 0, v93
	v_cndmask_b32_e32 v93, v98, v94, vcc_lo
; %bb.79:                               ;   in Loop: Header=BB69_6 Depth=1
	s_or_b32 exec_lo, exec_lo, s0
	v_and_b32_e32 v94, 0x7f800000, v95
	s_delay_alu instid0(VALU_DEP_2)
	v_perm_b32 v93, v93, v97, 0x7060302
	s_mov_b32 s0, exec_lo
	ds_store_b32 v109, v93 offset:576
                                        ; implicit-def: $vgpr93
	v_cmpx_ne_u32_e32 0x7f800000, v94
	s_xor_b32 s0, exec_lo, s0
; %bb.80:                               ;   in Loop: Header=BB69_6 Depth=1
	v_bfe_u32 v93, v95, 16, 1
	s_delay_alu instid0(VALU_DEP_1)
	v_add3_u32 v93, v95, v93, 0x7fff
; %bb.81:                               ;   in Loop: Header=BB69_6 Depth=1
	s_and_not1_saveexec_b32 s0, s0
; %bb.82:                               ;   in Loop: Header=BB69_6 Depth=1
	v_and_b32_e32 v93, 0xffff, v95
	v_or_b32_e32 v94, 0x10000, v95
	s_delay_alu instid0(VALU_DEP_2) | instskip(NEXT) | instid1(VALU_DEP_2)
	v_cmp_eq_u32_e32 vcc_lo, 0, v93
	v_cndmask_b32_e32 v93, v94, v95, vcc_lo
; %bb.83:                               ;   in Loop: Header=BB69_6 Depth=1
	s_or_b32 exec_lo, exec_lo, s0
	v_and_b32_e32 v94, 0x7f800000, v96
	s_delay_alu instid0(VALU_DEP_1) | instskip(SKIP_1) | instid1(SALU_CYCLE_1)
	v_cmp_ne_u32_e32 vcc_lo, 0x7f800000, v94
                                        ; implicit-def: $vgpr94
	s_and_saveexec_b32 s0, vcc_lo
	s_xor_b32 s0, exec_lo, s0
; %bb.84:                               ;   in Loop: Header=BB69_6 Depth=1
	v_bfe_u32 v94, v96, 16, 1
	s_delay_alu instid0(VALU_DEP_1)
	v_add3_u32 v94, v96, v94, 0x7fff
                                        ; implicit-def: $vgpr96
; %bb.85:                               ;   in Loop: Header=BB69_6 Depth=1
	s_and_not1_saveexec_b32 s0, s0
; %bb.86:                               ;   in Loop: Header=BB69_6 Depth=1
	v_and_b32_e32 v94, 0xffff, v96
	v_or_b32_e32 v95, 0x10000, v96
	s_delay_alu instid0(VALU_DEP_2) | instskip(NEXT) | instid1(VALU_DEP_2)
	v_cmp_eq_u32_e32 vcc_lo, 0, v94
	v_cndmask_b32_e32 v94, v95, v96, vcc_lo
; %bb.87:                               ;   in Loop: Header=BB69_6 Depth=1
	s_or_b32 exec_lo, exec_lo, s0
	v_and_b32_e32 v95, 0x7f800000, v89
	s_delay_alu instid0(VALU_DEP_2)
	v_perm_b32 v93, v94, v93, 0x7060302
	s_mov_b32 s0, exec_lo
	ds_store_b32 v109, v93 offset:720
                                        ; implicit-def: $vgpr93
	v_cmpx_ne_u32_e32 0x7f800000, v95
	s_xor_b32 s0, exec_lo, s0
; %bb.88:                               ;   in Loop: Header=BB69_6 Depth=1
	v_bfe_u32 v93, v89, 16, 1
	s_delay_alu instid0(VALU_DEP_1)
	v_add3_u32 v93, v89, v93, 0x7fff
; %bb.89:                               ;   in Loop: Header=BB69_6 Depth=1
	s_and_not1_saveexec_b32 s0, s0
; %bb.90:                               ;   in Loop: Header=BB69_6 Depth=1
	v_and_b32_e32 v93, 0xffff, v89
	v_or_b32_e32 v94, 0x10000, v89
	s_delay_alu instid0(VALU_DEP_2) | instskip(NEXT) | instid1(VALU_DEP_2)
	v_cmp_eq_u32_e32 vcc_lo, 0, v93
	v_cndmask_b32_e32 v93, v94, v89, vcc_lo
; %bb.91:                               ;   in Loop: Header=BB69_6 Depth=1
	s_or_b32 exec_lo, exec_lo, s0
	v_and_b32_e32 v89, 0x7f800000, v90
	s_delay_alu instid0(VALU_DEP_1) | instskip(SKIP_1) | instid1(SALU_CYCLE_1)
	v_cmp_ne_u32_e32 vcc_lo, 0x7f800000, v89
                                        ; implicit-def: $vgpr89
	s_and_saveexec_b32 s0, vcc_lo
	s_xor_b32 s0, exec_lo, s0
; %bb.92:                               ;   in Loop: Header=BB69_6 Depth=1
	v_bfe_u32 v89, v90, 16, 1
	s_delay_alu instid0(VALU_DEP_1)
	v_add3_u32 v89, v90, v89, 0x7fff
                                        ; implicit-def: $vgpr90
; %bb.93:                               ;   in Loop: Header=BB69_6 Depth=1
	s_and_not1_saveexec_b32 s0, s0
; %bb.94:                               ;   in Loop: Header=BB69_6 Depth=1
	v_and_b32_e32 v89, 0xffff, v90
	v_or_b32_e32 v94, 0x10000, v90
	s_delay_alu instid0(VALU_DEP_2) | instskip(NEXT) | instid1(VALU_DEP_2)
	v_cmp_eq_u32_e32 vcc_lo, 0, v89
	v_cndmask_b32_e32 v89, v94, v90, vcc_lo
; %bb.95:                               ;   in Loop: Header=BB69_6 Depth=1
	s_or_b32 exec_lo, exec_lo, s0
	v_and_b32_e32 v90, 0x7f800000, v91
	s_delay_alu instid0(VALU_DEP_2)
	v_perm_b32 v89, v89, v93, 0x7060302
	s_mov_b32 s0, exec_lo
	ds_store_b32 v109, v89 offset:864
                                        ; implicit-def: $vgpr89
	v_cmpx_ne_u32_e32 0x7f800000, v90
	s_xor_b32 s0, exec_lo, s0
; %bb.96:                               ;   in Loop: Header=BB69_6 Depth=1
	v_bfe_u32 v89, v91, 16, 1
	s_delay_alu instid0(VALU_DEP_1)
	v_add3_u32 v89, v91, v89, 0x7fff
; %bb.97:                               ;   in Loop: Header=BB69_6 Depth=1
	s_and_not1_saveexec_b32 s0, s0
; %bb.98:                               ;   in Loop: Header=BB69_6 Depth=1
	v_and_b32_e32 v89, 0xffff, v91
	v_or_b32_e32 v90, 0x10000, v91
	s_delay_alu instid0(VALU_DEP_2) | instskip(NEXT) | instid1(VALU_DEP_2)
	v_cmp_eq_u32_e32 vcc_lo, 0, v89
	v_cndmask_b32_e32 v89, v90, v91, vcc_lo
; %bb.99:                               ;   in Loop: Header=BB69_6 Depth=1
	s_or_b32 exec_lo, exec_lo, s0
	v_and_b32_e32 v90, 0x7f800000, v92
	s_delay_alu instid0(VALU_DEP_1) | instskip(SKIP_1) | instid1(SALU_CYCLE_1)
	v_cmp_ne_u32_e32 vcc_lo, 0x7f800000, v90
                                        ; implicit-def: $vgpr90
	s_and_saveexec_b32 s0, vcc_lo
	s_xor_b32 s0, exec_lo, s0
; %bb.100:                              ;   in Loop: Header=BB69_6 Depth=1
	v_bfe_u32 v90, v92, 16, 1
	s_delay_alu instid0(VALU_DEP_1)
	v_add3_u32 v90, v92, v90, 0x7fff
                                        ; implicit-def: $vgpr92
; %bb.101:                              ;   in Loop: Header=BB69_6 Depth=1
	s_and_not1_saveexec_b32 s0, s0
; %bb.102:                              ;   in Loop: Header=BB69_6 Depth=1
	v_and_b32_e32 v90, 0xffff, v92
	v_or_b32_e32 v91, 0x10000, v92
	s_delay_alu instid0(VALU_DEP_2) | instskip(NEXT) | instid1(VALU_DEP_2)
	v_cmp_eq_u32_e32 vcc_lo, 0, v90
	v_cndmask_b32_e32 v90, v91, v92, vcc_lo
; %bb.103:                              ;   in Loop: Header=BB69_6 Depth=1
	s_or_b32 exec_lo, exec_lo, s0
	v_and_b32_e32 v91, 0x7f800000, v85
	s_delay_alu instid0(VALU_DEP_2)
	v_perm_b32 v89, v90, v89, 0x7060302
	s_mov_b32 s0, exec_lo
	ds_store_b32 v109, v89 offset:1008
                                        ; implicit-def: $vgpr89
	v_cmpx_ne_u32_e32 0x7f800000, v91
	s_xor_b32 s0, exec_lo, s0
; %bb.104:                              ;   in Loop: Header=BB69_6 Depth=1
	v_bfe_u32 v89, v85, 16, 1
	s_delay_alu instid0(VALU_DEP_1)
	v_add3_u32 v89, v85, v89, 0x7fff
; %bb.105:                              ;   in Loop: Header=BB69_6 Depth=1
	s_and_not1_saveexec_b32 s0, s0
; %bb.106:                              ;   in Loop: Header=BB69_6 Depth=1
	v_and_b32_e32 v89, 0xffff, v85
	v_or_b32_e32 v90, 0x10000, v85
	s_delay_alu instid0(VALU_DEP_2) | instskip(NEXT) | instid1(VALU_DEP_2)
	v_cmp_eq_u32_e32 vcc_lo, 0, v89
	v_cndmask_b32_e32 v89, v90, v85, vcc_lo
; %bb.107:                              ;   in Loop: Header=BB69_6 Depth=1
	s_or_b32 exec_lo, exec_lo, s0
	v_and_b32_e32 v85, 0x7f800000, v86
	s_delay_alu instid0(VALU_DEP_1) | instskip(SKIP_1) | instid1(SALU_CYCLE_1)
	v_cmp_ne_u32_e32 vcc_lo, 0x7f800000, v85
                                        ; implicit-def: $vgpr85
	s_and_saveexec_b32 s0, vcc_lo
	s_xor_b32 s0, exec_lo, s0
; %bb.108:                              ;   in Loop: Header=BB69_6 Depth=1
	v_bfe_u32 v85, v86, 16, 1
	s_delay_alu instid0(VALU_DEP_1)
	v_add3_u32 v85, v86, v85, 0x7fff
                                        ; implicit-def: $vgpr86
; %bb.109:                              ;   in Loop: Header=BB69_6 Depth=1
	s_and_not1_saveexec_b32 s0, s0
; %bb.110:                              ;   in Loop: Header=BB69_6 Depth=1
	v_and_b32_e32 v85, 0xffff, v86
	v_or_b32_e32 v90, 0x10000, v86
	s_delay_alu instid0(VALU_DEP_2) | instskip(NEXT) | instid1(VALU_DEP_2)
	v_cmp_eq_u32_e32 vcc_lo, 0, v85
	v_cndmask_b32_e32 v85, v90, v86, vcc_lo
; %bb.111:                              ;   in Loop: Header=BB69_6 Depth=1
	s_or_b32 exec_lo, exec_lo, s0
	v_and_b32_e32 v86, 0x7f800000, v87
	s_delay_alu instid0(VALU_DEP_2)
	v_perm_b32 v85, v85, v89, 0x7060302
	s_mov_b32 s0, exec_lo
	ds_store_b32 v109, v85 offset:1152
                                        ; implicit-def: $vgpr85
	v_cmpx_ne_u32_e32 0x7f800000, v86
	s_xor_b32 s0, exec_lo, s0
; %bb.112:                              ;   in Loop: Header=BB69_6 Depth=1
	v_bfe_u32 v85, v87, 16, 1
	s_delay_alu instid0(VALU_DEP_1)
	v_add3_u32 v85, v87, v85, 0x7fff
; %bb.113:                              ;   in Loop: Header=BB69_6 Depth=1
	s_and_not1_saveexec_b32 s0, s0
; %bb.114:                              ;   in Loop: Header=BB69_6 Depth=1
	v_and_b32_e32 v85, 0xffff, v87
	v_or_b32_e32 v86, 0x10000, v87
	s_delay_alu instid0(VALU_DEP_2) | instskip(NEXT) | instid1(VALU_DEP_2)
	v_cmp_eq_u32_e32 vcc_lo, 0, v85
	v_cndmask_b32_e32 v85, v86, v87, vcc_lo
; %bb.115:                              ;   in Loop: Header=BB69_6 Depth=1
	s_or_b32 exec_lo, exec_lo, s0
	v_and_b32_e32 v86, 0x7f800000, v88
	s_delay_alu instid0(VALU_DEP_1) | instskip(SKIP_1) | instid1(SALU_CYCLE_1)
	v_cmp_ne_u32_e32 vcc_lo, 0x7f800000, v86
                                        ; implicit-def: $vgpr86
	s_and_saveexec_b32 s0, vcc_lo
	s_xor_b32 s0, exec_lo, s0
; %bb.116:                              ;   in Loop: Header=BB69_6 Depth=1
	v_bfe_u32 v86, v88, 16, 1
	s_delay_alu instid0(VALU_DEP_1)
	v_add3_u32 v86, v88, v86, 0x7fff
                                        ; implicit-def: $vgpr88
; %bb.117:                              ;   in Loop: Header=BB69_6 Depth=1
	s_and_not1_saveexec_b32 s0, s0
; %bb.118:                              ;   in Loop: Header=BB69_6 Depth=1
	v_and_b32_e32 v86, 0xffff, v88
	v_or_b32_e32 v87, 0x10000, v88
	s_delay_alu instid0(VALU_DEP_2) | instskip(NEXT) | instid1(VALU_DEP_2)
	v_cmp_eq_u32_e32 vcc_lo, 0, v86
	v_cndmask_b32_e32 v86, v87, v88, vcc_lo
; %bb.119:                              ;   in Loop: Header=BB69_6 Depth=1
	s_or_b32 exec_lo, exec_lo, s0
	v_and_b32_e32 v87, 0x7f800000, v83
	s_delay_alu instid0(VALU_DEP_2)
	v_perm_b32 v85, v86, v85, 0x7060302
	s_mov_b32 s0, exec_lo
	ds_store_b32 v109, v85 offset:1296
                                        ; implicit-def: $vgpr85
	v_cmpx_ne_u32_e32 0x7f800000, v87
	s_xor_b32 s0, exec_lo, s0
; %bb.120:                              ;   in Loop: Header=BB69_6 Depth=1
	v_bfe_u32 v85, v83, 16, 1
	s_delay_alu instid0(VALU_DEP_1)
	v_add3_u32 v85, v83, v85, 0x7fff
; %bb.121:                              ;   in Loop: Header=BB69_6 Depth=1
	s_and_not1_saveexec_b32 s0, s0
; %bb.122:                              ;   in Loop: Header=BB69_6 Depth=1
	v_and_b32_e32 v85, 0xffff, v83
	v_or_b32_e32 v86, 0x10000, v83
	s_delay_alu instid0(VALU_DEP_2) | instskip(NEXT) | instid1(VALU_DEP_2)
	v_cmp_eq_u32_e32 vcc_lo, 0, v85
	v_cndmask_b32_e32 v85, v86, v83, vcc_lo
; %bb.123:                              ;   in Loop: Header=BB69_6 Depth=1
	s_or_b32 exec_lo, exec_lo, s0
	v_and_b32_e32 v83, 0x7f800000, v84
	s_delay_alu instid0(VALU_DEP_1) | instskip(SKIP_1) | instid1(SALU_CYCLE_1)
	v_cmp_ne_u32_e32 vcc_lo, 0x7f800000, v83
                                        ; implicit-def: $vgpr83
	s_and_saveexec_b32 s0, vcc_lo
	s_xor_b32 s0, exec_lo, s0
; %bb.124:                              ;   in Loop: Header=BB69_6 Depth=1
	v_bfe_u32 v83, v84, 16, 1
	s_delay_alu instid0(VALU_DEP_1)
	v_add3_u32 v83, v84, v83, 0x7fff
                                        ; implicit-def: $vgpr84
; %bb.125:                              ;   in Loop: Header=BB69_6 Depth=1
	s_and_not1_saveexec_b32 s0, s0
	s_cbranch_execz .LBB69_5
; %bb.126:                              ;   in Loop: Header=BB69_6 Depth=1
	v_and_b32_e32 v83, 0xffff, v84
	v_or_b32_e32 v86, 0x10000, v84
	s_delay_alu instid0(VALU_DEP_2) | instskip(NEXT) | instid1(VALU_DEP_2)
	v_cmp_eq_u32_e32 vcc_lo, 0, v83
	v_cndmask_b32_e32 v83, v86, v84, vcc_lo
	s_branch .LBB69_5
.LBB69_127:
	s_or_b32 exec_lo, exec_lo, s41
.LBB69_128:
	s_delay_alu instid0(SALU_CYCLE_1)
	s_or_b32 exec_lo, exec_lo, s36
	v_lshrrev_b32_e32 v16, 2, v106
	v_mad_u32_u24 v17, 0x390, v108, 0
	v_lshlrev_b32_e32 v18, 2, v107
	s_waitcnt lgkmcnt(0)
	s_barrier
	v_and_b32_e32 v16, 0xfc, v16
	buffer_gl0_inv
	s_lshl_b64 s[4:5], s[30:31], 2
	v_cmp_gt_u32_e64 s0, 11, v105
	s_add_u32 s1, s34, s4
	v_add3_u32 v16, v17, v16, v18
	s_addc_u32 s3, s35, s5
	s_cmp_gt_i32 s10, 0
	ds_store_2addr_b32 v16, v8, v9 offset1:2
	ds_store_2addr_b32 v16, v10, v11 offset0:4 offset1:6
	ds_store_2addr_b32 v16, v12, v13 offset0:8 offset1:10
	;; [unrolled: 1-line block ×6, first 2 shown]
	v_add_nc_u32_e32 v0, s2, v105
	s_cselect_b32 s4, -1, 0
	v_lshl_add_u32 v3, v106, 2, 0
	v_add_nc_u32_e32 v2, s7, v106
	v_mul_u32_u24_e32 v4, 0x390, v105
	v_cmp_gt_i32_e32 vcc_lo, s33, v0
	ds_store_2addr_b32 v16, v6, v7 offset0:28 offset1:30
	s_waitcnt lgkmcnt(0)
	s_barrier
	buffer_gl0_inv
	s_and_b32 s5, s4, vcc_lo
	s_delay_alu instid0(SALU_CYCLE_1) | instskip(NEXT) | instid1(SALU_CYCLE_1)
	s_and_b32 s5, s0, s5
	s_and_saveexec_b32 s0, s5
	s_cbranch_execz .LBB69_131
; %bb.129:
	v_ashrrev_i32_e32 v1, 31, v0
	s_delay_alu instid0(VALU_DEP_1) | instskip(NEXT) | instid1(VALU_DEP_1)
	v_lshlrev_b64 v[5:6], 2, v[0:1]
	v_add_co_u32 v5, vcc_lo, s1, v5
	s_delay_alu instid0(VALU_DEP_2) | instskip(SKIP_3) | instid1(VALU_DEP_1)
	v_add_co_ci_u32_e32 v6, vcc_lo, s3, v6, vcc_lo
	global_load_b32 v5, v[5:6], off
	s_waitcnt vmcnt(0)
	v_mul_hi_u32 v1, v5, s19
	v_add_nc_u32_e32 v1, v5, v1
	s_delay_alu instid0(VALU_DEP_1) | instskip(NEXT) | instid1(VALU_DEP_1)
	v_lshrrev_b32_e32 v1, s26, v1
	v_cmp_gt_i32_e32 vcc_lo, s9, v1
	s_and_b32 exec_lo, exec_lo, vcc_lo
	s_cbranch_execz .LBB69_131
; %bb.130:
	v_add_nc_u32_e32 v12, v3, v4
	v_mul_lo_u32 v13, v1, s27
	v_mul_lo_u32 v1, v1, s25
	ds_load_2addr_b32 v[6:7], v12 offset1:32
	ds_load_2addr_b32 v[8:9], v12 offset0:64 offset1:96
	ds_load_2addr_b32 v[10:11], v12 offset0:128 offset1:160
	v_sub_nc_u32_e32 v5, v5, v13
	s_delay_alu instid0(VALU_DEP_1) | instskip(NEXT) | instid1(VALU_DEP_1)
	v_mul_lo_u32 v5, v5, s6
	v_add3_u32 v5, v2, v1, v5
	s_waitcnt lgkmcnt(2)
	v_add_f32_e32 v6, 0, v6
	s_delay_alu instid0(VALU_DEP_1) | instskip(SKIP_1) | instid1(VALU_DEP_1)
	v_add_f32_e32 v6, v6, v7
	s_waitcnt lgkmcnt(1)
	v_add_f32_e32 v6, v6, v8
	s_delay_alu instid0(VALU_DEP_1) | instskip(SKIP_2) | instid1(VALU_DEP_2)
	v_add_f32_e32 v8, v6, v9
	v_mov_b32_e32 v6, 0
	s_waitcnt lgkmcnt(0)
	v_add_f32_e32 v8, v8, v10
	s_delay_alu instid0(VALU_DEP_2) | instskip(NEXT) | instid1(VALU_DEP_2)
	v_lshlrev_b64 v[5:6], 2, v[5:6]
	v_add_f32_e32 v1, v8, v11
	ds_load_b32 v7, v12 offset:768
	v_add_co_u32 v5, vcc_lo, s28, v5
	v_add_co_ci_u32_e32 v6, vcc_lo, s29, v6, vcc_lo
	s_waitcnt lgkmcnt(0)
	v_add_f32_e32 v1, v1, v7
	global_store_b32 v[5:6], v1, off
.LBB69_131:
	s_or_b32 exec_lo, exec_lo, s0
	s_delay_alu instid0(SALU_CYCLE_1)
	s_mov_b32 s0, exec_lo
	v_cmpx_gt_u32_e32 4, v105
	s_cbranch_execz .LBB69_135
; %bb.132:
	v_add_nc_u32_e32 v0, 7, v0
	s_delay_alu instid0(VALU_DEP_1) | instskip(SKIP_1) | instid1(SALU_CYCLE_1)
	v_cmp_gt_i32_e32 vcc_lo, s33, v0
	s_and_b32 s0, s4, vcc_lo
	s_and_b32 exec_lo, exec_lo, s0
	s_cbranch_execz .LBB69_135
; %bb.133:
	s_ashr_i32 s0, s2, 31
	v_add_co_u32 v0, s2, v105, s2
	s_delay_alu instid0(VALU_DEP_1) | instskip(NEXT) | instid1(VALU_DEP_1)
	v_add_co_ci_u32_e64 v1, null, 0, s0, s2
	v_lshlrev_b64 v[0:1], 2, v[0:1]
	s_delay_alu instid0(VALU_DEP_1) | instskip(NEXT) | instid1(VALU_DEP_2)
	v_add_co_u32 v0, vcc_lo, s1, v0
	v_add_co_ci_u32_e32 v1, vcc_lo, s3, v1, vcc_lo
	global_load_b32 v5, v[0:1], off offset:28
	v_mov_b32_e32 v1, 0
	s_waitcnt vmcnt(0)
	v_mul_hi_u32 v0, v5, s19
	s_delay_alu instid0(VALU_DEP_1) | instskip(NEXT) | instid1(VALU_DEP_1)
	v_add_nc_u32_e32 v0, v5, v0
	v_lshrrev_b32_e32 v0, s26, v0
	s_delay_alu instid0(VALU_DEP_1)
	v_cmp_gt_i32_e32 vcc_lo, s9, v0
	s_and_b32 exec_lo, exec_lo, vcc_lo
	s_cbranch_execz .LBB69_135
; %bb.134:
	v_add_nc_u32_e32 v10, v4, v3
	v_mul_lo_u32 v11, v0, s27
	v_mul_lo_u32 v0, v0, s25
	s_delay_alu instid0(VALU_DEP_3)
	v_add_nc_u32_e32 v8, 0x1800, v10
	ds_load_2addr_b32 v[3:4], v8 offset0:60 offset1:92
	ds_load_2addr_b32 v[6:7], v8 offset0:124 offset1:156
	s_waitcnt lgkmcnt(1)
	v_add_f32_e32 v3, 0, v3
	ds_load_2addr_b32 v[8:9], v8 offset0:188 offset1:220
	v_add_f32_e32 v3, v3, v4
	v_sub_nc_u32_e32 v4, v5, v11
	ds_load_b32 v5, v10 offset:7152
	s_waitcnt lgkmcnt(2)
	v_add_f32_e32 v3, v3, v6
	v_mul_lo_u32 v4, v4, s6
	s_delay_alu instid0(VALU_DEP_2) | instskip(NEXT) | instid1(VALU_DEP_2)
	v_add_f32_e32 v3, v3, v7
	v_add3_u32 v0, v2, v0, v4
	s_waitcnt lgkmcnt(1)
	s_delay_alu instid0(VALU_DEP_2) | instskip(NEXT) | instid1(VALU_DEP_2)
	v_add_f32_e32 v3, v3, v8
	v_lshlrev_b64 v[0:1], 2, v[0:1]
	s_delay_alu instid0(VALU_DEP_2) | instskip(NEXT) | instid1(VALU_DEP_2)
	v_add_f32_e32 v2, v3, v9
	v_add_co_u32 v0, vcc_lo, s28, v0
	s_waitcnt lgkmcnt(0)
	s_delay_alu instid0(VALU_DEP_2) | instskip(NEXT) | instid1(VALU_DEP_4)
	v_add_f32_e32 v2, v2, v5
	v_add_co_ci_u32_e32 v1, vcc_lo, s29, v1, vcc_lo
	global_store_b32 v[0:1], v2, off
.LBB69_135:
	s_nop 0
	s_sendmsg sendmsg(MSG_DEALLOC_VGPRS)
	s_endpgm
	.section	.rodata,"a",@progbits
	.p2align	6, 0x0
	.amdhsa_kernel _ZL13mul_mat_f_idsI15__hip_bfloat162Li32ELi11ELi7EEvPKT_PKfPKiS7_S7_Pfiiiiiiiiiiiiii15HIP_vector_typeIjLj3EESA_
		.amdhsa_group_segment_fixed_size 0
		.amdhsa_private_segment_fixed_size 0
		.amdhsa_kernarg_size 128
		.amdhsa_user_sgpr_count 13
		.amdhsa_user_sgpr_dispatch_ptr 0
		.amdhsa_user_sgpr_queue_ptr 0
		.amdhsa_user_sgpr_kernarg_segment_ptr 1
		.amdhsa_user_sgpr_dispatch_id 0
		.amdhsa_user_sgpr_private_segment_size 0
		.amdhsa_wavefront_size32 1
		.amdhsa_uses_dynamic_stack 0
		.amdhsa_enable_private_segment 0
		.amdhsa_system_sgpr_workgroup_id_x 1
		.amdhsa_system_sgpr_workgroup_id_y 1
		.amdhsa_system_sgpr_workgroup_id_z 1
		.amdhsa_system_sgpr_workgroup_info 0
		.amdhsa_system_vgpr_workitem_id 1
		.amdhsa_next_free_vgpr 120
		.amdhsa_next_free_sgpr 76
		.amdhsa_reserve_vcc 1
		.amdhsa_float_round_mode_32 0
		.amdhsa_float_round_mode_16_64 0
		.amdhsa_float_denorm_mode_32 3
		.amdhsa_float_denorm_mode_16_64 3
		.amdhsa_dx10_clamp 1
		.amdhsa_ieee_mode 1
		.amdhsa_fp16_overflow 0
		.amdhsa_workgroup_processor_mode 1
		.amdhsa_memory_ordered 1
		.amdhsa_forward_progress 0
		.amdhsa_shared_vgpr_count 0
		.amdhsa_exception_fp_ieee_invalid_op 0
		.amdhsa_exception_fp_denorm_src 0
		.amdhsa_exception_fp_ieee_div_zero 0
		.amdhsa_exception_fp_ieee_overflow 0
		.amdhsa_exception_fp_ieee_underflow 0
		.amdhsa_exception_fp_ieee_inexact 0
		.amdhsa_exception_int_div_zero 0
	.end_amdhsa_kernel
	.section	.text._ZL13mul_mat_f_idsI15__hip_bfloat162Li32ELi11ELi7EEvPKT_PKfPKiS7_S7_Pfiiiiiiiiiiiiii15HIP_vector_typeIjLj3EESA_,"axG",@progbits,_ZL13mul_mat_f_idsI15__hip_bfloat162Li32ELi11ELi7EEvPKT_PKfPKiS7_S7_Pfiiiiiiiiiiiiii15HIP_vector_typeIjLj3EESA_,comdat
.Lfunc_end69:
	.size	_ZL13mul_mat_f_idsI15__hip_bfloat162Li32ELi11ELi7EEvPKT_PKfPKiS7_S7_Pfiiiiiiiiiiiiii15HIP_vector_typeIjLj3EESA_, .Lfunc_end69-_ZL13mul_mat_f_idsI15__hip_bfloat162Li32ELi11ELi7EEvPKT_PKfPKiS7_S7_Pfiiiiiiiiiiiiii15HIP_vector_typeIjLj3EESA_
                                        ; -- End function
	.section	.AMDGPU.csdata,"",@progbits
; Kernel info:
; codeLenInByte = 7196
; NumSgprs: 78
; NumVgprs: 120
; ScratchSize: 0
; MemoryBound: 0
; FloatMode: 240
; IeeeMode: 1
; LDSByteSize: 0 bytes/workgroup (compile time only)
; SGPRBlocks: 9
; VGPRBlocks: 14
; NumSGPRsForWavesPerEU: 78
; NumVGPRsForWavesPerEU: 120
; Occupancy: 12
; WaveLimiterHint : 1
; COMPUTE_PGM_RSRC2:SCRATCH_EN: 0
; COMPUTE_PGM_RSRC2:USER_SGPR: 13
; COMPUTE_PGM_RSRC2:TRAP_HANDLER: 0
; COMPUTE_PGM_RSRC2:TGID_X_EN: 1
; COMPUTE_PGM_RSRC2:TGID_Y_EN: 1
; COMPUTE_PGM_RSRC2:TGID_Z_EN: 1
; COMPUTE_PGM_RSRC2:TIDIG_COMP_CNT: 1
	.section	.text._ZL9mul_mat_fI15__hip_bfloat162Li32ELi11ELi7ELb1EEvPKT_PKfPKiPfiiiiiiiiiiiiiiii,"axG",@progbits,_ZL9mul_mat_fI15__hip_bfloat162Li32ELi11ELi7ELb1EEvPKT_PKfPKiPfiiiiiiiiiiiiiiii,comdat
	.globl	_ZL9mul_mat_fI15__hip_bfloat162Li32ELi11ELi7ELb1EEvPKT_PKfPKiPfiiiiiiiiiiiiiiii ; -- Begin function _ZL9mul_mat_fI15__hip_bfloat162Li32ELi11ELi7ELb1EEvPKT_PKfPKiPfiiiiiiiiiiiiiiii
	.p2align	8
	.type	_ZL9mul_mat_fI15__hip_bfloat162Li32ELi11ELi7ELb1EEvPKT_PKfPKiPfiiiiiiiiiiiiiiii,@function
_ZL9mul_mat_fI15__hip_bfloat162Li32ELi11ELi7ELb1EEvPKT_PKfPKiPfiiiiiiiiiiiiiiii: ; @_ZL9mul_mat_fI15__hip_bfloat162Li32ELi11ELi7ELb1EEvPKT_PKfPKiPfiiiiiiiiiiiiiiii
; %bb.0:
	s_clause 0x1
	s_load_b256 s[16:23], s[0:1], 0x20
	s_load_b64 s[24:25], s[0:1], 0x10
	v_and_b32_e32 v80, 0x3ff, v0
	v_bfe_u32 v86, v0, 10, 10
	s_load_b128 s[8:11], s[0:1], 0x44
	s_delay_alu instid0(VALU_DEP_2) | instskip(NEXT) | instid1(VALU_DEP_2)
	v_cmp_eq_u32_e32 vcc_lo, 0, v80
	v_lshl_add_u32 v87, v86, 2, 0x100
	s_waitcnt lgkmcnt(0)
	s_add_i32 s2, s17, 10
	s_delay_alu instid0(SALU_CYCLE_1) | instskip(NEXT) | instid1(SALU_CYCLE_1)
	s_mul_hi_i32 s2, s2, 0x2e8ba2e9
	s_lshr_b32 s3, s2, 31
	s_ashr_i32 s2, s2, 1
	s_delay_alu instid0(SALU_CYCLE_1)
	s_add_i32 s2, s2, s3
	s_load_b32 s3, s[0:1], 0x64
	v_cvt_f32_u32_e32 v1, s2
	s_add_u32 s6, s0, 0x60
	s_addc_u32 s7, s1, 0
	s_sub_i32 s5, 0, s2
	s_delay_alu instid0(VALU_DEP_1) | instskip(SKIP_2) | instid1(VALU_DEP_1)
	v_rcp_iflag_f32_e32 v1, v1
	s_waitcnt_depctr 0xfff
	v_mul_f32_e32 v1, 0x4f7ffffe, v1
	v_cvt_u32_f32_e32 v1, v1
	s_delay_alu instid0(VALU_DEP_1) | instskip(NEXT) | instid1(VALU_DEP_1)
	v_readfirstlane_b32 s4, v1
	s_mul_i32 s5, s5, s4
	s_delay_alu instid0(SALU_CYCLE_1) | instskip(NEXT) | instid1(SALU_CYCLE_1)
	s_mul_hi_u32 s5, s4, s5
	s_add_i32 s4, s4, s5
	s_waitcnt lgkmcnt(0)
	s_mul_hi_u32 s4, s3, s4
	s_delay_alu instid0(SALU_CYCLE_1) | instskip(NEXT) | instid1(SALU_CYCLE_1)
	s_mul_i32 s5, s4, s2
	s_sub_i32 s3, s3, s5
	s_add_i32 s5, s4, 1
	s_sub_i32 s12, s3, s2
	s_cmp_ge_u32 s3, s2
	s_cselect_b32 s4, s5, s4
	s_cselect_b32 s3, s12, s3
	s_add_i32 s5, s4, 1
	s_cmp_ge_u32 s3, s2
	s_cselect_b32 s2, s5, s4
	s_abs_i32 s28, s11
	v_cvt_f32_u32_e32 v1, s2
	v_cvt_f32_u32_e32 v2, s28
	s_sub_i32 s4, 0, s2
	s_sub_i32 s26, 0, s28
	s_delay_alu instid0(VALU_DEP_2) | instskip(NEXT) | instid1(VALU_DEP_1)
	v_rcp_iflag_f32_e32 v1, v1
	v_rcp_iflag_f32_e32 v2, v2
	s_waitcnt_depctr 0xfff
	v_dual_mul_f32 v1, 0x4f7ffffe, v1 :: v_dual_mul_f32 v2, 0x4f7ffffe, v2
	s_delay_alu instid0(VALU_DEP_1) | instskip(NEXT) | instid1(VALU_DEP_1)
	v_cvt_u32_f32_e32 v1, v1
	v_readfirstlane_b32 s3, v1
	s_delay_alu instid0(VALU_DEP_3) | instskip(NEXT) | instid1(VALU_DEP_2)
	v_cvt_u32_f32_e32 v1, v2
	s_mul_i32 s4, s4, s3
	s_delay_alu instid0(VALU_DEP_1) | instskip(SKIP_1) | instid1(SALU_CYCLE_1)
	v_readfirstlane_b32 s29, v1
	s_mul_hi_u32 s4, s3, s4
	s_add_i32 s3, s3, s4
	s_delay_alu instid0(SALU_CYCLE_1)
	s_mul_hi_u32 s3, s14, s3
	s_and_saveexec_b32 s4, vcc_lo
	s_cbranch_execz .LBB70_2
; %bb.1:
	v_mov_b32_e32 v1, -1
	ds_store_b32 v87, v1
.LBB70_2:
	s_or_b32 exec_lo, exec_lo, s4
	s_mul_i32 s4, s3, s2
	s_add_i32 s5, s3, 1
	s_sub_i32 s4, s14, s4
	v_mov_b32_e32 v3, 0
	s_sub_i32 s12, s4, s2
	s_cmp_ge_u32 s4, s2
	s_mul_i32 s26, s26, s29
	s_cselect_b32 s3, s5, s3
	s_cselect_b32 s4, s12, s4
	s_add_i32 s5, s3, 1
	s_cmp_ge_u32 s4, s2
	v_cmp_gt_i32_e64 s4, s18, v80
	s_cselect_b32 s3, s5, s3
	s_delay_alu instid0(SALU_CYCLE_1)
	s_mul_i32 s12, s3, 11
	s_mul_i32 s3, s3, s2
	v_add_nc_u32_e32 v1, s12, v86
	s_mul_hi_i32 s31, s12, s23
	s_mul_i32 s30, s12, s23
	s_sub_i32 s14, s14, s3
	s_lshl_b64 s[30:31], s[30:31], 2
	v_cmp_gt_i32_e64 s2, s17, v1
	s_add_u32 s30, s24, s30
	s_addc_u32 s31, s25, s31
	s_delay_alu instid0(VALU_DEP_1)
	s_and_saveexec_b32 s24, s2
	s_cbranch_execz .LBB70_10
; %bb.3:
	v_mov_b32_e32 v3, 0
	s_and_saveexec_b32 s25, s4
	s_cbranch_execz .LBB70_9
; %bb.4:
	v_mul_lo_u32 v1, v86, s23
	v_dual_mov_b32 v3, 0 :: v_dual_mov_b32 v6, v80
	s_lshl_b32 s33, s22, 5
	s_mov_b32 s27, 0
	s_delay_alu instid0(VALU_DEP_2) | instskip(NEXT) | instid1(VALU_DEP_1)
	v_ashrrev_i32_e32 v2, 31, v1
	v_lshlrev_b64 v[4:5], 2, v[1:2]
	v_mul_lo_u32 v1, v80, s22
	s_delay_alu instid0(VALU_DEP_2) | instskip(NEXT) | instid1(VALU_DEP_1)
	v_add_co_u32 v4, s3, s30, v4
	v_add_co_ci_u32_e64 v5, s3, s31, v5, s3
	s_set_inst_prefetch_distance 0x1
	s_branch .LBB70_6
	.p2align	6
.LBB70_5:                               ;   in Loop: Header=BB70_6 Depth=1
	s_or_b32 exec_lo, exec_lo, s34
	v_add_nc_u32_e32 v6, 32, v6
	s_xor_b32 s3, s3, -1
	v_add_nc_u32_e32 v1, s33, v1
	s_delay_alu instid0(VALU_DEP_2) | instskip(NEXT) | instid1(VALU_DEP_1)
	v_cmp_le_i32_e64 s5, s18, v6
	s_or_b32 s3, s3, s5
	s_delay_alu instid0(SALU_CYCLE_1) | instskip(NEXT) | instid1(SALU_CYCLE_1)
	s_and_b32 s3, exec_lo, s3
	s_or_b32 s27, s3, s27
	s_delay_alu instid0(SALU_CYCLE_1)
	s_and_not1_b32 exec_lo, exec_lo, s27
	s_cbranch_execz .LBB70_8
.LBB70_6:                               ; =>This Inner Loop Header: Depth=1
	s_delay_alu instid0(VALU_DEP_3) | instskip(SKIP_1) | instid1(VALU_DEP_1)
	v_ashrrev_i32_e32 v2, 31, v1
	s_mov_b32 s34, exec_lo
	v_lshlrev_b64 v[7:8], 2, v[1:2]
	s_delay_alu instid0(VALU_DEP_1) | instskip(NEXT) | instid1(VALU_DEP_1)
	v_add_co_u32 v7, s3, v4, v7
	v_add_co_ci_u32_e64 v8, s3, v5, v8, s3
	global_load_b32 v2, v[7:8], off
	s_waitcnt vmcnt(0)
	v_cmp_ne_u32_e64 s3, s14, v2
	v_cmpx_eq_u32_e64 s14, v2
	s_cbranch_execz .LBB70_5
; %bb.7:                                ;   in Loop: Header=BB70_6 Depth=1
	v_mov_b32_e32 v3, 1
	ds_store_b32 v87, v6
	s_branch .LBB70_5
.LBB70_8:
	s_set_inst_prefetch_distance 0x2
	s_or_b32 exec_lo, exec_lo, s27
.LBB70_9:
	s_delay_alu instid0(SALU_CYCLE_1)
	s_or_b32 exec_lo, exec_lo, s25
.LBB70_10:
	s_delay_alu instid0(SALU_CYCLE_1)
	s_or_b32 exec_lo, exec_lo, s24
	s_mul_hi_u32 s5, s29, s26
	s_and_saveexec_b32 s3, vcc_lo
	s_cbranch_execz .LBB70_12
; %bb.11:
	v_mov_b32_e32 v1, -1
	ds_store_b32 v87, v1 offset:28
.LBB70_12:
	s_or_b32 exec_lo, exec_lo, s3
	s_load_b128 s[24:27], s[0:1], 0x54
	v_add_nc_u32_e32 v88, 7, v86
	s_waitcnt lgkmcnt(0)
	s_abs_i32 s27, s15
	s_add_i32 s29, s29, s5
	s_delay_alu instid0(VALU_DEP_1) | instskip(NEXT) | instid1(VALU_DEP_1)
	v_add_nc_u32_e32 v1, s12, v88
	v_cmp_gt_i32_e64 s3, s17, v1
	s_delay_alu instid0(VALU_DEP_1)
	s_and_saveexec_b32 s5, s3
	s_cbranch_execz .LBB70_20
; %bb.13:
	s_and_saveexec_b32 s33, s4
	s_cbranch_execz .LBB70_19
; %bb.14:
	v_mul_lo_u32 v1, v88, s23
	v_mov_b32_e32 v6, v80
	s_lshl_b32 s23, s22, 5
	s_delay_alu instid0(VALU_DEP_2) | instskip(NEXT) | instid1(VALU_DEP_1)
	v_ashrrev_i32_e32 v2, 31, v1
	v_lshlrev_b64 v[4:5], 2, v[1:2]
	v_mul_lo_u32 v1, v80, s22
	s_mov_b32 s22, 0
	s_delay_alu instid0(VALU_DEP_2) | instskip(NEXT) | instid1(VALU_DEP_3)
	v_add_co_u32 v4, vcc_lo, s30, v4
	v_add_co_ci_u32_e32 v5, vcc_lo, s31, v5, vcc_lo
	s_set_inst_prefetch_distance 0x1
	s_branch .LBB70_16
	.p2align	6
.LBB70_15:                              ;   in Loop: Header=BB70_16 Depth=1
	s_or_b32 exec_lo, exec_lo, s30
	v_add_nc_u32_e32 v6, 32, v6
	s_xor_b32 s30, vcc_lo, -1
	v_add_nc_u32_e32 v1, s23, v1
	s_delay_alu instid0(VALU_DEP_2) | instskip(NEXT) | instid1(VALU_DEP_1)
	v_cmp_le_i32_e64 s4, s18, v6
	s_or_b32 s4, s30, s4
	s_delay_alu instid0(SALU_CYCLE_1) | instskip(NEXT) | instid1(SALU_CYCLE_1)
	s_and_b32 s4, exec_lo, s4
	s_or_b32 s22, s4, s22
	s_delay_alu instid0(SALU_CYCLE_1)
	s_and_not1_b32 exec_lo, exec_lo, s22
	s_cbranch_execz .LBB70_18
.LBB70_16:                              ; =>This Inner Loop Header: Depth=1
	s_delay_alu instid0(VALU_DEP_3) | instskip(SKIP_1) | instid1(VALU_DEP_1)
	v_ashrrev_i32_e32 v2, 31, v1
	s_mov_b32 s30, exec_lo
	v_lshlrev_b64 v[7:8], 2, v[1:2]
	s_delay_alu instid0(VALU_DEP_1) | instskip(NEXT) | instid1(VALU_DEP_2)
	v_add_co_u32 v7, vcc_lo, v4, v7
	v_add_co_ci_u32_e32 v8, vcc_lo, v5, v8, vcc_lo
	global_load_b32 v2, v[7:8], off
	s_waitcnt vmcnt(0)
	v_cmp_ne_u32_e32 vcc_lo, s14, v2
	v_cmpx_eq_u32_e64 s14, v2
	s_cbranch_execz .LBB70_15
; %bb.17:                               ;   in Loop: Header=BB70_16 Depth=1
	v_mov_b32_e32 v3, 1
	ds_store_b32 v87, v6 offset:28
	s_branch .LBB70_15
.LBB70_18:
	s_set_inst_prefetch_distance 0x2
	s_or_b32 exec_lo, exec_lo, s22
.LBB70_19:
	s_delay_alu instid0(SALU_CYCLE_1)
	s_or_b32 exec_lo, exec_lo, s33
.LBB70_20:
	s_delay_alu instid0(SALU_CYCLE_1)
	s_or_b32 exec_lo, exec_lo, s5
	v_cmp_ne_u32_e32 vcc_lo, 0, v3
	s_load_b64 s[30:31], s[6:7], 0xc
	s_clause 0x1
	s_load_b128 s[4:7], s[0:1], 0x0
	s_load_b64 s[22:23], s[0:1], 0x18
	v_cndmask_b32_e64 v1, 0, 1, vcc_lo
	s_delay_alu instid0(VALU_DEP_1) | instskip(NEXT) | instid1(VALU_DEP_1)
	v_or_b32_dpp v1, v1, v1 row_shl:1 row_mask:0xf bank_mask:0xf bound_ctrl:1
	v_or_b32_dpp v1, v1, v1 row_shl:2 row_mask:0xf bank_mask:0xf bound_ctrl:1
	s_delay_alu instid0(VALU_DEP_1)
	v_or_b32_dpp v1, v1, v1 row_shl:4 row_mask:0xf bank_mask:0xf bound_ctrl:1
	s_waitcnt lgkmcnt(0)
	s_lshr_b32 s1, s30, 16
	s_and_b32 s0, s30, 0xffff
	s_and_b32 s30, s31, 0xffff
	s_mul_i32 s18, s1, s0
	v_or_b32_dpp v1, v1, v1 row_shl:8 row_mask:0xf bank_mask:0xf bound_ctrl:1
	s_bfe_i32 s18, s18, 0x180000
	s_delay_alu instid0(SALU_CYCLE_1) | instskip(NEXT) | instid1(SALU_CYCLE_1)
	s_mul_i32 s18, s18, s30
	s_add_i32 s18, s18, 31
	s_delay_alu instid0(VALU_DEP_1) | instskip(SKIP_1) | instid1(SALU_CYCLE_1)
	v_mov_b32_dpp v1, v1 row_share:0 row_mask:0xf bank_mask:0xf bound_ctrl:1
	s_and_not1_b32 s18, s18, 31
	s_cmp_lg_u32 s18, 32
	s_mul_hi_u32 s18, s27, s29
	s_delay_alu instid0(VALU_DEP_1) | instskip(NEXT) | instid1(VALU_DEP_1)
	v_permlanex16_b32 v2, v1, 0, 0 op_sel:[0,1]
	v_or_b32_e32 v2, v2, v1
	s_cbranch_scc0 .LBB70_29
; %bb.21:
	v_bfe_u32 v0, v0, 20, 10
	s_delay_alu instid0(VALU_DEP_1) | instskip(NEXT) | instid1(VALU_DEP_1)
	v_mad_u32_u24 v3, v0, s1, v86
	v_mad_u64_u32 v[0:1], null, v3, s0, v[80:81]
	v_mbcnt_lo_u32_b32 v1, -1, 0
	s_mov_b32 s0, exec_lo
	s_delay_alu instid0(VALU_DEP_2) | instskip(NEXT) | instid1(VALU_DEP_1)
	v_lshrrev_b32_e32 v3, 5, v0
	v_or_b32_e32 v3, v1, v3
	s_delay_alu instid0(VALU_DEP_1)
	v_cmpx_eq_u32_e32 0, v3
	s_cbranch_execz .LBB70_23
; %bb.22:
	v_mov_b32_e32 v3, 0
	ds_store_b32 v3, v2
.LBB70_23:
	s_or_b32 exec_lo, exec_lo, s0
	v_cmp_eq_u32_e32 vcc_lo, 0, v1
	v_cmp_lt_u32_e64 s0, 31, v0
	s_mov_b32 s1, 0
	s_waitcnt lgkmcnt(0)
	s_barrier
	buffer_gl0_inv
	s_and_b32 s29, s0, vcc_lo
	s_delay_alu instid0(SALU_CYCLE_1)
	s_and_saveexec_b32 s0, s29
	s_cbranch_execz .LBB70_28
; %bb.24:
	s_mov_b32 s29, exec_lo
.LBB70_25:                              ; =>This Inner Loop Header: Depth=1
	s_delay_alu instid0(SALU_CYCLE_1) | instskip(NEXT) | instid1(SALU_CYCLE_1)
	s_ctz_i32_b32 s30, s29
	v_readlane_b32 s31, v2, s30
	s_lshl_b32 s30, 1, s30
	s_delay_alu instid0(SALU_CYCLE_1) | instskip(NEXT) | instid1(VALU_DEP_1)
	s_and_not1_b32 s29, s29, s30
	s_or_b32 s1, s1, s31
	s_cmp_lg_u32 s29, 0
	s_cbranch_scc1 .LBB70_25
; %bb.26:
	v_mbcnt_lo_u32_b32 v0, exec_lo, 0
	s_mov_b32 s29, exec_lo
	s_delay_alu instid0(VALU_DEP_1)
	v_cmpx_eq_u32_e32 0, v0
	s_xor_b32 s29, exec_lo, s29
	s_cbranch_execz .LBB70_28
; %bb.27:
	v_dual_mov_b32 v0, 0 :: v_dual_mov_b32 v1, s1
	ds_or_b32 v0, v1
.LBB70_28:
	s_or_b32 exec_lo, exec_lo, s0
	v_mov_b32_e32 v0, 0
	s_waitcnt lgkmcnt(0)
	s_barrier
	buffer_gl0_inv
	ds_load_b32 v2, v0
	s_waitcnt lgkmcnt(0)
	s_barrier
	buffer_gl0_inv
.LBB70_29:
	s_ashr_i32 s0, s15, 31
	s_ashr_i32 s29, s11, 31
	s_mov_b32 s1, exec_lo
	v_cmpx_ne_u32_e32 0, v2
	s_cbranch_execz .LBB70_164
; %bb.30:
	v_lshlrev_b32_e32 v89, 5, v86
	v_and_b32_e32 v90, 15, v80
	s_mov_b32 s11, exec_lo
                                        ; implicit-def: $sgpr1
	s_delay_alu instid0(VALU_DEP_2) | instskip(NEXT) | instid1(VALU_DEP_1)
	v_add_nc_u32_e32 v91, v89, v80
	v_cmpx_le_i32_e64 s16, v91
	s_xor_b32 s11, exec_lo, s11
; %bb.31:
	v_and_b32_e32 v90, 15, v80
	s_mov_b32 s1, 0
                                        ; implicit-def: $vgpr91
; %bb.32:
	s_or_saveexec_b32 s11, s11
	v_dual_mov_b32 v15, s1 :: v_dual_mov_b32 v14, s1
	v_dual_mov_b32 v13, s1 :: v_dual_mov_b32 v12, s1
	;; [unrolled: 1-line block ×8, first 2 shown]
	s_lshl_b32 s1, s13, 5
	s_xor_b32 exec_lo, exec_lo, s11
	s_cbranch_execz .LBB70_157
; %bb.33:
	s_mul_i32 s13, s18, s28
	s_xor_b32 s0, s0, s29
	s_sub_i32 s13, s27, s13
	s_add_i32 s27, s18, 1
	s_sub_i32 s29, s13, s28
	s_cmp_ge_u32 s13, s28
	s_mul_i32 s30, s1, s19
	s_cselect_b32 s18, s27, s18
	s_cselect_b32 s13, s29, s13
	s_add_i32 s27, s18, 1
	s_cmp_ge_u32 s13, s28
	s_mul_i32 s28, s14, s8
	s_cselect_b32 s13, s27, s18
	s_ashr_i32 s29, s28, 31
	s_xor_b32 s13, s13, s0
	s_mul_hi_i32 s37, s25, s15
	s_sub_i32 s0, s13, s0
	s_mul_i32 s36, s25, s15
	s_mul_hi_i32 s35, s0, s24
	s_mul_i32 s34, s0, s24
	s_mul_hi_i32 s25, s20, s12
	s_lshl_b64 s[42:43], s[34:35], 2
	s_mul_i32 s24, s20, s12
	s_add_u32 s0, s4, s42
	s_addc_u32 s8, s5, s43
	s_lshl_b64 s[44:45], s[28:29], 2
	v_dual_mov_b32 v93, 0 :: v_dual_lshlrev_b32 v2, 1, v80
	s_add_u32 s0, s0, s44
	s_addc_u32 s13, s8, s45
	s_ashr_i32 s31, s30, 31
	s_delay_alu instid0(VALU_DEP_1)
	v_lshl_add_u32 v81, v86, 6, v2
	s_lshl_b64 s[46:47], s[30:31], 2
	v_dual_mov_b32 v95, 0x100 :: v_dual_lshlrev_b32 v2, 2, v91
	s_add_u32 s8, s0, s46
	s_addc_u32 s13, s13, s47
	s_lshl_b64 s[28:29], s[36:37], 2
	s_lshl_b64 s[24:25], s[24:25], 3
	s_add_u32 s0, s6, s28
	s_addc_u32 s6, s7, s29
	s_add_u32 s14, s0, s24
	s_addc_u32 s18, s6, s25
	s_cmp_lt_i32 s12, s17
	s_movk_i32 s6, 0x900
	s_cselect_b32 s24, -1, 0
	s_add_i32 s0, s12, 1
	v_mad_u32_u24 v1, v86, s6, 0x100
	s_cmp_lt_i32 s0, s17
	s_mov_b32 s6, s19
	s_cselect_b32 s25, -1, 0
	s_add_i32 s0, s12, 2
	v_mul_u32_u24_e32 v0, 0x90, v90
	s_cmp_lt_i32 s0, s17
	v_lshl_add_u32 v92, v80, 2, v1
	s_cselect_b32 s27, -1, 0
	s_add_i32 s0, s12, 3
	s_lshl_b32 s28, s20, 2
	s_cmp_lt_i32 s0, s17
	v_add_nc_u32_e32 v94, v1, v0
	s_cselect_b32 s29, -1, 0
	s_add_i32 s0, s12, 4
	v_dual_mov_b32 v0, 0 :: v_dual_mov_b32 v1, v93
	s_cmp_lt_i32 s0, s17
	v_dual_mov_b32 v3, v93 :: v_dual_mov_b32 v8, 0
	s_cselect_b32 s30, -1, 0
	s_add_i32 s0, s12, 5
	s_lshl_b32 s31, s20, 3
	s_cmp_lt_i32 s0, s17
	v_mov_b32_e32 v4, v93
	s_cselect_b32 s33, -1, 0
	s_add_i32 s0, s12, 6
	v_mov_b32_e32 v5, v93
	s_cmp_lt_i32 s0, s17
	v_mov_b32_e32 v6, v93
	s_cselect_b32 s34, -1, 0
	s_add_i32 s0, s12, 7
	v_mov_b32_e32 v7, v93
	;; [unrolled: 5-line block ×3, first 2 shown]
	s_cmp_lt_i32 s0, s17
	v_mov_b32_e32 v11, v93
	s_cselect_b32 s38, -1, 0
	s_add_i32 s0, s12, 9
	s_lshl_b32 s39, s20, 4
	s_cmp_lt_i32 s0, s17
	v_mov_b32_e32 v12, v93
	s_cselect_b32 s40, -1, 0
	s_add_i32 s0, s12, 10
	v_mov_b32_e32 v13, v93
	s_cmp_lt_i32 s0, s17
	v_mov_b32_e32 v14, v93
	s_cselect_b32 s17, -1, 0
	s_ashr_i32 s7, s19, 31
	v_mov_b32_e32 v15, v93
	s_lshl_b64 s[6:7], s[6:7], 2
	s_add_u32 s0, s42, s46
	s_addc_u32 s41, s43, s47
	s_add_u32 s0, s0, s44
	s_addc_u32 s41, s41, s45
	;; [unrolled: 2-line block ×3, first 2 shown]
	v_add_co_u32 v82, s0, s0, v2
	s_delay_alu instid0(VALU_DEP_1)
	v_add_co_ci_u32_e64 v83, null, s4, 0, s0
	v_mov_b32_e32 v2, v93
	s_mul_i32 s36, s20, 6
	s_mul_i32 s37, s20, 10
	;; [unrolled: 1-line block ×6, first 2 shown]
	s_lshl_b32 s20, s20, 1
	s_lshl_b32 s43, s19, 1
	s_mul_i32 s44, s19, 3
	s_lshl_b32 s45, s19, 2
	s_mul_i32 s46, s19, 5
	s_mul_i32 s47, s19, 6
	;; [unrolled: 1-line block ×3, first 2 shown]
	s_lshl_b32 s49, s19, 3
	s_mul_i32 s50, s19, 9
	s_mul_i32 s51, s19, 10
	;; [unrolled: 1-line block ×7, first 2 shown]
	s_lshl_b32 s57, s19, 4
	s_mul_i32 s58, s19, 17
	s_mul_i32 s59, s19, 18
	;; [unrolled: 1-line block ×15, first 2 shown]
	s_mov_b32 s19, 0
	s_branch .LBB70_35
.LBB70_34:                              ;   in Loop: Header=BB70_35 Depth=1
	s_or_b32 exec_lo, exec_lo, s0
	s_delay_alu instid0(VALU_DEP_1)
	v_perm_b32 v84, v84, v96, 0x7060302
	v_add_nc_u32_e32 v85, 0x400, v92
	v_add_nc_u32_e32 v96, 0x800, v92
	;; [unrolled: 1-line block ×3, first 2 shown]
	v_add_co_u32 v82, s0, 0x380, v82
	ds_store_2addr_b32 v85, v84, v93 offset0:120 offset1:156
	ds_store_2addr_b32 v85, v93, v93 offset0:192 offset1:228
	;; [unrolled: 1-line block ×3, first 2 shown]
	ds_load_b128 v[96:99], v94 offset:64
	ds_load_b128 v[100:103], v94 offset:80
	;; [unrolled: 1-line block ×6, first 2 shown]
	v_cmp_le_i32_e32 vcc_lo, s16, v91
	v_add_nc_u32_e32 v81, 0x1c0, v81
	v_add_co_ci_u32_e64 v83, s0, 0, v83, s0
	s_or_b32 s19, vcc_lo, s19
	s_waitcnt lgkmcnt(4)
	v_wmma_f32_16x16x16_bf16 v[8:15], v[56:63], v[96:103], v[8:15]
	ds_load_b128 v[56:59], v94 offset:160
	ds_load_b128 v[60:63], v94 offset:176
	v_wmma_f32_16x16x16_bf16 v[0:7], v[72:79], v[96:103], v[0:7]
	s_waitcnt lgkmcnt(4)
	v_wmma_f32_16x16x16_bf16 v[8:15], v[40:47], v[104:111], v[8:15]
	s_delay_alu instid0(VALU_DEP_2) | instskip(SKIP_1) | instid1(VALU_DEP_2)
	v_wmma_f32_16x16x16_bf16 v[0:7], v[64:71], v[104:111], v[0:7]
	s_waitcnt lgkmcnt(2)
	v_wmma_f32_16x16x16_bf16 v[8:15], v[24:31], v[112:119], v[8:15]
	s_delay_alu instid0(VALU_DEP_2) | instskip(SKIP_1) | instid1(VALU_DEP_2)
	v_wmma_f32_16x16x16_bf16 v[0:7], v[48:55], v[112:119], v[0:7]
	s_waitcnt lgkmcnt(0)
	v_wmma_f32_16x16x16_bf16 v[8:15], v[16:23], v[56:63], v[8:15]
	s_delay_alu instid0(VALU_DEP_2)
	v_wmma_f32_16x16x16_bf16 v[0:7], v[32:39], v[56:63], v[0:7]
	s_and_not1_b32 exec_lo, exec_lo, s19
	s_cbranch_execz .LBB70_156
.LBB70_35:                              ; =>This Inner Loop Header: Depth=1
	v_dual_mov_b32 v85, 0 :: v_dual_add_nc_u32 v16, s43, v91
	v_add_nc_u32_e32 v22, s45, v91
	v_add_nc_u32_e32 v18, s44, v91
	v_add_co_u32 v20, vcc_lo, v82, s6
	s_delay_alu instid0(VALU_DEP_4)
	v_ashrrev_i32_e32 v17, 31, v16
	v_add_co_ci_u32_e32 v21, vcc_lo, s7, v83, vcc_lo
	v_ashrrev_i32_e32 v23, 31, v22
	v_ashrrev_i32_e32 v19, 31, v18
	v_add_nc_u32_e32 v24, s46, v91
	v_lshlrev_b64 v[16:17], 2, v[16:17]
	s_clause 0x1
	global_load_b32 v38, v[82:83], off
	global_load_b32 v39, v[20:21], off
	v_lshlrev_b64 v[20:21], 2, v[22:23]
	v_add_nc_u32_e32 v22, s47, v91
	v_lshlrev_b64 v[18:19], 2, v[18:19]
	v_ashrrev_i32_e32 v25, 31, v24
	v_add_nc_u32_e32 v26, s48, v91
	v_add_co_u32 v16, vcc_lo, s8, v16
	v_ashrrev_i32_e32 v23, 31, v22
	v_add_co_ci_u32_e32 v17, vcc_lo, s13, v17, vcc_lo
	v_add_nc_u32_e32 v28, s49, v91
	v_add_co_u32 v18, vcc_lo, s8, v18
	v_lshlrev_b64 v[24:25], 2, v[24:25]
	v_ashrrev_i32_e32 v27, 31, v26
	v_add_co_ci_u32_e32 v19, vcc_lo, s13, v19, vcc_lo
	v_add_nc_u32_e32 v30, s50, v91
	v_add_co_u32 v20, vcc_lo, s8, v20
	v_lshlrev_b64 v[22:23], 2, v[22:23]
	v_ashrrev_i32_e32 v29, 31, v28
	v_add_co_ci_u32_e32 v21, vcc_lo, s13, v21, vcc_lo
	v_add_co_u32 v24, vcc_lo, s8, v24
	v_lshlrev_b64 v[26:27], 2, v[26:27]
	v_ashrrev_i32_e32 v31, 31, v30
	v_add_co_ci_u32_e32 v25, vcc_lo, s13, v25, vcc_lo
	v_add_co_u32 v22, vcc_lo, s8, v22
	v_lshlrev_b64 v[28:29], 2, v[28:29]
	v_add_co_ci_u32_e32 v23, vcc_lo, s13, v23, vcc_lo
	v_add_nc_u32_e32 v32, s51, v91
	v_add_co_u32 v26, vcc_lo, s8, v26
	v_lshlrev_b64 v[30:31], 2, v[30:31]
	v_add_co_ci_u32_e32 v27, vcc_lo, s13, v27, vcc_lo
	v_add_nc_u32_e32 v34, s52, v91
	v_add_co_u32 v28, vcc_lo, s8, v28
	v_ashrrev_i32_e32 v33, 31, v32
	v_add_co_ci_u32_e32 v29, vcc_lo, s13, v29, vcc_lo
	v_add_nc_u32_e32 v36, s53, v91
	v_add_co_u32 v30, vcc_lo, s8, v30
	v_ashrrev_i32_e32 v35, 31, v34
	v_add_co_ci_u32_e32 v31, vcc_lo, s13, v31, vcc_lo
	s_clause 0x7
	global_load_b32 v40, v[16:17], off
	global_load_b32 v41, v[18:19], off
	global_load_b32 v42, v[20:21], off
	global_load_b32 v43, v[24:25], off
	global_load_b32 v44, v[22:23], off
	global_load_b32 v45, v[26:27], off
	global_load_b32 v46, v[28:29], off
	global_load_b32 v47, v[30:31], off
	v_add_nc_u32_e32 v18, s54, v91
	v_lshlrev_b64 v[32:33], 2, v[32:33]
	v_ashrrev_i32_e32 v37, 31, v36
	v_add_nc_u32_e32 v24, s55, v91
	v_lshlrev_b64 v[16:17], 2, v[34:35]
	v_ashrrev_i32_e32 v19, 31, v18
	v_add_nc_u32_e32 v26, s56, v91
	v_add_co_u32 v20, vcc_lo, s8, v32
	v_lshlrev_b64 v[22:23], 2, v[36:37]
	v_ashrrev_i32_e32 v25, 31, v24
	v_add_co_ci_u32_e32 v21, vcc_lo, s13, v33, vcc_lo
	v_add_nc_u32_e32 v28, s57, v91
	v_add_co_u32 v16, vcc_lo, s8, v16
	v_lshlrev_b64 v[18:19], 2, v[18:19]
	v_ashrrev_i32_e32 v27, 31, v26
	v_add_co_ci_u32_e32 v17, vcc_lo, s13, v17, vcc_lo
	v_add_nc_u32_e32 v30, s58, v91
	v_add_co_u32 v22, vcc_lo, s8, v22
	v_lshlrev_b64 v[24:25], 2, v[24:25]
	v_ashrrev_i32_e32 v29, 31, v28
	v_add_co_ci_u32_e32 v23, vcc_lo, s13, v23, vcc_lo
	v_add_co_u32 v18, vcc_lo, s8, v18
	v_lshlrev_b64 v[26:27], 2, v[26:27]
	v_ashrrev_i32_e32 v31, 31, v30
	v_add_co_ci_u32_e32 v19, vcc_lo, s13, v19, vcc_lo
	v_add_co_u32 v24, vcc_lo, s8, v24
	v_lshlrev_b64 v[28:29], 2, v[28:29]
	v_add_co_ci_u32_e32 v25, vcc_lo, s13, v25, vcc_lo
	v_add_nc_u32_e32 v32, s59, v91
	v_add_co_u32 v26, vcc_lo, s8, v26
	v_lshlrev_b64 v[30:31], 2, v[30:31]
	v_add_co_ci_u32_e32 v27, vcc_lo, s13, v27, vcc_lo
	v_add_nc_u32_e32 v34, s60, v91
	v_add_co_u32 v28, vcc_lo, s8, v28
	v_ashrrev_i32_e32 v33, 31, v32
	v_add_co_ci_u32_e32 v29, vcc_lo, s13, v29, vcc_lo
	v_add_nc_u32_e32 v36, s61, v91
	v_add_co_u32 v30, vcc_lo, s8, v30
	v_ashrrev_i32_e32 v35, 31, v34
	v_add_co_ci_u32_e32 v31, vcc_lo, s13, v31, vcc_lo
	s_clause 0x7
	global_load_b32 v48, v[20:21], off
	global_load_b32 v49, v[16:17], off
	global_load_b32 v50, v[22:23], off
	global_load_b32 v51, v[18:19], off
	global_load_b32 v52, v[24:25], off
	global_load_b32 v53, v[26:27], off
	global_load_b32 v54, v[28:29], off
	global_load_b32 v55, v[30:31], off
	v_add_nc_u32_e32 v18, s62, v91
	v_lshlrev_b64 v[32:33], 2, v[32:33]
	v_ashrrev_i32_e32 v37, 31, v36
	v_add_nc_u32_e32 v24, s63, v91
	v_lshlrev_b64 v[16:17], 2, v[34:35]
	v_ashrrev_i32_e32 v19, 31, v18
	v_add_nc_u32_e32 v26, s64, v91
	v_add_co_u32 v20, vcc_lo, s8, v32
	v_lshlrev_b64 v[22:23], 2, v[36:37]
	;; [unrolled: 49-line block ×3, first 2 shown]
	v_ashrrev_i32_e32 v25, 31, v24
	v_add_co_ci_u32_e32 v21, vcc_lo, s13, v33, vcc_lo
	v_add_co_u32 v16, vcc_lo, s8, v16
	v_lshlrev_b64 v[18:19], 2, v[18:19]
	v_ashrrev_i32_e32 v27, 31, v26
	v_add_co_ci_u32_e32 v17, vcc_lo, s13, v17, vcc_lo
	v_add_co_u32 v22, vcc_lo, s8, v22
	v_lshlrev_b64 v[24:25], 2, v[24:25]
	v_add_co_ci_u32_e32 v23, vcc_lo, s13, v23, vcc_lo
	v_add_co_u32 v18, vcc_lo, s8, v18
	v_lshlrev_b64 v[26:27], 2, v[26:27]
	v_add_co_ci_u32_e32 v19, vcc_lo, s13, v19, vcc_lo
	v_add_co_u32 v24, vcc_lo, s8, v24
	v_add_co_ci_u32_e32 v25, vcc_lo, s13, v25, vcc_lo
	s_delay_alu instid0(VALU_DEP_4)
	v_add_co_u32 v26, vcc_lo, s8, v26
	v_add_co_ci_u32_e32 v27, vcc_lo, s13, v27, vcc_lo
	s_clause 0x5
	global_load_b32 v32, v[20:21], off
	global_load_b32 v33, v[16:17], off
	global_load_b32 v34, v[22:23], off
	global_load_b32 v35, v[18:19], off
	global_load_b32 v36, v[24:25], off
	global_load_b32 v37, v[26:27], off
	v_mov_b32_e32 v84, 0
	s_and_not1_b32 vcc_lo, exec_lo, s24
	s_waitcnt vmcnt(31)
	ds_store_b32 v92, v38 offset:64
	s_waitcnt vmcnt(30)
	ds_store_b32 v92, v39 offset:208
	;; [unrolled: 2-line block ×16, first 2 shown]
	ds_load_b128 v[56:59], v94 offset:64
	ds_load_b128 v[60:63], v94 offset:80
	;; [unrolled: 1-line block ×8, first 2 shown]
	s_waitcnt vmcnt(15)
	ds_store_b32 v92, v54 offset:64
	s_waitcnt vmcnt(14)
	ds_store_b32 v92, v55 offset:208
	s_waitcnt vmcnt(13)
	ds_store_b32 v92, v64 offset:352
	s_waitcnt vmcnt(12)
	ds_store_b32 v92, v65 offset:496
	s_waitcnt vmcnt(11)
	ds_store_b32 v92, v66 offset:640
	s_waitcnt vmcnt(10)
	ds_store_b32 v92, v67 offset:784
	s_waitcnt vmcnt(9)
	ds_store_b32 v92, v68 offset:928
	s_waitcnt vmcnt(8)
	ds_store_b32 v92, v69 offset:1072
	s_waitcnt vmcnt(7)
	ds_store_b32 v92, v70 offset:1216
	s_waitcnt vmcnt(6)
	ds_store_b32 v92, v71 offset:1360
	s_waitcnt vmcnt(5)
	ds_store_b32 v92, v32 offset:1504
	s_waitcnt vmcnt(4)
	ds_store_b32 v92, v33 offset:1648
	s_waitcnt vmcnt(3)
	ds_store_b32 v92, v34 offset:1792
	s_waitcnt vmcnt(2)
	ds_store_b32 v92, v35 offset:1936
	s_waitcnt vmcnt(1)
	ds_store_b32 v92, v36 offset:2080
	s_waitcnt vmcnt(0)
	ds_store_b32 v92, v37 offset:2224
	ds_load_b128 v[72:75], v94 offset:64
	ds_load_b128 v[76:79], v94 offset:80
	;; [unrolled: 1-line block ×8, first 2 shown]
	s_cbranch_vccnz .LBB70_38
; %bb.36:                               ;   in Loop: Header=BB70_35 Depth=1
	ds_load_b32 v96, v95
	v_dual_mov_b32 v84, 0 :: v_dual_mov_b32 v85, 0
	s_waitcnt lgkmcnt(0)
	v_cmp_gt_i32_e32 vcc_lo, 0, v96
	s_cbranch_vccnz .LBB70_38
; %bb.37:                               ;   in Loop: Header=BB70_35 Depth=1
	v_mad_u64_u32 v[84:85], null, v96, s9, v[81:82]
	s_delay_alu instid0(VALU_DEP_1) | instskip(NEXT) | instid1(VALU_DEP_1)
	v_ashrrev_i32_e32 v85, 31, v84
	v_lshlrev_b64 v[84:85], 2, v[84:85]
	s_delay_alu instid0(VALU_DEP_1) | instskip(NEXT) | instid1(VALU_DEP_2)
	v_add_co_u32 v84, vcc_lo, s14, v84
	v_add_co_ci_u32_e32 v85, vcc_lo, s18, v85, vcc_lo
	global_load_b64 v[84:85], v[84:85], off
.LBB70_38:                              ;   in Loop: Header=BB70_35 Depth=1
	s_waitcnt vmcnt(0)
	v_and_b32_e32 v96, 0x7f800000, v84
	s_delay_alu instid0(VALU_DEP_1) | instskip(SKIP_1) | instid1(SALU_CYCLE_1)
	v_cmp_ne_u32_e32 vcc_lo, 0x7f800000, v96
                                        ; implicit-def: $vgpr96
	s_and_saveexec_b32 s0, vcc_lo
	s_xor_b32 s0, exec_lo, s0
; %bb.39:                               ;   in Loop: Header=BB70_35 Depth=1
	v_bfe_u32 v96, v84, 16, 1
	s_delay_alu instid0(VALU_DEP_1)
	v_add3_u32 v96, v84, v96, 0x7fff
; %bb.40:                               ;   in Loop: Header=BB70_35 Depth=1
	s_and_not1_saveexec_b32 s0, s0
; %bb.41:                               ;   in Loop: Header=BB70_35 Depth=1
	v_and_b32_e32 v96, 0xffff, v84
	v_or_b32_e32 v97, 0x10000, v84
	s_delay_alu instid0(VALU_DEP_2) | instskip(NEXT) | instid1(VALU_DEP_2)
	v_cmp_eq_u32_e32 vcc_lo, 0, v96
	v_cndmask_b32_e32 v96, v97, v84, vcc_lo
; %bb.42:                               ;   in Loop: Header=BB70_35 Depth=1
	s_or_b32 exec_lo, exec_lo, s0
	v_and_b32_e32 v84, 0x7f800000, v85
	s_delay_alu instid0(VALU_DEP_1) | instskip(SKIP_1) | instid1(SALU_CYCLE_1)
	v_cmp_ne_u32_e32 vcc_lo, 0x7f800000, v84
                                        ; implicit-def: $vgpr84
	s_and_saveexec_b32 s0, vcc_lo
	s_xor_b32 s0, exec_lo, s0
; %bb.43:                               ;   in Loop: Header=BB70_35 Depth=1
	v_bfe_u32 v84, v85, 16, 1
	s_delay_alu instid0(VALU_DEP_1)
	v_add3_u32 v84, v85, v84, 0x7fff
                                        ; implicit-def: $vgpr85
; %bb.44:                               ;   in Loop: Header=BB70_35 Depth=1
	s_and_not1_saveexec_b32 s0, s0
; %bb.45:                               ;   in Loop: Header=BB70_35 Depth=1
	v_and_b32_e32 v84, 0xffff, v85
	v_or_b32_e32 v97, 0x10000, v85
	s_delay_alu instid0(VALU_DEP_2) | instskip(NEXT) | instid1(VALU_DEP_2)
	v_cmp_eq_u32_e32 vcc_lo, 0, v84
	v_cndmask_b32_e32 v84, v97, v85, vcc_lo
; %bb.46:                               ;   in Loop: Header=BB70_35 Depth=1
	s_or_b32 exec_lo, exec_lo, s0
	s_delay_alu instid0(VALU_DEP_1)
	v_perm_b32 v96, v84, v96, 0x7060302
	v_dual_mov_b32 v85, 0 :: v_dual_mov_b32 v84, 0
	s_and_not1_b32 vcc_lo, exec_lo, s25
	ds_store_b32 v92, v96 offset:64
	s_cbranch_vccnz .LBB70_49
; %bb.47:                               ;   in Loop: Header=BB70_35 Depth=1
	ds_load_b32 v96, v95 offset:4
	v_dual_mov_b32 v84, 0 :: v_dual_mov_b32 v85, 0
	s_waitcnt lgkmcnt(0)
	v_cmp_gt_i32_e32 vcc_lo, 0, v96
	s_cbranch_vccnz .LBB70_49
; %bb.48:                               ;   in Loop: Header=BB70_35 Depth=1
	v_mul_lo_u32 v84, v96, s9
	s_delay_alu instid0(VALU_DEP_1) | instskip(NEXT) | instid1(VALU_DEP_1)
	v_add3_u32 v84, v84, s20, v81
	v_ashrrev_i32_e32 v85, 31, v84
	s_delay_alu instid0(VALU_DEP_1) | instskip(NEXT) | instid1(VALU_DEP_1)
	v_lshlrev_b64 v[84:85], 2, v[84:85]
	v_add_co_u32 v84, vcc_lo, s14, v84
	s_delay_alu instid0(VALU_DEP_2)
	v_add_co_ci_u32_e32 v85, vcc_lo, s18, v85, vcc_lo
	global_load_b64 v[84:85], v[84:85], off
.LBB70_49:                              ;   in Loop: Header=BB70_35 Depth=1
	s_waitcnt vmcnt(0)
	v_and_b32_e32 v96, 0x7f800000, v84
	s_delay_alu instid0(VALU_DEP_1) | instskip(SKIP_1) | instid1(SALU_CYCLE_1)
	v_cmp_ne_u32_e32 vcc_lo, 0x7f800000, v96
                                        ; implicit-def: $vgpr96
	s_and_saveexec_b32 s0, vcc_lo
	s_xor_b32 s0, exec_lo, s0
; %bb.50:                               ;   in Loop: Header=BB70_35 Depth=1
	v_bfe_u32 v96, v84, 16, 1
	s_delay_alu instid0(VALU_DEP_1)
	v_add3_u32 v96, v84, v96, 0x7fff
; %bb.51:                               ;   in Loop: Header=BB70_35 Depth=1
	s_and_not1_saveexec_b32 s0, s0
; %bb.52:                               ;   in Loop: Header=BB70_35 Depth=1
	v_and_b32_e32 v96, 0xffff, v84
	v_or_b32_e32 v97, 0x10000, v84
	s_delay_alu instid0(VALU_DEP_2) | instskip(NEXT) | instid1(VALU_DEP_2)
	v_cmp_eq_u32_e32 vcc_lo, 0, v96
	v_cndmask_b32_e32 v96, v97, v84, vcc_lo
; %bb.53:                               ;   in Loop: Header=BB70_35 Depth=1
	s_or_b32 exec_lo, exec_lo, s0
	v_and_b32_e32 v84, 0x7f800000, v85
	s_delay_alu instid0(VALU_DEP_1) | instskip(SKIP_1) | instid1(SALU_CYCLE_1)
	v_cmp_ne_u32_e32 vcc_lo, 0x7f800000, v84
                                        ; implicit-def: $vgpr84
	s_and_saveexec_b32 s0, vcc_lo
	s_xor_b32 s0, exec_lo, s0
; %bb.54:                               ;   in Loop: Header=BB70_35 Depth=1
	v_bfe_u32 v84, v85, 16, 1
	s_delay_alu instid0(VALU_DEP_1)
	v_add3_u32 v84, v85, v84, 0x7fff
                                        ; implicit-def: $vgpr85
; %bb.55:                               ;   in Loop: Header=BB70_35 Depth=1
	s_and_not1_saveexec_b32 s0, s0
; %bb.56:                               ;   in Loop: Header=BB70_35 Depth=1
	v_and_b32_e32 v84, 0xffff, v85
	v_or_b32_e32 v97, 0x10000, v85
	s_delay_alu instid0(VALU_DEP_2) | instskip(NEXT) | instid1(VALU_DEP_2)
	v_cmp_eq_u32_e32 vcc_lo, 0, v84
	v_cndmask_b32_e32 v84, v97, v85, vcc_lo
; %bb.57:                               ;   in Loop: Header=BB70_35 Depth=1
	s_or_b32 exec_lo, exec_lo, s0
	s_delay_alu instid0(VALU_DEP_1)
	v_perm_b32 v96, v84, v96, 0x7060302
	v_dual_mov_b32 v85, 0 :: v_dual_mov_b32 v84, 0
	s_and_not1_b32 vcc_lo, exec_lo, s27
	ds_store_b32 v92, v96 offset:208
	s_cbranch_vccnz .LBB70_60
; %bb.58:                               ;   in Loop: Header=BB70_35 Depth=1
	ds_load_b32 v96, v95 offset:8
	v_dual_mov_b32 v84, 0 :: v_dual_mov_b32 v85, 0
	s_waitcnt lgkmcnt(0)
	v_cmp_gt_i32_e32 vcc_lo, 0, v96
	s_cbranch_vccnz .LBB70_60
; %bb.59:                               ;   in Loop: Header=BB70_35 Depth=1
	v_mul_lo_u32 v84, v96, s9
	s_delay_alu instid0(VALU_DEP_1) | instskip(NEXT) | instid1(VALU_DEP_1)
	v_add3_u32 v84, v84, s28, v81
	v_ashrrev_i32_e32 v85, 31, v84
	s_delay_alu instid0(VALU_DEP_1) | instskip(NEXT) | instid1(VALU_DEP_1)
	v_lshlrev_b64 v[84:85], 2, v[84:85]
	v_add_co_u32 v84, vcc_lo, s14, v84
	s_delay_alu instid0(VALU_DEP_2)
	v_add_co_ci_u32_e32 v85, vcc_lo, s18, v85, vcc_lo
	global_load_b64 v[84:85], v[84:85], off
.LBB70_60:                              ;   in Loop: Header=BB70_35 Depth=1
	s_waitcnt vmcnt(0)
	v_and_b32_e32 v96, 0x7f800000, v84
	s_delay_alu instid0(VALU_DEP_1) | instskip(SKIP_1) | instid1(SALU_CYCLE_1)
	v_cmp_ne_u32_e32 vcc_lo, 0x7f800000, v96
                                        ; implicit-def: $vgpr96
	s_and_saveexec_b32 s0, vcc_lo
	s_xor_b32 s0, exec_lo, s0
; %bb.61:                               ;   in Loop: Header=BB70_35 Depth=1
	v_bfe_u32 v96, v84, 16, 1
	s_delay_alu instid0(VALU_DEP_1)
	v_add3_u32 v96, v84, v96, 0x7fff
; %bb.62:                               ;   in Loop: Header=BB70_35 Depth=1
	s_and_not1_saveexec_b32 s0, s0
; %bb.63:                               ;   in Loop: Header=BB70_35 Depth=1
	v_and_b32_e32 v96, 0xffff, v84
	v_or_b32_e32 v97, 0x10000, v84
	s_delay_alu instid0(VALU_DEP_2) | instskip(NEXT) | instid1(VALU_DEP_2)
	v_cmp_eq_u32_e32 vcc_lo, 0, v96
	v_cndmask_b32_e32 v96, v97, v84, vcc_lo
; %bb.64:                               ;   in Loop: Header=BB70_35 Depth=1
	s_or_b32 exec_lo, exec_lo, s0
	v_and_b32_e32 v84, 0x7f800000, v85
	s_delay_alu instid0(VALU_DEP_1) | instskip(SKIP_1) | instid1(SALU_CYCLE_1)
	v_cmp_ne_u32_e32 vcc_lo, 0x7f800000, v84
                                        ; implicit-def: $vgpr84
	s_and_saveexec_b32 s0, vcc_lo
	s_xor_b32 s0, exec_lo, s0
; %bb.65:                               ;   in Loop: Header=BB70_35 Depth=1
	v_bfe_u32 v84, v85, 16, 1
	s_delay_alu instid0(VALU_DEP_1)
	v_add3_u32 v84, v85, v84, 0x7fff
                                        ; implicit-def: $vgpr85
; %bb.66:                               ;   in Loop: Header=BB70_35 Depth=1
	s_and_not1_saveexec_b32 s0, s0
; %bb.67:                               ;   in Loop: Header=BB70_35 Depth=1
	v_and_b32_e32 v84, 0xffff, v85
	v_or_b32_e32 v97, 0x10000, v85
	s_delay_alu instid0(VALU_DEP_2) | instskip(NEXT) | instid1(VALU_DEP_2)
	v_cmp_eq_u32_e32 vcc_lo, 0, v84
	v_cndmask_b32_e32 v84, v97, v85, vcc_lo
; %bb.68:                               ;   in Loop: Header=BB70_35 Depth=1
	s_or_b32 exec_lo, exec_lo, s0
	s_delay_alu instid0(VALU_DEP_1)
	v_perm_b32 v96, v84, v96, 0x7060302
	v_dual_mov_b32 v85, 0 :: v_dual_mov_b32 v84, 0
	s_and_not1_b32 vcc_lo, exec_lo, s29
	ds_store_b32 v92, v96 offset:352
	s_cbranch_vccnz .LBB70_71
; %bb.69:                               ;   in Loop: Header=BB70_35 Depth=1
	ds_load_b32 v96, v95 offset:12
	v_dual_mov_b32 v84, 0 :: v_dual_mov_b32 v85, 0
	s_waitcnt lgkmcnt(0)
	v_cmp_gt_i32_e32 vcc_lo, 0, v96
	s_cbranch_vccnz .LBB70_71
; %bb.70:                               ;   in Loop: Header=BB70_35 Depth=1
	v_mul_lo_u32 v84, v96, s9
	s_delay_alu instid0(VALU_DEP_1) | instskip(NEXT) | instid1(VALU_DEP_1)
	v_add3_u32 v84, v84, s36, v81
	v_ashrrev_i32_e32 v85, 31, v84
	s_delay_alu instid0(VALU_DEP_1) | instskip(NEXT) | instid1(VALU_DEP_1)
	v_lshlrev_b64 v[84:85], 2, v[84:85]
	v_add_co_u32 v84, vcc_lo, s14, v84
	s_delay_alu instid0(VALU_DEP_2)
	v_add_co_ci_u32_e32 v85, vcc_lo, s18, v85, vcc_lo
	global_load_b64 v[84:85], v[84:85], off
.LBB70_71:                              ;   in Loop: Header=BB70_35 Depth=1
	s_waitcnt vmcnt(0)
	v_and_b32_e32 v96, 0x7f800000, v84
	s_delay_alu instid0(VALU_DEP_1) | instskip(SKIP_1) | instid1(SALU_CYCLE_1)
	v_cmp_ne_u32_e32 vcc_lo, 0x7f800000, v96
                                        ; implicit-def: $vgpr96
	s_and_saveexec_b32 s0, vcc_lo
	s_xor_b32 s0, exec_lo, s0
; %bb.72:                               ;   in Loop: Header=BB70_35 Depth=1
	v_bfe_u32 v96, v84, 16, 1
	s_delay_alu instid0(VALU_DEP_1)
	v_add3_u32 v96, v84, v96, 0x7fff
; %bb.73:                               ;   in Loop: Header=BB70_35 Depth=1
	s_and_not1_saveexec_b32 s0, s0
; %bb.74:                               ;   in Loop: Header=BB70_35 Depth=1
	v_and_b32_e32 v96, 0xffff, v84
	v_or_b32_e32 v97, 0x10000, v84
	s_delay_alu instid0(VALU_DEP_2) | instskip(NEXT) | instid1(VALU_DEP_2)
	v_cmp_eq_u32_e32 vcc_lo, 0, v96
	v_cndmask_b32_e32 v96, v97, v84, vcc_lo
; %bb.75:                               ;   in Loop: Header=BB70_35 Depth=1
	s_or_b32 exec_lo, exec_lo, s0
	v_and_b32_e32 v84, 0x7f800000, v85
	s_delay_alu instid0(VALU_DEP_1) | instskip(SKIP_1) | instid1(SALU_CYCLE_1)
	v_cmp_ne_u32_e32 vcc_lo, 0x7f800000, v84
                                        ; implicit-def: $vgpr84
	s_and_saveexec_b32 s0, vcc_lo
	s_xor_b32 s0, exec_lo, s0
; %bb.76:                               ;   in Loop: Header=BB70_35 Depth=1
	v_bfe_u32 v84, v85, 16, 1
	s_delay_alu instid0(VALU_DEP_1)
	v_add3_u32 v84, v85, v84, 0x7fff
                                        ; implicit-def: $vgpr85
; %bb.77:                               ;   in Loop: Header=BB70_35 Depth=1
	s_and_not1_saveexec_b32 s0, s0
; %bb.78:                               ;   in Loop: Header=BB70_35 Depth=1
	v_and_b32_e32 v84, 0xffff, v85
	v_or_b32_e32 v97, 0x10000, v85
	s_delay_alu instid0(VALU_DEP_2) | instskip(NEXT) | instid1(VALU_DEP_2)
	v_cmp_eq_u32_e32 vcc_lo, 0, v84
	v_cndmask_b32_e32 v84, v97, v85, vcc_lo
; %bb.79:                               ;   in Loop: Header=BB70_35 Depth=1
	s_or_b32 exec_lo, exec_lo, s0
	s_delay_alu instid0(VALU_DEP_1)
	v_perm_b32 v96, v84, v96, 0x7060302
	v_dual_mov_b32 v85, 0 :: v_dual_mov_b32 v84, 0
	s_and_not1_b32 vcc_lo, exec_lo, s30
	ds_store_b32 v92, v96 offset:496
	s_cbranch_vccnz .LBB70_82
; %bb.80:                               ;   in Loop: Header=BB70_35 Depth=1
	ds_load_b32 v96, v95 offset:16
	v_dual_mov_b32 v84, 0 :: v_dual_mov_b32 v85, 0
	s_waitcnt lgkmcnt(0)
	v_cmp_gt_i32_e32 vcc_lo, 0, v96
	s_cbranch_vccnz .LBB70_82
; %bb.81:                               ;   in Loop: Header=BB70_35 Depth=1
	v_mul_lo_u32 v84, v96, s9
	s_delay_alu instid0(VALU_DEP_1) | instskip(NEXT) | instid1(VALU_DEP_1)
	v_add3_u32 v84, v84, s31, v81
	v_ashrrev_i32_e32 v85, 31, v84
	s_delay_alu instid0(VALU_DEP_1) | instskip(NEXT) | instid1(VALU_DEP_1)
	v_lshlrev_b64 v[84:85], 2, v[84:85]
	v_add_co_u32 v84, vcc_lo, s14, v84
	s_delay_alu instid0(VALU_DEP_2)
	v_add_co_ci_u32_e32 v85, vcc_lo, s18, v85, vcc_lo
	global_load_b64 v[84:85], v[84:85], off
.LBB70_82:                              ;   in Loop: Header=BB70_35 Depth=1
	s_waitcnt vmcnt(0)
	v_and_b32_e32 v96, 0x7f800000, v84
	s_delay_alu instid0(VALU_DEP_1) | instskip(SKIP_1) | instid1(SALU_CYCLE_1)
	v_cmp_ne_u32_e32 vcc_lo, 0x7f800000, v96
                                        ; implicit-def: $vgpr96
	s_and_saveexec_b32 s0, vcc_lo
	s_xor_b32 s0, exec_lo, s0
; %bb.83:                               ;   in Loop: Header=BB70_35 Depth=1
	v_bfe_u32 v96, v84, 16, 1
	s_delay_alu instid0(VALU_DEP_1)
	v_add3_u32 v96, v84, v96, 0x7fff
; %bb.84:                               ;   in Loop: Header=BB70_35 Depth=1
	s_and_not1_saveexec_b32 s0, s0
; %bb.85:                               ;   in Loop: Header=BB70_35 Depth=1
	v_and_b32_e32 v96, 0xffff, v84
	v_or_b32_e32 v97, 0x10000, v84
	s_delay_alu instid0(VALU_DEP_2) | instskip(NEXT) | instid1(VALU_DEP_2)
	v_cmp_eq_u32_e32 vcc_lo, 0, v96
	v_cndmask_b32_e32 v96, v97, v84, vcc_lo
; %bb.86:                               ;   in Loop: Header=BB70_35 Depth=1
	s_or_b32 exec_lo, exec_lo, s0
	v_and_b32_e32 v84, 0x7f800000, v85
	s_delay_alu instid0(VALU_DEP_1) | instskip(SKIP_1) | instid1(SALU_CYCLE_1)
	v_cmp_ne_u32_e32 vcc_lo, 0x7f800000, v84
                                        ; implicit-def: $vgpr84
	s_and_saveexec_b32 s0, vcc_lo
	s_xor_b32 s0, exec_lo, s0
; %bb.87:                               ;   in Loop: Header=BB70_35 Depth=1
	v_bfe_u32 v84, v85, 16, 1
	s_delay_alu instid0(VALU_DEP_1)
	v_add3_u32 v84, v85, v84, 0x7fff
                                        ; implicit-def: $vgpr85
; %bb.88:                               ;   in Loop: Header=BB70_35 Depth=1
	s_and_not1_saveexec_b32 s0, s0
; %bb.89:                               ;   in Loop: Header=BB70_35 Depth=1
	v_and_b32_e32 v84, 0xffff, v85
	v_or_b32_e32 v97, 0x10000, v85
	s_delay_alu instid0(VALU_DEP_2) | instskip(NEXT) | instid1(VALU_DEP_2)
	v_cmp_eq_u32_e32 vcc_lo, 0, v84
	v_cndmask_b32_e32 v84, v97, v85, vcc_lo
; %bb.90:                               ;   in Loop: Header=BB70_35 Depth=1
	s_or_b32 exec_lo, exec_lo, s0
	s_delay_alu instid0(VALU_DEP_1)
	v_perm_b32 v96, v84, v96, 0x7060302
	v_dual_mov_b32 v85, 0 :: v_dual_mov_b32 v84, 0
	s_and_not1_b32 vcc_lo, exec_lo, s33
	ds_store_b32 v92, v96 offset:640
	s_cbranch_vccnz .LBB70_93
; %bb.91:                               ;   in Loop: Header=BB70_35 Depth=1
	ds_load_b32 v96, v95 offset:20
	v_dual_mov_b32 v84, 0 :: v_dual_mov_b32 v85, 0
	s_waitcnt lgkmcnt(0)
	v_cmp_gt_i32_e32 vcc_lo, 0, v96
	s_cbranch_vccnz .LBB70_93
; %bb.92:                               ;   in Loop: Header=BB70_35 Depth=1
	v_mul_lo_u32 v84, v96, s9
	s_delay_alu instid0(VALU_DEP_1) | instskip(NEXT) | instid1(VALU_DEP_1)
	v_add3_u32 v84, v84, s37, v81
	v_ashrrev_i32_e32 v85, 31, v84
	s_delay_alu instid0(VALU_DEP_1) | instskip(NEXT) | instid1(VALU_DEP_1)
	v_lshlrev_b64 v[84:85], 2, v[84:85]
	v_add_co_u32 v84, vcc_lo, s14, v84
	s_delay_alu instid0(VALU_DEP_2)
	v_add_co_ci_u32_e32 v85, vcc_lo, s18, v85, vcc_lo
	global_load_b64 v[84:85], v[84:85], off
.LBB70_93:                              ;   in Loop: Header=BB70_35 Depth=1
	s_waitcnt vmcnt(0)
	v_and_b32_e32 v96, 0x7f800000, v84
	s_delay_alu instid0(VALU_DEP_1) | instskip(SKIP_1) | instid1(SALU_CYCLE_1)
	v_cmp_ne_u32_e32 vcc_lo, 0x7f800000, v96
                                        ; implicit-def: $vgpr96
	s_and_saveexec_b32 s0, vcc_lo
	s_xor_b32 s0, exec_lo, s0
; %bb.94:                               ;   in Loop: Header=BB70_35 Depth=1
	v_bfe_u32 v96, v84, 16, 1
	s_delay_alu instid0(VALU_DEP_1)
	v_add3_u32 v96, v84, v96, 0x7fff
; %bb.95:                               ;   in Loop: Header=BB70_35 Depth=1
	s_and_not1_saveexec_b32 s0, s0
; %bb.96:                               ;   in Loop: Header=BB70_35 Depth=1
	v_and_b32_e32 v96, 0xffff, v84
	v_or_b32_e32 v97, 0x10000, v84
	s_delay_alu instid0(VALU_DEP_2) | instskip(NEXT) | instid1(VALU_DEP_2)
	v_cmp_eq_u32_e32 vcc_lo, 0, v96
	v_cndmask_b32_e32 v96, v97, v84, vcc_lo
; %bb.97:                               ;   in Loop: Header=BB70_35 Depth=1
	s_or_b32 exec_lo, exec_lo, s0
	v_and_b32_e32 v84, 0x7f800000, v85
	s_delay_alu instid0(VALU_DEP_1) | instskip(SKIP_1) | instid1(SALU_CYCLE_1)
	v_cmp_ne_u32_e32 vcc_lo, 0x7f800000, v84
                                        ; implicit-def: $vgpr84
	s_and_saveexec_b32 s0, vcc_lo
	s_xor_b32 s0, exec_lo, s0
; %bb.98:                               ;   in Loop: Header=BB70_35 Depth=1
	v_bfe_u32 v84, v85, 16, 1
	s_delay_alu instid0(VALU_DEP_1)
	v_add3_u32 v84, v85, v84, 0x7fff
                                        ; implicit-def: $vgpr85
; %bb.99:                               ;   in Loop: Header=BB70_35 Depth=1
	s_and_not1_saveexec_b32 s0, s0
; %bb.100:                              ;   in Loop: Header=BB70_35 Depth=1
	v_and_b32_e32 v84, 0xffff, v85
	v_or_b32_e32 v97, 0x10000, v85
	s_delay_alu instid0(VALU_DEP_2) | instskip(NEXT) | instid1(VALU_DEP_2)
	v_cmp_eq_u32_e32 vcc_lo, 0, v84
	v_cndmask_b32_e32 v84, v97, v85, vcc_lo
; %bb.101:                              ;   in Loop: Header=BB70_35 Depth=1
	s_or_b32 exec_lo, exec_lo, s0
	s_delay_alu instid0(VALU_DEP_1)
	v_perm_b32 v96, v84, v96, 0x7060302
	v_dual_mov_b32 v85, 0 :: v_dual_mov_b32 v84, 0
	s_and_not1_b32 vcc_lo, exec_lo, s34
	ds_store_b32 v92, v96 offset:784
	s_cbranch_vccnz .LBB70_104
; %bb.102:                              ;   in Loop: Header=BB70_35 Depth=1
	ds_load_b32 v96, v95 offset:24
	v_dual_mov_b32 v84, 0 :: v_dual_mov_b32 v85, 0
	s_waitcnt lgkmcnt(0)
	v_cmp_gt_i32_e32 vcc_lo, 0, v96
	s_cbranch_vccnz .LBB70_104
; %bb.103:                              ;   in Loop: Header=BB70_35 Depth=1
	v_mul_lo_u32 v84, v96, s9
	s_delay_alu instid0(VALU_DEP_1) | instskip(NEXT) | instid1(VALU_DEP_1)
	v_add3_u32 v84, v84, s42, v81
	v_ashrrev_i32_e32 v85, 31, v84
	s_delay_alu instid0(VALU_DEP_1) | instskip(NEXT) | instid1(VALU_DEP_1)
	v_lshlrev_b64 v[84:85], 2, v[84:85]
	v_add_co_u32 v84, vcc_lo, s14, v84
	s_delay_alu instid0(VALU_DEP_2)
	v_add_co_ci_u32_e32 v85, vcc_lo, s18, v85, vcc_lo
	global_load_b64 v[84:85], v[84:85], off
.LBB70_104:                             ;   in Loop: Header=BB70_35 Depth=1
	s_waitcnt vmcnt(0)
	v_and_b32_e32 v96, 0x7f800000, v84
	s_delay_alu instid0(VALU_DEP_1) | instskip(SKIP_1) | instid1(SALU_CYCLE_1)
	v_cmp_ne_u32_e32 vcc_lo, 0x7f800000, v96
                                        ; implicit-def: $vgpr96
	s_and_saveexec_b32 s0, vcc_lo
	s_xor_b32 s0, exec_lo, s0
; %bb.105:                              ;   in Loop: Header=BB70_35 Depth=1
	v_bfe_u32 v96, v84, 16, 1
	s_delay_alu instid0(VALU_DEP_1)
	v_add3_u32 v96, v84, v96, 0x7fff
; %bb.106:                              ;   in Loop: Header=BB70_35 Depth=1
	s_and_not1_saveexec_b32 s0, s0
; %bb.107:                              ;   in Loop: Header=BB70_35 Depth=1
	v_and_b32_e32 v96, 0xffff, v84
	v_or_b32_e32 v97, 0x10000, v84
	s_delay_alu instid0(VALU_DEP_2) | instskip(NEXT) | instid1(VALU_DEP_2)
	v_cmp_eq_u32_e32 vcc_lo, 0, v96
	v_cndmask_b32_e32 v96, v97, v84, vcc_lo
; %bb.108:                              ;   in Loop: Header=BB70_35 Depth=1
	s_or_b32 exec_lo, exec_lo, s0
	v_and_b32_e32 v84, 0x7f800000, v85
	s_delay_alu instid0(VALU_DEP_1) | instskip(SKIP_1) | instid1(SALU_CYCLE_1)
	v_cmp_ne_u32_e32 vcc_lo, 0x7f800000, v84
                                        ; implicit-def: $vgpr84
	s_and_saveexec_b32 s0, vcc_lo
	s_xor_b32 s0, exec_lo, s0
; %bb.109:                              ;   in Loop: Header=BB70_35 Depth=1
	v_bfe_u32 v84, v85, 16, 1
	s_delay_alu instid0(VALU_DEP_1)
	v_add3_u32 v84, v85, v84, 0x7fff
                                        ; implicit-def: $vgpr85
; %bb.110:                              ;   in Loop: Header=BB70_35 Depth=1
	s_and_not1_saveexec_b32 s0, s0
; %bb.111:                              ;   in Loop: Header=BB70_35 Depth=1
	v_and_b32_e32 v84, 0xffff, v85
	v_or_b32_e32 v97, 0x10000, v85
	s_delay_alu instid0(VALU_DEP_2) | instskip(NEXT) | instid1(VALU_DEP_2)
	v_cmp_eq_u32_e32 vcc_lo, 0, v84
	v_cndmask_b32_e32 v84, v97, v85, vcc_lo
; %bb.112:                              ;   in Loop: Header=BB70_35 Depth=1
	s_or_b32 exec_lo, exec_lo, s0
	s_delay_alu instid0(VALU_DEP_1)
	v_perm_b32 v96, v84, v96, 0x7060302
	v_dual_mov_b32 v85, 0 :: v_dual_mov_b32 v84, 0
	s_and_not1_b32 vcc_lo, exec_lo, s35
	ds_store_b32 v92, v96 offset:928
	s_cbranch_vccnz .LBB70_115
; %bb.113:                              ;   in Loop: Header=BB70_35 Depth=1
	ds_load_b32 v96, v95 offset:28
	v_dual_mov_b32 v84, 0 :: v_dual_mov_b32 v85, 0
	s_waitcnt lgkmcnt(0)
	v_cmp_gt_i32_e32 vcc_lo, 0, v96
	s_cbranch_vccnz .LBB70_115
; %bb.114:                              ;   in Loop: Header=BB70_35 Depth=1
	v_mul_lo_u32 v84, v96, s9
	s_delay_alu instid0(VALU_DEP_1) | instskip(NEXT) | instid1(VALU_DEP_1)
	v_add3_u32 v84, v84, s41, v81
	v_ashrrev_i32_e32 v85, 31, v84
	s_delay_alu instid0(VALU_DEP_1) | instskip(NEXT) | instid1(VALU_DEP_1)
	v_lshlrev_b64 v[84:85], 2, v[84:85]
	v_add_co_u32 v84, vcc_lo, s14, v84
	s_delay_alu instid0(VALU_DEP_2)
	v_add_co_ci_u32_e32 v85, vcc_lo, s18, v85, vcc_lo
	global_load_b64 v[84:85], v[84:85], off
.LBB70_115:                             ;   in Loop: Header=BB70_35 Depth=1
	s_waitcnt vmcnt(0)
	v_and_b32_e32 v96, 0x7f800000, v84
	s_delay_alu instid0(VALU_DEP_1) | instskip(SKIP_1) | instid1(SALU_CYCLE_1)
	v_cmp_ne_u32_e32 vcc_lo, 0x7f800000, v96
                                        ; implicit-def: $vgpr96
	s_and_saveexec_b32 s0, vcc_lo
	s_xor_b32 s0, exec_lo, s0
; %bb.116:                              ;   in Loop: Header=BB70_35 Depth=1
	v_bfe_u32 v96, v84, 16, 1
	s_delay_alu instid0(VALU_DEP_1)
	v_add3_u32 v96, v84, v96, 0x7fff
; %bb.117:                              ;   in Loop: Header=BB70_35 Depth=1
	s_and_not1_saveexec_b32 s0, s0
; %bb.118:                              ;   in Loop: Header=BB70_35 Depth=1
	v_and_b32_e32 v96, 0xffff, v84
	v_or_b32_e32 v97, 0x10000, v84
	s_delay_alu instid0(VALU_DEP_2) | instskip(NEXT) | instid1(VALU_DEP_2)
	v_cmp_eq_u32_e32 vcc_lo, 0, v96
	v_cndmask_b32_e32 v96, v97, v84, vcc_lo
; %bb.119:                              ;   in Loop: Header=BB70_35 Depth=1
	s_or_b32 exec_lo, exec_lo, s0
	v_and_b32_e32 v84, 0x7f800000, v85
	s_delay_alu instid0(VALU_DEP_1) | instskip(SKIP_1) | instid1(SALU_CYCLE_1)
	v_cmp_ne_u32_e32 vcc_lo, 0x7f800000, v84
                                        ; implicit-def: $vgpr84
	s_and_saveexec_b32 s0, vcc_lo
	s_xor_b32 s0, exec_lo, s0
; %bb.120:                              ;   in Loop: Header=BB70_35 Depth=1
	v_bfe_u32 v84, v85, 16, 1
	s_delay_alu instid0(VALU_DEP_1)
	v_add3_u32 v84, v85, v84, 0x7fff
                                        ; implicit-def: $vgpr85
; %bb.121:                              ;   in Loop: Header=BB70_35 Depth=1
	s_and_not1_saveexec_b32 s0, s0
; %bb.122:                              ;   in Loop: Header=BB70_35 Depth=1
	v_and_b32_e32 v84, 0xffff, v85
	v_or_b32_e32 v97, 0x10000, v85
	s_delay_alu instid0(VALU_DEP_2) | instskip(NEXT) | instid1(VALU_DEP_2)
	v_cmp_eq_u32_e32 vcc_lo, 0, v84
	v_cndmask_b32_e32 v84, v97, v85, vcc_lo
; %bb.123:                              ;   in Loop: Header=BB70_35 Depth=1
	s_or_b32 exec_lo, exec_lo, s0
	s_delay_alu instid0(VALU_DEP_1)
	v_perm_b32 v96, v84, v96, 0x7060302
	v_dual_mov_b32 v85, 0 :: v_dual_mov_b32 v84, 0
	s_and_not1_b32 vcc_lo, exec_lo, s38
	ds_store_b32 v92, v96 offset:1072
	s_cbranch_vccnz .LBB70_126
; %bb.124:                              ;   in Loop: Header=BB70_35 Depth=1
	ds_load_b32 v96, v95 offset:32
	v_dual_mov_b32 v84, 0 :: v_dual_mov_b32 v85, 0
	s_waitcnt lgkmcnt(0)
	v_cmp_gt_i32_e32 vcc_lo, 0, v96
	s_cbranch_vccnz .LBB70_126
; %bb.125:                              ;   in Loop: Header=BB70_35 Depth=1
	v_mul_lo_u32 v84, v96, s9
	s_delay_alu instid0(VALU_DEP_1) | instskip(NEXT) | instid1(VALU_DEP_1)
	v_add3_u32 v84, v84, s39, v81
	v_ashrrev_i32_e32 v85, 31, v84
	s_delay_alu instid0(VALU_DEP_1) | instskip(NEXT) | instid1(VALU_DEP_1)
	v_lshlrev_b64 v[84:85], 2, v[84:85]
	v_add_co_u32 v84, vcc_lo, s14, v84
	s_delay_alu instid0(VALU_DEP_2)
	v_add_co_ci_u32_e32 v85, vcc_lo, s18, v85, vcc_lo
	global_load_b64 v[84:85], v[84:85], off
.LBB70_126:                             ;   in Loop: Header=BB70_35 Depth=1
	s_waitcnt vmcnt(0)
	v_and_b32_e32 v96, 0x7f800000, v84
	s_delay_alu instid0(VALU_DEP_1) | instskip(SKIP_1) | instid1(SALU_CYCLE_1)
	v_cmp_ne_u32_e32 vcc_lo, 0x7f800000, v96
                                        ; implicit-def: $vgpr96
	s_and_saveexec_b32 s0, vcc_lo
	s_xor_b32 s0, exec_lo, s0
; %bb.127:                              ;   in Loop: Header=BB70_35 Depth=1
	v_bfe_u32 v96, v84, 16, 1
	s_delay_alu instid0(VALU_DEP_1)
	v_add3_u32 v96, v84, v96, 0x7fff
; %bb.128:                              ;   in Loop: Header=BB70_35 Depth=1
	s_and_not1_saveexec_b32 s0, s0
; %bb.129:                              ;   in Loop: Header=BB70_35 Depth=1
	v_and_b32_e32 v96, 0xffff, v84
	v_or_b32_e32 v97, 0x10000, v84
	s_delay_alu instid0(VALU_DEP_2) | instskip(NEXT) | instid1(VALU_DEP_2)
	v_cmp_eq_u32_e32 vcc_lo, 0, v96
	v_cndmask_b32_e32 v96, v97, v84, vcc_lo
; %bb.130:                              ;   in Loop: Header=BB70_35 Depth=1
	s_or_b32 exec_lo, exec_lo, s0
	v_and_b32_e32 v84, 0x7f800000, v85
	s_delay_alu instid0(VALU_DEP_1) | instskip(SKIP_1) | instid1(SALU_CYCLE_1)
	v_cmp_ne_u32_e32 vcc_lo, 0x7f800000, v84
                                        ; implicit-def: $vgpr84
	s_and_saveexec_b32 s0, vcc_lo
	s_xor_b32 s0, exec_lo, s0
; %bb.131:                              ;   in Loop: Header=BB70_35 Depth=1
	v_bfe_u32 v84, v85, 16, 1
	s_delay_alu instid0(VALU_DEP_1)
	v_add3_u32 v84, v85, v84, 0x7fff
                                        ; implicit-def: $vgpr85
; %bb.132:                              ;   in Loop: Header=BB70_35 Depth=1
	s_and_not1_saveexec_b32 s0, s0
; %bb.133:                              ;   in Loop: Header=BB70_35 Depth=1
	v_and_b32_e32 v84, 0xffff, v85
	v_or_b32_e32 v97, 0x10000, v85
	s_delay_alu instid0(VALU_DEP_2) | instskip(NEXT) | instid1(VALU_DEP_2)
	v_cmp_eq_u32_e32 vcc_lo, 0, v84
	v_cndmask_b32_e32 v84, v97, v85, vcc_lo
; %bb.134:                              ;   in Loop: Header=BB70_35 Depth=1
	s_or_b32 exec_lo, exec_lo, s0
	s_delay_alu instid0(VALU_DEP_1)
	v_perm_b32 v96, v84, v96, 0x7060302
	v_dual_mov_b32 v85, 0 :: v_dual_mov_b32 v84, 0
	s_and_not1_b32 vcc_lo, exec_lo, s40
	ds_store_b32 v92, v96 offset:1216
	s_cbranch_vccnz .LBB70_137
; %bb.135:                              ;   in Loop: Header=BB70_35 Depth=1
	ds_load_b32 v96, v95 offset:36
	v_dual_mov_b32 v84, 0 :: v_dual_mov_b32 v85, 0
	s_waitcnt lgkmcnt(0)
	v_cmp_gt_i32_e32 vcc_lo, 0, v96
	s_cbranch_vccnz .LBB70_137
; %bb.136:                              ;   in Loop: Header=BB70_35 Depth=1
	v_mul_lo_u32 v84, v96, s9
	s_delay_alu instid0(VALU_DEP_1) | instskip(NEXT) | instid1(VALU_DEP_1)
	v_add3_u32 v84, v84, s5, v81
	v_ashrrev_i32_e32 v85, 31, v84
	s_delay_alu instid0(VALU_DEP_1) | instskip(NEXT) | instid1(VALU_DEP_1)
	v_lshlrev_b64 v[84:85], 2, v[84:85]
	v_add_co_u32 v84, vcc_lo, s14, v84
	s_delay_alu instid0(VALU_DEP_2)
	v_add_co_ci_u32_e32 v85, vcc_lo, s18, v85, vcc_lo
	global_load_b64 v[84:85], v[84:85], off
.LBB70_137:                             ;   in Loop: Header=BB70_35 Depth=1
	s_waitcnt vmcnt(0)
	v_and_b32_e32 v96, 0x7f800000, v84
	s_delay_alu instid0(VALU_DEP_1) | instskip(SKIP_1) | instid1(SALU_CYCLE_1)
	v_cmp_ne_u32_e32 vcc_lo, 0x7f800000, v96
                                        ; implicit-def: $vgpr96
	s_and_saveexec_b32 s0, vcc_lo
	s_xor_b32 s0, exec_lo, s0
; %bb.138:                              ;   in Loop: Header=BB70_35 Depth=1
	v_bfe_u32 v96, v84, 16, 1
	s_delay_alu instid0(VALU_DEP_1)
	v_add3_u32 v96, v84, v96, 0x7fff
; %bb.139:                              ;   in Loop: Header=BB70_35 Depth=1
	s_and_not1_saveexec_b32 s0, s0
; %bb.140:                              ;   in Loop: Header=BB70_35 Depth=1
	v_and_b32_e32 v96, 0xffff, v84
	v_or_b32_e32 v97, 0x10000, v84
	s_delay_alu instid0(VALU_DEP_2) | instskip(NEXT) | instid1(VALU_DEP_2)
	v_cmp_eq_u32_e32 vcc_lo, 0, v96
	v_cndmask_b32_e32 v96, v97, v84, vcc_lo
; %bb.141:                              ;   in Loop: Header=BB70_35 Depth=1
	s_or_b32 exec_lo, exec_lo, s0
	v_and_b32_e32 v84, 0x7f800000, v85
	s_delay_alu instid0(VALU_DEP_1) | instskip(SKIP_1) | instid1(SALU_CYCLE_1)
	v_cmp_ne_u32_e32 vcc_lo, 0x7f800000, v84
                                        ; implicit-def: $vgpr84
	s_and_saveexec_b32 s0, vcc_lo
	s_xor_b32 s0, exec_lo, s0
; %bb.142:                              ;   in Loop: Header=BB70_35 Depth=1
	v_bfe_u32 v84, v85, 16, 1
	s_delay_alu instid0(VALU_DEP_1)
	v_add3_u32 v84, v85, v84, 0x7fff
                                        ; implicit-def: $vgpr85
; %bb.143:                              ;   in Loop: Header=BB70_35 Depth=1
	s_and_not1_saveexec_b32 s0, s0
; %bb.144:                              ;   in Loop: Header=BB70_35 Depth=1
	v_and_b32_e32 v84, 0xffff, v85
	v_or_b32_e32 v97, 0x10000, v85
	s_delay_alu instid0(VALU_DEP_2) | instskip(NEXT) | instid1(VALU_DEP_2)
	v_cmp_eq_u32_e32 vcc_lo, 0, v84
	v_cndmask_b32_e32 v84, v97, v85, vcc_lo
; %bb.145:                              ;   in Loop: Header=BB70_35 Depth=1
	s_or_b32 exec_lo, exec_lo, s0
	s_delay_alu instid0(VALU_DEP_1)
	v_perm_b32 v96, v84, v96, 0x7060302
	v_dual_mov_b32 v85, 0 :: v_dual_mov_b32 v84, 0
	s_and_not1_b32 vcc_lo, exec_lo, s17
	ds_store_b32 v92, v96 offset:1360
	s_cbranch_vccnz .LBB70_148
; %bb.146:                              ;   in Loop: Header=BB70_35 Depth=1
	ds_load_b32 v96, v95 offset:40
	v_dual_mov_b32 v84, 0 :: v_dual_mov_b32 v85, 0
	s_waitcnt lgkmcnt(0)
	v_cmp_gt_i32_e32 vcc_lo, 0, v96
	s_cbranch_vccnz .LBB70_148
; %bb.147:                              ;   in Loop: Header=BB70_35 Depth=1
	v_mul_lo_u32 v84, v96, s9
	s_delay_alu instid0(VALU_DEP_1) | instskip(NEXT) | instid1(VALU_DEP_1)
	v_add3_u32 v84, v84, s4, v81
	v_ashrrev_i32_e32 v85, 31, v84
	s_delay_alu instid0(VALU_DEP_1) | instskip(NEXT) | instid1(VALU_DEP_1)
	v_lshlrev_b64 v[84:85], 2, v[84:85]
	v_add_co_u32 v84, vcc_lo, s14, v84
	s_delay_alu instid0(VALU_DEP_2)
	v_add_co_ci_u32_e32 v85, vcc_lo, s18, v85, vcc_lo
	global_load_b64 v[84:85], v[84:85], off
.LBB70_148:                             ;   in Loop: Header=BB70_35 Depth=1
	s_waitcnt vmcnt(0)
	v_and_b32_e32 v96, 0x7f800000, v84
	s_delay_alu instid0(VALU_DEP_1) | instskip(SKIP_1) | instid1(SALU_CYCLE_1)
	v_cmp_ne_u32_e32 vcc_lo, 0x7f800000, v96
                                        ; implicit-def: $vgpr96
	s_and_saveexec_b32 s0, vcc_lo
	s_xor_b32 s0, exec_lo, s0
; %bb.149:                              ;   in Loop: Header=BB70_35 Depth=1
	v_bfe_u32 v96, v84, 16, 1
	s_delay_alu instid0(VALU_DEP_1)
	v_add3_u32 v96, v84, v96, 0x7fff
; %bb.150:                              ;   in Loop: Header=BB70_35 Depth=1
	s_and_not1_saveexec_b32 s0, s0
; %bb.151:                              ;   in Loop: Header=BB70_35 Depth=1
	v_and_b32_e32 v96, 0xffff, v84
	v_or_b32_e32 v97, 0x10000, v84
	s_delay_alu instid0(VALU_DEP_2) | instskip(NEXT) | instid1(VALU_DEP_2)
	v_cmp_eq_u32_e32 vcc_lo, 0, v96
	v_cndmask_b32_e32 v96, v97, v84, vcc_lo
; %bb.152:                              ;   in Loop: Header=BB70_35 Depth=1
	s_or_b32 exec_lo, exec_lo, s0
	v_and_b32_e32 v84, 0x7f800000, v85
	s_delay_alu instid0(VALU_DEP_1) | instskip(SKIP_1) | instid1(SALU_CYCLE_1)
	v_cmp_ne_u32_e32 vcc_lo, 0x7f800000, v84
                                        ; implicit-def: $vgpr84
	s_and_saveexec_b32 s0, vcc_lo
	s_xor_b32 s0, exec_lo, s0
; %bb.153:                              ;   in Loop: Header=BB70_35 Depth=1
	v_bfe_u32 v84, v85, 16, 1
	s_delay_alu instid0(VALU_DEP_1)
	v_add3_u32 v84, v85, v84, 0x7fff
                                        ; implicit-def: $vgpr85
; %bb.154:                              ;   in Loop: Header=BB70_35 Depth=1
	s_and_not1_saveexec_b32 s0, s0
	s_cbranch_execz .LBB70_34
; %bb.155:                              ;   in Loop: Header=BB70_35 Depth=1
	v_and_b32_e32 v84, 0xffff, v85
	v_or_b32_e32 v97, 0x10000, v85
	s_delay_alu instid0(VALU_DEP_2) | instskip(NEXT) | instid1(VALU_DEP_2)
	v_cmp_eq_u32_e32 vcc_lo, 0, v84
	v_cndmask_b32_e32 v84, v97, v85, vcc_lo
	s_branch .LBB70_34
.LBB70_156:
	s_or_b32 exec_lo, exec_lo, s19
.LBB70_157:
	s_delay_alu instid0(SALU_CYCLE_1) | instskip(SKIP_4) | instid1(VALU_DEP_3)
	s_or_b32 exec_lo, exec_lo, s11
	v_lshrrev_b32_e32 v16, 2, v80
	s_movk_i32 s0, 0x390
	v_lshlrev_b32_e32 v17, 2, v89
	v_mad_u32_u24 v18, v90, s0, 0x100
	v_and_b32_e32 v16, 0xfc, v16
	s_barrier
	buffer_gl0_inv
	s_mov_b32 s0, exec_lo
	v_add3_u32 v17, v18, v16, v17
	v_lshl_add_u32 v16, v80, 2, 0x100
	ds_store_2addr_b32 v17, v8, v9 offset0:16 offset1:18
	ds_store_2addr_b32 v17, v10, v11 offset0:20 offset1:22
	;; [unrolled: 1-line block ×7, first 2 shown]
	v_mad_u32_u24 v8, 0x390, v86, v16
	ds_store_2addr_b32 v17, v6, v7 offset0:44 offset1:46
	s_waitcnt lgkmcnt(0)
	s_barrier
	buffer_gl0_inv
	ds_load_2addr_b32 v[4:5], v8 offset0:16 offset1:48
	ds_load_2addr_b32 v[2:3], v8 offset0:80 offset1:112
	;; [unrolled: 1-line block ×3, first 2 shown]
	ds_load_b32 v7, v8 offset:832
	v_mov_b32_e32 v8, -1
	v_cmpx_gt_u32_e32 11, v86
	s_cbranch_execz .LBB70_159
; %bb.158:
	ds_load_b32 v8, v87
.LBB70_159:
	s_or_b32 exec_lo, exec_lo, s0
	s_mul_hi_i32 s5, s26, s15
	s_mul_i32 s4, s26, s15
	s_mul_hi_i32 s7, s12, s21
	s_lshl_b64 s[4:5], s[4:5], 2
	s_mul_i32 s6, s12, s21
	s_waitcnt lgkmcnt(0)
	v_cmp_lt_i32_e32 vcc_lo, -1, v8
	s_add_u32 s0, s22, s4
	s_addc_u32 s8, s23, s5
	s_lshl_b64 s[4:5], s[6:7], 2
	v_add_nc_u32_e32 v6, s1, v80
	s_add_u32 s0, s0, s4
	s_addc_u32 s1, s8, s5
	s_and_b32 s4, vcc_lo, s2
	s_delay_alu instid0(SALU_CYCLE_1)
	s_and_saveexec_b32 s2, s4
	s_cbranch_execz .LBB70_161
; %bb.160:
	v_add_f32_e32 v4, 0, v4
	s_delay_alu instid0(VALU_DEP_1) | instskip(SKIP_1) | instid1(VALU_DEP_2)
	v_add_f32_e32 v4, v4, v5
	v_mul_lo_u32 v5, v86, s21
	v_add_f32_e32 v2, v4, v2
	v_mul_lo_u32 v4, v8, s10
	s_delay_alu instid0(VALU_DEP_2) | instskip(NEXT) | instid1(VALU_DEP_1)
	v_dual_add_f32 v2, v2, v3 :: v_dual_mov_b32 v3, 0
	v_add_f32_e32 v0, v2, v0
	s_delay_alu instid0(VALU_DEP_3) | instskip(NEXT) | instid1(VALU_DEP_2)
	v_add3_u32 v2, v6, v5, v4
	v_add_f32_e32 v4, v0, v1
	s_delay_alu instid0(VALU_DEP_2) | instskip(NEXT) | instid1(VALU_DEP_2)
	v_lshlrev_b64 v[0:1], 2, v[2:3]
	v_add_f32_e32 v2, v4, v7
	s_delay_alu instid0(VALU_DEP_2) | instskip(NEXT) | instid1(VALU_DEP_3)
	v_add_co_u32 v0, vcc_lo, s0, v0
	v_add_co_ci_u32_e32 v1, vcc_lo, s1, v1, vcc_lo
	global_store_b32 v[0:1], v2, off
.LBB70_161:
	s_or_b32 exec_lo, exec_lo, s2
	v_cmp_gt_u32_e32 vcc_lo, 4, v86
	s_and_b32 exec_lo, exec_lo, vcc_lo
	s_cbranch_execz .LBB70_164
; %bb.162:
	ds_load_b32 v0, v87 offset:28
	s_waitcnt lgkmcnt(0)
	v_cmp_lt_i32_e32 vcc_lo, -1, v0
	s_and_b32 s2, vcc_lo, s3
	s_delay_alu instid0(SALU_CYCLE_1)
	s_and_b32 exec_lo, exec_lo, s2
	s_cbranch_execz .LBB70_164
; %bb.163:
	v_mul_u32_u24_e32 v1, 0x390, v86
	v_mul_lo_u32 v0, v0, s10
	s_delay_alu instid0(VALU_DEP_2) | instskip(NEXT) | instid1(VALU_DEP_1)
	v_add_nc_u32_e32 v5, v1, v16
	v_add_nc_u32_e32 v7, 0x1800, v5
	ds_load_2addr_b32 v[1:2], v7 offset0:76 offset1:108
	ds_load_2addr_b32 v[3:4], v7 offset0:140 offset1:172
	;; [unrolled: 1-line block ×3, first 2 shown]
	s_waitcnt lgkmcnt(2)
	v_add_f32_e32 v1, 0, v1
	s_delay_alu instid0(VALU_DEP_1) | instskip(SKIP_1) | instid1(VALU_DEP_1)
	v_add_f32_e32 v1, v1, v2
	s_waitcnt lgkmcnt(1)
	v_add_f32_e32 v1, v1, v3
	v_mul_lo_u32 v3, v88, s21
	s_delay_alu instid0(VALU_DEP_2) | instskip(NEXT) | instid1(VALU_DEP_2)
	v_dual_add_f32 v4, v1, v4 :: v_dual_mov_b32 v1, 0
	v_add3_u32 v0, v6, v3, v0
	s_waitcnt lgkmcnt(0)
	s_delay_alu instid0(VALU_DEP_2) | instskip(SKIP_3) | instid1(VALU_DEP_2)
	v_add_f32_e32 v4, v4, v7
	ds_load_b32 v2, v5 offset:7216
	v_lshlrev_b64 v[0:1], 2, v[0:1]
	v_add_f32_e32 v3, v4, v8
	v_add_co_u32 v0, vcc_lo, s0, v0
	s_delay_alu instid0(VALU_DEP_3) | instskip(SKIP_1) | instid1(VALU_DEP_3)
	v_add_co_ci_u32_e32 v1, vcc_lo, s1, v1, vcc_lo
	s_waitcnt lgkmcnt(0)
	v_add_f32_e32 v2, v3, v2
	global_store_b32 v[0:1], v2, off
.LBB70_164:
	s_nop 0
	s_sendmsg sendmsg(MSG_DEALLOC_VGPRS)
	s_endpgm
	.section	.rodata,"a",@progbits
	.p2align	6, 0x0
	.amdhsa_kernel _ZL9mul_mat_fI15__hip_bfloat162Li32ELi11ELi7ELb1EEvPKT_PKfPKiPfiiiiiiiiiiiiiiii
		.amdhsa_group_segment_fixed_size 256
		.amdhsa_private_segment_fixed_size 0
		.amdhsa_kernarg_size 352
		.amdhsa_user_sgpr_count 13
		.amdhsa_user_sgpr_dispatch_ptr 0
		.amdhsa_user_sgpr_queue_ptr 0
		.amdhsa_user_sgpr_kernarg_segment_ptr 1
		.amdhsa_user_sgpr_dispatch_id 0
		.amdhsa_user_sgpr_private_segment_size 0
		.amdhsa_wavefront_size32 1
		.amdhsa_uses_dynamic_stack 0
		.amdhsa_enable_private_segment 0
		.amdhsa_system_sgpr_workgroup_id_x 1
		.amdhsa_system_sgpr_workgroup_id_y 1
		.amdhsa_system_sgpr_workgroup_id_z 1
		.amdhsa_system_sgpr_workgroup_info 0
		.amdhsa_system_vgpr_workitem_id 2
		.amdhsa_next_free_vgpr 120
		.amdhsa_next_free_sgpr 73
		.amdhsa_reserve_vcc 1
		.amdhsa_float_round_mode_32 0
		.amdhsa_float_round_mode_16_64 0
		.amdhsa_float_denorm_mode_32 3
		.amdhsa_float_denorm_mode_16_64 3
		.amdhsa_dx10_clamp 1
		.amdhsa_ieee_mode 1
		.amdhsa_fp16_overflow 0
		.amdhsa_workgroup_processor_mode 1
		.amdhsa_memory_ordered 1
		.amdhsa_forward_progress 0
		.amdhsa_shared_vgpr_count 0
		.amdhsa_exception_fp_ieee_invalid_op 0
		.amdhsa_exception_fp_denorm_src 0
		.amdhsa_exception_fp_ieee_div_zero 0
		.amdhsa_exception_fp_ieee_overflow 0
		.amdhsa_exception_fp_ieee_underflow 0
		.amdhsa_exception_fp_ieee_inexact 0
		.amdhsa_exception_int_div_zero 0
	.end_amdhsa_kernel
	.section	.text._ZL9mul_mat_fI15__hip_bfloat162Li32ELi11ELi7ELb1EEvPKT_PKfPKiPfiiiiiiiiiiiiiiii,"axG",@progbits,_ZL9mul_mat_fI15__hip_bfloat162Li32ELi11ELi7ELb1EEvPKT_PKfPKiPfiiiiiiiiiiiiiiii,comdat
.Lfunc_end70:
	.size	_ZL9mul_mat_fI15__hip_bfloat162Li32ELi11ELi7ELb1EEvPKT_PKfPKiPfiiiiiiiiiiiiiiii, .Lfunc_end70-_ZL9mul_mat_fI15__hip_bfloat162Li32ELi11ELi7ELb1EEvPKT_PKfPKiPfiiiiiiiiiiiiiiii
                                        ; -- End function
	.section	.AMDGPU.csdata,"",@progbits
; Kernel info:
; codeLenInByte = 8152
; NumSgprs: 75
; NumVgprs: 120
; ScratchSize: 0
; MemoryBound: 0
; FloatMode: 240
; IeeeMode: 1
; LDSByteSize: 256 bytes/workgroup (compile time only)
; SGPRBlocks: 9
; VGPRBlocks: 14
; NumSGPRsForWavesPerEU: 75
; NumVGPRsForWavesPerEU: 120
; Occupancy: 12
; WaveLimiterHint : 0
; COMPUTE_PGM_RSRC2:SCRATCH_EN: 0
; COMPUTE_PGM_RSRC2:USER_SGPR: 13
; COMPUTE_PGM_RSRC2:TRAP_HANDLER: 0
; COMPUTE_PGM_RSRC2:TGID_X_EN: 1
; COMPUTE_PGM_RSRC2:TGID_Y_EN: 1
; COMPUTE_PGM_RSRC2:TGID_Z_EN: 1
; COMPUTE_PGM_RSRC2:TIDIG_COMP_CNT: 2
	.section	.text._ZL9mul_mat_fI15__hip_bfloat162Li32ELi11ELi7ELb0EEvPKT_PKfPKiPfiiiiiiiiiiiiiiii,"axG",@progbits,_ZL9mul_mat_fI15__hip_bfloat162Li32ELi11ELi7ELb0EEvPKT_PKfPKiPfiiiiiiiiiiiiiiii,comdat
	.globl	_ZL9mul_mat_fI15__hip_bfloat162Li32ELi11ELi7ELb0EEvPKT_PKfPKiPfiiiiiiiiiiiiiiii ; -- Begin function _ZL9mul_mat_fI15__hip_bfloat162Li32ELi11ELi7ELb0EEvPKT_PKfPKiPfiiiiiiiiiiiiiiii
	.p2align	8
	.type	_ZL9mul_mat_fI15__hip_bfloat162Li32ELi11ELi7ELb0EEvPKT_PKfPKiPfiiiiiiiiiiiiiiii,@function
_ZL9mul_mat_fI15__hip_bfloat162Li32ELi11ELi7ELb0EEvPKT_PKfPKiPfiiiiiiiiiiiiiiii: ; @_ZL9mul_mat_fI15__hip_bfloat162Li32ELi11ELi7ELb0EEvPKT_PKfPKiPfiiiiiiiiiiiiiiii
; %bb.0:
	s_clause 0x2
	s_load_b256 s[4:11], s[0:1], 0x40
	s_load_b32 s22, s[0:1], 0x20
	s_load_b128 s[16:19], s[0:1], 0x2c
	v_bfe_u32 v86, v0, 10, 10
	v_and_b32_e32 v87, 0x3ff, v0
	s_mov_b32 s12, 0
	s_ashr_i32 s24, s15, 31
	s_waitcnt lgkmcnt(0)
	s_mov_b32 s19, exec_lo
	v_lshlrev_b32_e32 v88, 5, v86
	v_and_b32_e32 v89, 15, v87
	s_delay_alu instid0(VALU_DEP_2) | instskip(SKIP_4) | instid1(VALU_DEP_2)
	v_add_nc_u32_e32 v90, v88, v87
	s_abs_i32 s2, s4
	s_abs_i32 s23, s8
	v_cvt_f32_u32_e32 v1, s2
	v_cvt_f32_u32_e32 v2, s23
	v_rcp_iflag_f32_e32 v1, v1
	s_delay_alu instid0(VALU_DEP_1) | instskip(SKIP_2) | instid1(VALU_DEP_1)
	v_rcp_iflag_f32_e32 v2, v2
	s_waitcnt_depctr 0xfff
	v_dual_mul_f32 v0, 0x4f7ffffe, v1 :: v_dual_mul_f32 v1, 0x4f7ffffe, v2
	v_cvt_u32_f32_e32 v0, v0
	s_delay_alu instid0(VALU_DEP_2) | instskip(NEXT) | instid1(VALU_DEP_2)
	v_cvt_u32_f32_e32 v1, v1
	v_readfirstlane_b32 s25, v0
	s_delay_alu instid0(VALU_DEP_2)
	v_readfirstlane_b32 s3, v1
	v_cmpx_le_i32_e64 s22, v90
	s_xor_b32 s19, exec_lo, s19
; %bb.1:
	v_and_b32_e32 v89, 15, v87
                                        ; implicit-def: $vgpr90
; %bb.2:
	s_or_saveexec_b32 s19, s19
	s_load_b64 s[20:21], s[0:1], 0x18
	v_dual_mov_b32 v15, s12 :: v_dual_mov_b32 v14, s12
	v_dual_mov_b32 v13, s12 :: v_dual_mov_b32 v12, s12
	;; [unrolled: 1-line block ×8, first 2 shown]
	s_lshl_b32 s12, s13, 5
	s_xor_b32 exec_lo, exec_lo, s19
	s_cbranch_execz .LBB71_94
; %bb.3:
	s_sub_i32 s13, 0, s2
	s_sub_i32 s26, 0, s23
	s_mul_i32 s13, s13, s25
	s_mul_i32 s26, s26, s3
	s_mul_hi_u32 s13, s25, s13
	s_mul_hi_u32 s26, s3, s26
	s_abs_i32 s27, s14
	s_add_i32 s25, s25, s13
	s_add_i32 s26, s3, s26
	s_mul_hi_u32 s3, s27, s25
	s_ashr_i32 s25, s14, 31
	s_ashr_i32 s4, s4, 31
	s_mul_i32 s28, s3, s2
	s_xor_b32 s4, s25, s4
	s_sub_i32 s25, s27, s28
	s_abs_i32 s13, s15
	s_ashr_i32 s8, s8, 31
	s_add_i32 s27, s3, 1
	s_sub_i32 s28, s25, s2
	s_cmp_ge_u32 s25, s2
	s_mul_hi_u32 s26, s13, s26
	s_cselect_b32 s3, s27, s3
	s_cselect_b32 s25, s28, s25
	s_add_i32 s27, s3, 1
	s_cmp_ge_u32 s25, s2
	s_mul_i32 s28, s14, s6
	s_cselect_b32 s25, s27, s3
	s_load_b128 s[0:3], s[0:1], 0x0
	s_xor_b32 s25, s25, s4
	s_xor_b32 s8, s24, s8
	s_sub_i32 s4, s25, s4
	s_mul_i32 s25, s26, s23
	s_add_i32 s24, s26, 1
	s_sub_i32 s13, s13, s25
	s_mul_i32 s4, s4, s5
	s_sub_i32 s25, s13, s23
	s_cmp_ge_u32 s13, s23
	s_mul_hi_i32 s27, s10, s15
	s_cselect_b32 s24, s24, s26
	s_cselect_b32 s13, s25, s13
	s_add_i32 s25, s24, 1
	s_cmp_ge_u32 s13, s23
	s_mul_i32 s26, s10, s15
	s_cselect_b32 s13, s25, s24
	s_ashr_i32 s5, s4, 31
	s_xor_b32 s13, s13, s8
	v_mad_u32_u24 v0, 0x900, v86, 0
	s_sub_i32 s8, s13, s8
	v_dual_mov_b32 v92, 0 :: v_dual_lshlrev_b32 v1, 2, v87
	s_mul_hi_i32 s25, s8, s9
	s_mul_i32 s24, s8, s9
	s_mul_i32 s8, s12, s16
	s_lshl_b64 s[24:25], s[24:25], 2
	v_mul_u32_u24_e32 v2, 0x90, v89
	s_waitcnt lgkmcnt(0)
	s_add_u32 s13, s0, s24
	s_addc_u32 s23, s1, s25
	s_ashr_i32 s9, s8, 31
	s_lshl_b64 s[4:5], s[4:5], 2
	s_lshl_b64 s[8:9], s[8:9], 2
	v_lshlrev_b32_e32 v3, 7, v86
	s_add_u32 s30, s4, s8
	s_addc_u32 s31, s5, s9
	s_add_u32 s6, s30, s13
	s_addc_u32 s8, s31, s23
	s_ashr_i32 s29, s28, 31
	s_lshl_b64 s[4:5], s[26:27], 2
	s_lshl_b64 s[26:27], s[28:29], 2
	v_dual_mov_b32 v8, 0 :: v_dual_add_nc_u32 v93, v0, v2
	s_add_u32 s13, s2, s26
	s_addc_u32 s23, s3, s27
	s_add_u32 s9, s13, s4
	s_addc_u32 s10, s23, s5
	s_ashr_i32 s3, s16, 31
	s_mov_b32 s2, s16
	s_ashr_i32 s27, s17, 31
	s_lshl_b64 s[2:3], s[2:3], 2
	s_add_u32 s24, s30, s24
	s_addc_u32 s25, s31, s25
	v_mov_b32_e32 v2, v92
	v_add_co_u32 v3, s24, s24, v3
	s_delay_alu instid0(VALU_DEP_1) | instskip(SKIP_2) | instid1(VALU_DEP_4)
	v_add_co_ci_u32_e64 v4, null, s25, 0, s24
	v_lshlrev_b32_e32 v5, 8, v86
	v_dual_mov_b32 v0, 0 :: v_dual_add_nc_u32 v91, v0, v1
	v_add_co_u32 v1, vcc_lo, v3, v1
	s_delay_alu instid0(VALU_DEP_4) | instskip(NEXT) | instid1(VALU_DEP_4)
	v_add_co_ci_u32_e32 v3, vcc_lo, 0, v4, vcc_lo
	v_add_co_u32 v4, s4, s4, v5
	v_lshlrev_b32_e32 v6, 3, v87
	v_add_co_ci_u32_e64 v5, null, s5, 0, s4
	v_add_co_u32 v80, vcc_lo, s0, v1
	v_add_co_ci_u32_e32 v81, vcc_lo, s1, v3, vcc_lo
	s_delay_alu instid0(VALU_DEP_4) | instskip(NEXT) | instid1(VALU_DEP_4)
	v_add_co_u32 v1, vcc_lo, v4, v6
	v_add_co_ci_u32_e32 v3, vcc_lo, 0, v5, vcc_lo
	v_mov_b32_e32 v4, v92
	s_delay_alu instid0(VALU_DEP_3) | instskip(SKIP_1) | instid1(VALU_DEP_4)
	v_add_co_u32 v82, vcc_lo, s13, v1
	v_mov_b32_e32 v1, v92
	v_add_co_ci_u32_e32 v83, vcc_lo, s23, v3, vcc_lo
	v_mov_b32_e32 v3, v92
	v_mov_b32_e32 v5, v92
	;; [unrolled: 1-line block ×11, first 2 shown]
	s_mov_b32 s26, s17
	s_mul_i32 s1, s16, 31
	s_lshl_b64 s[4:5], s[26:27], 3
	s_lshl_b32 s13, s17, 1
	s_mul_i32 s23, s17, 3
	s_lshl_b32 s24, s17, 2
	s_mul_i32 s25, s17, 5
	s_mul_i32 s26, s17, 6
	s_mul_i32 s27, s17, 7
	s_lshl_b32 s28, s17, 3
	s_mul_i32 s29, s17, 9
	s_mul_i32 s17, s17, 10
	s_lshl_b32 s30, s16, 1
	s_mul_i32 s31, s16, 3
	s_lshl_b32 s33, s16, 2
	s_mul_i32 s34, s16, 5
	s_mul_i32 s35, s16, 6
	;; [unrolled: 1-line block ×3, first 2 shown]
	s_lshl_b32 s37, s16, 3
	s_mul_i32 s38, s16, 9
	s_mul_i32 s39, s16, 10
	;; [unrolled: 1-line block ×7, first 2 shown]
	s_lshl_b32 s45, s16, 4
	s_mul_i32 s46, s16, 17
	s_mul_i32 s47, s16, 18
	;; [unrolled: 1-line block ×14, first 2 shown]
	s_mov_b32 s16, 0
	s_branch .LBB71_5
.LBB71_4:                               ;   in Loop: Header=BB71_5 Depth=1
	s_or_b32 exec_lo, exec_lo, s0
	s_delay_alu instid0(VALU_DEP_1)
	v_perm_b32 v84, v95, v94, 0x7060302
	v_add_nc_u32_e32 v85, 0x400, v91
	v_add_nc_u32_e32 v94, 0x600, v91
	;; [unrolled: 1-line block ×3, first 2 shown]
	v_add_co_u32 v80, vcc_lo, 0x380, v80
	ds_store_2addr_b32 v85, v84, v92 offset0:104 offset1:140
	ds_store_2addr_b32 v85, v92, v92 offset0:176 offset1:212
	;; [unrolled: 1-line block ×3, first 2 shown]
	ds_load_b128 v[94:97], v93
	ds_load_b128 v[98:101], v93 offset:16
	ds_load_b128 v[102:105], v93 offset:32
	;; [unrolled: 1-line block ×5, first 2 shown]
	v_add_co_ci_u32_e32 v81, vcc_lo, 0, v81, vcc_lo
	v_cmp_le_i32_e32 vcc_lo, s22, v90
	v_add_co_u32 v82, s0, 0x700, v82
	s_delay_alu instid0(VALU_DEP_1)
	v_add_co_ci_u32_e64 v83, s0, 0, v83, s0
	s_or_b32 s16, vcc_lo, s16
	s_waitcnt lgkmcnt(4)
	v_wmma_f32_16x16x16_bf16 v[8:15], v[72:79], v[94:101], v[8:15]
	ds_load_b128 v[72:75], v93 offset:96
	ds_load_b128 v[76:79], v93 offset:112
	v_wmma_f32_16x16x16_bf16 v[0:7], v[64:71], v[94:101], v[0:7]
	s_waitcnt lgkmcnt(4)
	v_wmma_f32_16x16x16_bf16 v[8:15], v[48:55], v[102:109], v[8:15]
	s_delay_alu instid0(VALU_DEP_2) | instskip(SKIP_1) | instid1(VALU_DEP_2)
	v_wmma_f32_16x16x16_bf16 v[0:7], v[56:63], v[102:109], v[0:7]
	s_waitcnt lgkmcnt(2)
	v_wmma_f32_16x16x16_bf16 v[8:15], v[24:31], v[110:117], v[8:15]
	s_delay_alu instid0(VALU_DEP_2) | instskip(SKIP_1) | instid1(VALU_DEP_2)
	v_wmma_f32_16x16x16_bf16 v[0:7], v[40:47], v[110:117], v[0:7]
	s_waitcnt lgkmcnt(0)
	v_wmma_f32_16x16x16_bf16 v[8:15], v[16:23], v[72:79], v[8:15]
	s_delay_alu instid0(VALU_DEP_2)
	v_wmma_f32_16x16x16_bf16 v[0:7], v[32:39], v[72:79], v[0:7]
	s_and_not1_b32 exec_lo, exec_lo, s16
	s_cbranch_execz .LBB71_93
.LBB71_5:                               ; =>This Inner Loop Header: Depth=1
	v_add_nc_u32_e32 v16, s30, v90
	v_add_nc_u32_e32 v22, s33, v90
	;; [unrolled: 1-line block ×3, first 2 shown]
	v_add_co_u32 v20, vcc_lo, v80, s2
	s_delay_alu instid0(VALU_DEP_4)
	v_ashrrev_i32_e32 v17, 31, v16
	v_add_co_ci_u32_e32 v21, vcc_lo, s3, v81, vcc_lo
	v_ashrrev_i32_e32 v23, 31, v22
	v_ashrrev_i32_e32 v19, 31, v18
	v_add_nc_u32_e32 v24, s34, v90
	v_lshlrev_b64 v[16:17], 2, v[16:17]
	s_clause 0x1
	global_load_b32 v38, v[80:81], off
	global_load_b32 v39, v[20:21], off
	v_lshlrev_b64 v[20:21], 2, v[22:23]
	v_add_nc_u32_e32 v22, s35, v90
	v_lshlrev_b64 v[18:19], 2, v[18:19]
	v_ashrrev_i32_e32 v25, 31, v24
	v_add_nc_u32_e32 v26, s36, v90
	v_add_co_u32 v16, vcc_lo, s6, v16
	v_ashrrev_i32_e32 v23, 31, v22
	v_add_co_ci_u32_e32 v17, vcc_lo, s8, v17, vcc_lo
	v_add_nc_u32_e32 v28, s37, v90
	v_add_co_u32 v18, vcc_lo, s6, v18
	v_lshlrev_b64 v[24:25], 2, v[24:25]
	v_ashrrev_i32_e32 v27, 31, v26
	v_add_co_ci_u32_e32 v19, vcc_lo, s8, v19, vcc_lo
	v_add_nc_u32_e32 v30, s38, v90
	v_add_co_u32 v20, vcc_lo, s6, v20
	v_lshlrev_b64 v[22:23], 2, v[22:23]
	v_ashrrev_i32_e32 v29, 31, v28
	v_add_co_ci_u32_e32 v21, vcc_lo, s8, v21, vcc_lo
	v_add_co_u32 v24, vcc_lo, s6, v24
	v_lshlrev_b64 v[26:27], 2, v[26:27]
	v_ashrrev_i32_e32 v31, 31, v30
	v_add_co_ci_u32_e32 v25, vcc_lo, s8, v25, vcc_lo
	v_add_co_u32 v22, vcc_lo, s6, v22
	v_lshlrev_b64 v[28:29], 2, v[28:29]
	v_add_co_ci_u32_e32 v23, vcc_lo, s8, v23, vcc_lo
	v_add_nc_u32_e32 v32, s39, v90
	v_add_co_u32 v26, vcc_lo, s6, v26
	v_lshlrev_b64 v[30:31], 2, v[30:31]
	v_add_co_ci_u32_e32 v27, vcc_lo, s8, v27, vcc_lo
	v_add_nc_u32_e32 v34, s40, v90
	v_add_co_u32 v28, vcc_lo, s6, v28
	v_ashrrev_i32_e32 v33, 31, v32
	v_add_co_ci_u32_e32 v29, vcc_lo, s8, v29, vcc_lo
	v_add_nc_u32_e32 v36, s41, v90
	v_add_co_u32 v30, vcc_lo, s6, v30
	v_ashrrev_i32_e32 v35, 31, v34
	v_add_co_ci_u32_e32 v31, vcc_lo, s8, v31, vcc_lo
	s_clause 0x7
	global_load_b32 v40, v[16:17], off
	global_load_b32 v41, v[18:19], off
	global_load_b32 v42, v[20:21], off
	global_load_b32 v43, v[24:25], off
	global_load_b32 v44, v[22:23], off
	global_load_b32 v45, v[26:27], off
	global_load_b32 v46, v[28:29], off
	global_load_b32 v47, v[30:31], off
	v_add_nc_u32_e32 v18, s42, v90
	v_lshlrev_b64 v[32:33], 2, v[32:33]
	v_ashrrev_i32_e32 v37, 31, v36
	v_add_nc_u32_e32 v24, s43, v90
	v_lshlrev_b64 v[16:17], 2, v[34:35]
	v_ashrrev_i32_e32 v19, 31, v18
	v_add_nc_u32_e32 v26, s44, v90
	v_add_co_u32 v20, vcc_lo, s6, v32
	v_lshlrev_b64 v[22:23], 2, v[36:37]
	v_ashrrev_i32_e32 v25, 31, v24
	v_add_co_ci_u32_e32 v21, vcc_lo, s8, v33, vcc_lo
	v_add_nc_u32_e32 v28, s45, v90
	v_add_co_u32 v16, vcc_lo, s6, v16
	v_lshlrev_b64 v[18:19], 2, v[18:19]
	v_ashrrev_i32_e32 v27, 31, v26
	v_add_co_ci_u32_e32 v17, vcc_lo, s8, v17, vcc_lo
	v_add_nc_u32_e32 v30, s46, v90
	v_add_co_u32 v22, vcc_lo, s6, v22
	v_lshlrev_b64 v[24:25], 2, v[24:25]
	v_ashrrev_i32_e32 v29, 31, v28
	v_add_co_ci_u32_e32 v23, vcc_lo, s8, v23, vcc_lo
	v_add_co_u32 v18, vcc_lo, s6, v18
	v_lshlrev_b64 v[26:27], 2, v[26:27]
	v_ashrrev_i32_e32 v31, 31, v30
	v_add_co_ci_u32_e32 v19, vcc_lo, s8, v19, vcc_lo
	v_add_co_u32 v24, vcc_lo, s6, v24
	v_lshlrev_b64 v[28:29], 2, v[28:29]
	v_add_co_ci_u32_e32 v25, vcc_lo, s8, v25, vcc_lo
	v_add_nc_u32_e32 v32, s47, v90
	v_add_co_u32 v26, vcc_lo, s6, v26
	v_lshlrev_b64 v[30:31], 2, v[30:31]
	v_add_co_ci_u32_e32 v27, vcc_lo, s8, v27, vcc_lo
	v_add_nc_u32_e32 v34, s48, v90
	v_add_co_u32 v28, vcc_lo, s6, v28
	v_ashrrev_i32_e32 v33, 31, v32
	v_add_co_ci_u32_e32 v29, vcc_lo, s8, v29, vcc_lo
	v_add_nc_u32_e32 v36, s49, v90
	v_add_co_u32 v30, vcc_lo, s6, v30
	v_ashrrev_i32_e32 v35, 31, v34
	v_add_co_ci_u32_e32 v31, vcc_lo, s8, v31, vcc_lo
	s_clause 0x7
	global_load_b32 v48, v[20:21], off
	global_load_b32 v49, v[16:17], off
	global_load_b32 v50, v[22:23], off
	global_load_b32 v51, v[18:19], off
	global_load_b32 v52, v[24:25], off
	global_load_b32 v53, v[26:27], off
	global_load_b32 v56, v[28:29], off
	global_load_b32 v57, v[30:31], off
	v_add_nc_u32_e32 v18, s50, v90
	v_lshlrev_b64 v[32:33], 2, v[32:33]
	v_ashrrev_i32_e32 v37, 31, v36
	v_add_nc_u32_e32 v24, s51, v90
	v_lshlrev_b64 v[16:17], 2, v[34:35]
	v_ashrrev_i32_e32 v19, 31, v18
	v_add_nc_u32_e32 v26, s52, v90
	v_add_co_u32 v20, vcc_lo, s6, v32
	v_lshlrev_b64 v[22:23], 2, v[36:37]
	;; [unrolled: 49-line block ×3, first 2 shown]
	v_ashrrev_i32_e32 v25, 31, v24
	v_add_co_ci_u32_e32 v21, vcc_lo, s8, v33, vcc_lo
	v_add_co_u32 v16, vcc_lo, s6, v16
	v_lshlrev_b64 v[18:19], 2, v[18:19]
	v_ashrrev_i32_e32 v27, 31, v26
	v_add_co_ci_u32_e32 v17, vcc_lo, s8, v17, vcc_lo
	v_add_co_u32 v22, vcc_lo, s6, v22
	v_lshlrev_b64 v[24:25], 2, v[24:25]
	v_add_co_ci_u32_e32 v23, vcc_lo, s8, v23, vcc_lo
	v_add_co_u32 v18, vcc_lo, s6, v18
	v_lshlrev_b64 v[26:27], 2, v[26:27]
	v_add_co_ci_u32_e32 v19, vcc_lo, s8, v19, vcc_lo
	v_add_co_u32 v24, vcc_lo, s6, v24
	v_add_co_ci_u32_e32 v25, vcc_lo, s8, v25, vcc_lo
	s_delay_alu instid0(VALU_DEP_4)
	v_add_co_u32 v26, vcc_lo, s6, v26
	v_add_co_ci_u32_e32 v27, vcc_lo, s8, v27, vcc_lo
	s_clause 0x5
	global_load_b32 v32, v[20:21], off
	global_load_b32 v33, v[16:17], off
	;; [unrolled: 1-line block ×6, first 2 shown]
	global_load_b64 v[84:85], v[82:83], off
	s_waitcnt vmcnt(32)
	ds_store_b32 v91, v38
	s_waitcnt vmcnt(31)
	ds_store_b32 v91, v39 offset:144
	s_waitcnt vmcnt(30)
	ds_store_b32 v91, v40 offset:288
	;; [unrolled: 2-line block ×15, first 2 shown]
	ds_load_b128 v[72:75], v93
	ds_load_b128 v[76:79], v93 offset:16
	ds_load_b128 v[48:51], v93 offset:32
	;; [unrolled: 1-line block ×7, first 2 shown]
	s_waitcnt vmcnt(16)
	ds_store_b32 v91, v56
	s_waitcnt vmcnt(15)
	ds_store_b32 v91, v57 offset:144
	s_waitcnt vmcnt(14)
	ds_store_b32 v91, v58 offset:288
	;; [unrolled: 2-line block ×15, first 2 shown]
	ds_load_b128 v[64:67], v93
	ds_load_b128 v[68:71], v93 offset:16
	ds_load_b128 v[56:59], v93 offset:32
	;; [unrolled: 1-line block ×7, first 2 shown]
	s_waitcnt vmcnt(0)
	v_and_b32_e32 v94, 0x7f800000, v84
	s_delay_alu instid0(VALU_DEP_1) | instskip(SKIP_1) | instid1(SALU_CYCLE_1)
	v_cmp_ne_u32_e32 vcc_lo, 0x7f800000, v94
                                        ; implicit-def: $vgpr94
	s_and_saveexec_b32 s0, vcc_lo
	s_xor_b32 s0, exec_lo, s0
; %bb.6:                                ;   in Loop: Header=BB71_5 Depth=1
	v_bfe_u32 v94, v84, 16, 1
	s_delay_alu instid0(VALU_DEP_1)
	v_add3_u32 v94, v84, v94, 0x7fff
; %bb.7:                                ;   in Loop: Header=BB71_5 Depth=1
	s_and_not1_saveexec_b32 s0, s0
; %bb.8:                                ;   in Loop: Header=BB71_5 Depth=1
	v_and_b32_e32 v94, 0xffff, v84
	v_or_b32_e32 v95, 0x10000, v84
	s_delay_alu instid0(VALU_DEP_2) | instskip(NEXT) | instid1(VALU_DEP_2)
	v_cmp_eq_u32_e32 vcc_lo, 0, v94
	v_cndmask_b32_e32 v94, v95, v84, vcc_lo
; %bb.9:                                ;   in Loop: Header=BB71_5 Depth=1
	s_or_b32 exec_lo, exec_lo, s0
	v_and_b32_e32 v84, 0x7f800000, v85
	s_mov_b32 s0, exec_lo
                                        ; implicit-def: $vgpr95
	s_delay_alu instid0(VALU_DEP_1)
	v_cmpx_ne_u32_e32 0x7f800000, v84
	s_xor_b32 s0, exec_lo, s0
; %bb.10:                               ;   in Loop: Header=BB71_5 Depth=1
	v_bfe_u32 v84, v85, 16, 1
	s_delay_alu instid0(VALU_DEP_1)
	v_add3_u32 v95, v85, v84, 0x7fff
                                        ; implicit-def: $vgpr84_vgpr85
; %bb.11:                               ;   in Loop: Header=BB71_5 Depth=1
	s_and_not1_saveexec_b32 s0, s0
; %bb.12:                               ;   in Loop: Header=BB71_5 Depth=1
	v_and_b32_e32 v84, 0xffff, v85
	v_or_b32_e32 v95, 0x10000, v85
	s_delay_alu instid0(VALU_DEP_2) | instskip(NEXT) | instid1(VALU_DEP_2)
	v_cmp_eq_u32_e32 vcc_lo, 0, v84
	v_cndmask_b32_e32 v95, v95, v85, vcc_lo
; %bb.13:                               ;   in Loop: Header=BB71_5 Depth=1
	s_or_b32 exec_lo, exec_lo, s0
	s_delay_alu instid0(VALU_DEP_1)
	v_perm_b32 v84, v95, v94, 0x7060302
	ds_store_b32 v91, v84
	v_add_co_u32 v84, vcc_lo, v82, s4
	v_add_co_ci_u32_e32 v85, vcc_lo, s5, v83, vcc_lo
	global_load_b64 v[84:85], v[84:85], off
	s_waitcnt vmcnt(0)
	v_and_b32_e32 v94, 0x7f800000, v84
	s_delay_alu instid0(VALU_DEP_1) | instskip(SKIP_1) | instid1(SALU_CYCLE_1)
	v_cmp_ne_u32_e32 vcc_lo, 0x7f800000, v94
                                        ; implicit-def: $vgpr94
	s_and_saveexec_b32 s0, vcc_lo
	s_xor_b32 s0, exec_lo, s0
; %bb.14:                               ;   in Loop: Header=BB71_5 Depth=1
	v_bfe_u32 v94, v84, 16, 1
	s_delay_alu instid0(VALU_DEP_1)
	v_add3_u32 v94, v84, v94, 0x7fff
; %bb.15:                               ;   in Loop: Header=BB71_5 Depth=1
	s_and_not1_saveexec_b32 s0, s0
; %bb.16:                               ;   in Loop: Header=BB71_5 Depth=1
	v_and_b32_e32 v94, 0xffff, v84
	v_or_b32_e32 v95, 0x10000, v84
	s_delay_alu instid0(VALU_DEP_2) | instskip(NEXT) | instid1(VALU_DEP_2)
	v_cmp_eq_u32_e32 vcc_lo, 0, v94
	v_cndmask_b32_e32 v94, v95, v84, vcc_lo
; %bb.17:                               ;   in Loop: Header=BB71_5 Depth=1
	s_or_b32 exec_lo, exec_lo, s0
	v_and_b32_e32 v84, 0x7f800000, v85
	s_mov_b32 s0, exec_lo
                                        ; implicit-def: $vgpr95
	s_delay_alu instid0(VALU_DEP_1)
	v_cmpx_ne_u32_e32 0x7f800000, v84
	s_xor_b32 s0, exec_lo, s0
; %bb.18:                               ;   in Loop: Header=BB71_5 Depth=1
	v_bfe_u32 v84, v85, 16, 1
	s_delay_alu instid0(VALU_DEP_1)
	v_add3_u32 v95, v85, v84, 0x7fff
                                        ; implicit-def: $vgpr84_vgpr85
; %bb.19:                               ;   in Loop: Header=BB71_5 Depth=1
	s_and_not1_saveexec_b32 s0, s0
; %bb.20:                               ;   in Loop: Header=BB71_5 Depth=1
	v_and_b32_e32 v84, 0xffff, v85
	v_or_b32_e32 v95, 0x10000, v85
	s_delay_alu instid0(VALU_DEP_2) | instskip(NEXT) | instid1(VALU_DEP_2)
	v_cmp_eq_u32_e32 vcc_lo, 0, v84
	v_cndmask_b32_e32 v95, v95, v85, vcc_lo
; %bb.21:                               ;   in Loop: Header=BB71_5 Depth=1
	s_or_b32 exec_lo, exec_lo, s0
	s_delay_alu instid0(VALU_DEP_1) | instskip(SKIP_2) | instid1(VALU_DEP_1)
	v_perm_b32 v84, v95, v94, 0x7060302
	ds_store_b32 v91, v84 offset:144
	v_add_nc_u32_e32 v84, s13, v90
	v_ashrrev_i32_e32 v85, 31, v84
	s_delay_alu instid0(VALU_DEP_1) | instskip(NEXT) | instid1(VALU_DEP_1)
	v_lshlrev_b64 v[84:85], 3, v[84:85]
	v_add_co_u32 v84, vcc_lo, s9, v84
	s_delay_alu instid0(VALU_DEP_2) | instskip(SKIP_3) | instid1(VALU_DEP_1)
	v_add_co_ci_u32_e32 v85, vcc_lo, s10, v85, vcc_lo
	global_load_b64 v[84:85], v[84:85], off
	s_waitcnt vmcnt(0)
	v_and_b32_e32 v94, 0x7f800000, v84
	v_cmp_ne_u32_e32 vcc_lo, 0x7f800000, v94
                                        ; implicit-def: $vgpr94
	s_and_saveexec_b32 s0, vcc_lo
	s_delay_alu instid0(SALU_CYCLE_1)
	s_xor_b32 s0, exec_lo, s0
; %bb.22:                               ;   in Loop: Header=BB71_5 Depth=1
	v_bfe_u32 v94, v84, 16, 1
	s_delay_alu instid0(VALU_DEP_1)
	v_add3_u32 v94, v84, v94, 0x7fff
; %bb.23:                               ;   in Loop: Header=BB71_5 Depth=1
	s_and_not1_saveexec_b32 s0, s0
; %bb.24:                               ;   in Loop: Header=BB71_5 Depth=1
	v_and_b32_e32 v94, 0xffff, v84
	v_or_b32_e32 v95, 0x10000, v84
	s_delay_alu instid0(VALU_DEP_2) | instskip(NEXT) | instid1(VALU_DEP_2)
	v_cmp_eq_u32_e32 vcc_lo, 0, v94
	v_cndmask_b32_e32 v94, v95, v84, vcc_lo
; %bb.25:                               ;   in Loop: Header=BB71_5 Depth=1
	s_or_b32 exec_lo, exec_lo, s0
	v_and_b32_e32 v84, 0x7f800000, v85
	s_mov_b32 s0, exec_lo
                                        ; implicit-def: $vgpr95
	s_delay_alu instid0(VALU_DEP_1)
	v_cmpx_ne_u32_e32 0x7f800000, v84
	s_xor_b32 s0, exec_lo, s0
; %bb.26:                               ;   in Loop: Header=BB71_5 Depth=1
	v_bfe_u32 v84, v85, 16, 1
	s_delay_alu instid0(VALU_DEP_1)
	v_add3_u32 v95, v85, v84, 0x7fff
                                        ; implicit-def: $vgpr84_vgpr85
; %bb.27:                               ;   in Loop: Header=BB71_5 Depth=1
	s_and_not1_saveexec_b32 s0, s0
; %bb.28:                               ;   in Loop: Header=BB71_5 Depth=1
	v_and_b32_e32 v84, 0xffff, v85
	v_or_b32_e32 v95, 0x10000, v85
	s_delay_alu instid0(VALU_DEP_2) | instskip(NEXT) | instid1(VALU_DEP_2)
	v_cmp_eq_u32_e32 vcc_lo, 0, v84
	v_cndmask_b32_e32 v95, v95, v85, vcc_lo
; %bb.29:                               ;   in Loop: Header=BB71_5 Depth=1
	s_or_b32 exec_lo, exec_lo, s0
	s_delay_alu instid0(VALU_DEP_1) | instskip(SKIP_2) | instid1(VALU_DEP_1)
	v_perm_b32 v84, v95, v94, 0x7060302
	ds_store_b32 v91, v84 offset:288
	v_add_nc_u32_e32 v84, s23, v90
	v_ashrrev_i32_e32 v85, 31, v84
	s_delay_alu instid0(VALU_DEP_1) | instskip(NEXT) | instid1(VALU_DEP_1)
	v_lshlrev_b64 v[84:85], 3, v[84:85]
	v_add_co_u32 v84, vcc_lo, s9, v84
	s_delay_alu instid0(VALU_DEP_2) | instskip(SKIP_3) | instid1(VALU_DEP_1)
	v_add_co_ci_u32_e32 v85, vcc_lo, s10, v85, vcc_lo
	global_load_b64 v[84:85], v[84:85], off
	s_waitcnt vmcnt(0)
	v_and_b32_e32 v94, 0x7f800000, v84
	v_cmp_ne_u32_e32 vcc_lo, 0x7f800000, v94
                                        ; implicit-def: $vgpr94
	s_and_saveexec_b32 s0, vcc_lo
	s_delay_alu instid0(SALU_CYCLE_1)
	;; [unrolled: 53-line block ×9, first 2 shown]
	s_xor_b32 s0, exec_lo, s0
; %bb.86:                               ;   in Loop: Header=BB71_5 Depth=1
	v_bfe_u32 v94, v84, 16, 1
	s_delay_alu instid0(VALU_DEP_1)
	v_add3_u32 v94, v84, v94, 0x7fff
; %bb.87:                               ;   in Loop: Header=BB71_5 Depth=1
	s_and_not1_saveexec_b32 s0, s0
; %bb.88:                               ;   in Loop: Header=BB71_5 Depth=1
	v_and_b32_e32 v94, 0xffff, v84
	v_or_b32_e32 v95, 0x10000, v84
	s_delay_alu instid0(VALU_DEP_2) | instskip(NEXT) | instid1(VALU_DEP_2)
	v_cmp_eq_u32_e32 vcc_lo, 0, v94
	v_cndmask_b32_e32 v94, v95, v84, vcc_lo
; %bb.89:                               ;   in Loop: Header=BB71_5 Depth=1
	s_or_b32 exec_lo, exec_lo, s0
	v_and_b32_e32 v84, 0x7f800000, v85
	s_mov_b32 s0, exec_lo
                                        ; implicit-def: $vgpr95
	s_delay_alu instid0(VALU_DEP_1)
	v_cmpx_ne_u32_e32 0x7f800000, v84
	s_xor_b32 s0, exec_lo, s0
; %bb.90:                               ;   in Loop: Header=BB71_5 Depth=1
	v_bfe_u32 v84, v85, 16, 1
	s_delay_alu instid0(VALU_DEP_1)
	v_add3_u32 v95, v85, v84, 0x7fff
                                        ; implicit-def: $vgpr84_vgpr85
; %bb.91:                               ;   in Loop: Header=BB71_5 Depth=1
	s_and_not1_saveexec_b32 s0, s0
	s_cbranch_execz .LBB71_4
; %bb.92:                               ;   in Loop: Header=BB71_5 Depth=1
	v_and_b32_e32 v84, 0xffff, v85
	v_or_b32_e32 v95, 0x10000, v85
	s_delay_alu instid0(VALU_DEP_2) | instskip(NEXT) | instid1(VALU_DEP_2)
	v_cmp_eq_u32_e32 vcc_lo, 0, v84
	v_cndmask_b32_e32 v95, v95, v85, vcc_lo
	s_branch .LBB71_4
.LBB71_93:
	s_or_b32 exec_lo, exec_lo, s16
.LBB71_94:
	s_delay_alu instid0(SALU_CYCLE_1)
	s_or_b32 exec_lo, exec_lo, s19
	v_lshrrev_b32_e32 v16, 2, v87
	v_mad_u32_u24 v17, 0x390, v89, 0
	v_lshlrev_b32_e32 v18, 2, v88
	s_waitcnt lgkmcnt(0)
	s_barrier
	v_and_b32_e32 v16, 0xfc, v16
	buffer_gl0_inv
	s_mul_hi_i32 s1, s11, s15
	s_mul_i32 s0, s11, s15
	s_mul_i32 s2, s14, s7
	v_add3_u32 v17, v17, v16, v18
	v_lshl_add_u32 v16, v87, 2, 0
	s_lshl_b64 s[0:1], s[0:1], 2
	ds_store_2addr_b32 v17, v8, v9 offset1:2
	ds_store_2addr_b32 v17, v10, v11 offset0:4 offset1:6
	ds_store_2addr_b32 v17, v12, v13 offset0:8 offset1:10
	;; [unrolled: 1-line block ×6, first 2 shown]
	v_mad_u32_u24 v8, 0x390, v86, v16
	ds_store_2addr_b32 v17, v6, v7 offset0:28 offset1:30
	s_waitcnt lgkmcnt(0)
	s_barrier
	buffer_gl0_inv
	ds_load_2addr_b32 v[0:1], v8 offset1:32
	ds_load_2addr_b32 v[2:3], v8 offset0:64 offset1:96
	ds_load_2addr_b32 v[4:5], v8 offset0:128 offset1:160
	ds_load_b32 v6, v8 offset:768
	s_add_u32 s4, s20, s0
	s_addc_u32 s5, s21, s1
	s_ashr_i32 s3, s2, 31
	s_delay_alu instid0(SALU_CYCLE_1)
	s_lshl_b64 s[0:1], s[2:3], 2
	s_mov_b32 s2, exec_lo
	s_add_u32 s0, s4, s0
	s_addc_u32 s1, s5, s1
	s_waitcnt lgkmcnt(3)
	v_add_f32_e32 v0, 0, v0
	s_delay_alu instid0(VALU_DEP_1) | instskip(SKIP_1) | instid1(VALU_DEP_1)
	v_dual_add_f32 v0, v0, v1 :: v_dual_mov_b32 v1, 0
	s_waitcnt lgkmcnt(2)
	v_add_f32_e32 v0, v0, v2
	v_mul_lo_u32 v2, v86, s18
	s_delay_alu instid0(VALU_DEP_2) | instskip(SKIP_1) | instid1(VALU_DEP_1)
	v_add_f32_e32 v0, v0, v3
	s_waitcnt lgkmcnt(1)
	v_add_f32_e32 v3, v0, v4
	s_delay_alu instid0(VALU_DEP_3) | instskip(NEXT) | instid1(VALU_DEP_2)
	v_add3_u32 v0, s12, v87, v2
	v_add_f32_e32 v4, v3, v5
	s_delay_alu instid0(VALU_DEP_2) | instskip(SKIP_1) | instid1(VALU_DEP_2)
	v_lshlrev_b64 v[2:3], 2, v[0:1]
	s_waitcnt lgkmcnt(0)
	v_add_f32_e32 v4, v4, v6
	s_delay_alu instid0(VALU_DEP_2) | instskip(NEXT) | instid1(VALU_DEP_3)
	v_add_co_u32 v2, vcc_lo, s0, v2
	v_add_co_ci_u32_e32 v3, vcc_lo, s1, v3, vcc_lo
	global_store_b32 v[2:3], v4, off
	v_cmpx_gt_u32_e32 4, v86
	s_cbranch_execz .LBB71_96
; %bb.95:
	v_mul_u32_u24_e32 v2, 0x390, v86
	s_delay_alu instid0(VALU_DEP_1) | instskip(NEXT) | instid1(VALU_DEP_1)
	v_add_nc_u32_e32 v8, v2, v16
	v_add_nc_u32_e32 v6, 0x1800, v8
	ds_load_2addr_b32 v[2:3], v6 offset0:60 offset1:92
	ds_load_2addr_b32 v[4:5], v6 offset0:124 offset1:156
	;; [unrolled: 1-line block ×3, first 2 shown]
	s_waitcnt lgkmcnt(2)
	v_add_f32_e32 v2, 0, v2
	s_delay_alu instid0(VALU_DEP_1) | instskip(SKIP_1) | instid1(VALU_DEP_1)
	v_add_f32_e32 v2, v2, v3
	s_waitcnt lgkmcnt(1)
	v_add_f32_e32 v2, v2, v4
	s_delay_alu instid0(VALU_DEP_1)
	v_add_f32_e32 v4, v2, v5
	v_mad_u64_u32 v[2:3], null, s18, 7, v[0:1]
	v_mov_b32_e32 v3, v1
	ds_load_b32 v8, v8 offset:7152
	s_waitcnt lgkmcnt(1)
	v_add_f32_e32 v0, v4, v6
	s_delay_alu instid0(VALU_DEP_1) | instskip(SKIP_1) | instid1(VALU_DEP_1)
	v_add_f32_e32 v4, v0, v7
	v_lshlrev_b64 v[0:1], 2, v[2:3]
	v_add_co_u32 v0, vcc_lo, s0, v0
	s_delay_alu instid0(VALU_DEP_2)
	v_add_co_ci_u32_e32 v1, vcc_lo, s1, v1, vcc_lo
	s_waitcnt lgkmcnt(0)
	v_add_f32_e32 v2, v4, v8
	global_store_b32 v[0:1], v2, off
.LBB71_96:
	s_nop 0
	s_sendmsg sendmsg(MSG_DEALLOC_VGPRS)
	s_endpgm
	.section	.rodata,"a",@progbits
	.p2align	6, 0x0
	.amdhsa_kernel _ZL9mul_mat_fI15__hip_bfloat162Li32ELi11ELi7ELb0EEvPKT_PKfPKiPfiiiiiiiiiiiiiiii
		.amdhsa_group_segment_fixed_size 0
		.amdhsa_private_segment_fixed_size 0
		.amdhsa_kernarg_size 96
		.amdhsa_user_sgpr_count 13
		.amdhsa_user_sgpr_dispatch_ptr 0
		.amdhsa_user_sgpr_queue_ptr 0
		.amdhsa_user_sgpr_kernarg_segment_ptr 1
		.amdhsa_user_sgpr_dispatch_id 0
		.amdhsa_user_sgpr_private_segment_size 0
		.amdhsa_wavefront_size32 1
		.amdhsa_uses_dynamic_stack 0
		.amdhsa_enable_private_segment 0
		.amdhsa_system_sgpr_workgroup_id_x 1
		.amdhsa_system_sgpr_workgroup_id_y 1
		.amdhsa_system_sgpr_workgroup_id_z 1
		.amdhsa_system_sgpr_workgroup_info 0
		.amdhsa_system_vgpr_workitem_id 1
		.amdhsa_next_free_vgpr 118
		.amdhsa_next_free_sgpr 60
		.amdhsa_reserve_vcc 1
		.amdhsa_float_round_mode_32 0
		.amdhsa_float_round_mode_16_64 0
		.amdhsa_float_denorm_mode_32 3
		.amdhsa_float_denorm_mode_16_64 3
		.amdhsa_dx10_clamp 1
		.amdhsa_ieee_mode 1
		.amdhsa_fp16_overflow 0
		.amdhsa_workgroup_processor_mode 1
		.amdhsa_memory_ordered 1
		.amdhsa_forward_progress 0
		.amdhsa_shared_vgpr_count 0
		.amdhsa_exception_fp_ieee_invalid_op 0
		.amdhsa_exception_fp_denorm_src 0
		.amdhsa_exception_fp_ieee_div_zero 0
		.amdhsa_exception_fp_ieee_overflow 0
		.amdhsa_exception_fp_ieee_underflow 0
		.amdhsa_exception_fp_ieee_inexact 0
		.amdhsa_exception_int_div_zero 0
	.end_amdhsa_kernel
	.section	.text._ZL9mul_mat_fI15__hip_bfloat162Li32ELi11ELi7ELb0EEvPKT_PKfPKiPfiiiiiiiiiiiiiiii,"axG",@progbits,_ZL9mul_mat_fI15__hip_bfloat162Li32ELi11ELi7ELb0EEvPKT_PKfPKiPfiiiiiiiiiiiiiiii,comdat
.Lfunc_end71:
	.size	_ZL9mul_mat_fI15__hip_bfloat162Li32ELi11ELi7ELb0EEvPKT_PKfPKiPfiiiiiiiiiiiiiiii, .Lfunc_end71-_ZL9mul_mat_fI15__hip_bfloat162Li32ELi11ELi7ELb0EEvPKT_PKfPKiPfiiiiiiiiiiiiiiii
                                        ; -- End function
	.section	.AMDGPU.csdata,"",@progbits
; Kernel info:
; codeLenInByte = 6036
; NumSgprs: 62
; NumVgprs: 118
; ScratchSize: 0
; MemoryBound: 0
; FloatMode: 240
; IeeeMode: 1
; LDSByteSize: 0 bytes/workgroup (compile time only)
; SGPRBlocks: 7
; VGPRBlocks: 14
; NumSGPRsForWavesPerEU: 62
; NumVGPRsForWavesPerEU: 118
; Occupancy: 12
; WaveLimiterHint : 0
; COMPUTE_PGM_RSRC2:SCRATCH_EN: 0
; COMPUTE_PGM_RSRC2:USER_SGPR: 13
; COMPUTE_PGM_RSRC2:TRAP_HANDLER: 0
; COMPUTE_PGM_RSRC2:TGID_X_EN: 1
; COMPUTE_PGM_RSRC2:TGID_Y_EN: 1
; COMPUTE_PGM_RSRC2:TGID_Z_EN: 1
; COMPUTE_PGM_RSRC2:TIDIG_COMP_CNT: 1
	.section	.text._ZL13mul_mat_f_idsI15__hip_bfloat162Li32ELi11ELi8EEvPKT_PKfPKiS7_S7_Pfiiiiiiiiiiiiii15HIP_vector_typeIjLj3EESA_,"axG",@progbits,_ZL13mul_mat_f_idsI15__hip_bfloat162Li32ELi11ELi8EEvPKT_PKfPKiS7_S7_Pfiiiiiiiiiiiiii15HIP_vector_typeIjLj3EESA_,comdat
	.globl	_ZL13mul_mat_f_idsI15__hip_bfloat162Li32ELi11ELi8EEvPKT_PKfPKiS7_S7_Pfiiiiiiiiiiiiii15HIP_vector_typeIjLj3EESA_ ; -- Begin function _ZL13mul_mat_f_idsI15__hip_bfloat162Li32ELi11ELi8EEvPKT_PKfPKiS7_S7_Pfiiiiiiiiiiiiii15HIP_vector_typeIjLj3EESA_
	.p2align	8
	.type	_ZL13mul_mat_f_idsI15__hip_bfloat162Li32ELi11ELi8EEvPKT_PKfPKiS7_S7_Pfiiiiiiiiiiiiii15HIP_vector_typeIjLj3EESA_,@function
_ZL13mul_mat_f_idsI15__hip_bfloat162Li32ELi11ELi8EEvPKT_PKfPKiS7_S7_Pfiiiiiiiiiiiiii15HIP_vector_typeIjLj3EESA_: ; @_ZL13mul_mat_f_idsI15__hip_bfloat162Li32ELi11ELi8EEvPKT_PKfPKiS7_S7_Pfiiiiiiiiiiiiii15HIP_vector_typeIjLj3EESA_
; %bb.0:
	s_load_b64 s[4:5], s[0:1], 0x20
	s_mov_b32 s2, s15
	s_ashr_i32 s15, s14, 31
	s_delay_alu instid0(SALU_CYCLE_1)
	s_lshl_b64 s[6:7], s[14:15], 2
	s_waitcnt lgkmcnt(0)
	s_add_u32 s4, s4, s6
	s_addc_u32 s5, s5, s7
	s_load_b64 s[30:31], s[4:5], 0x0
	s_waitcnt lgkmcnt(0)
	s_sub_i32 s33, s31, s30
	s_delay_alu instid0(SALU_CYCLE_1) | instskip(NEXT) | instid1(SALU_CYCLE_1)
	s_add_i32 s3, s33, 10
	s_mul_hi_i32 s3, s3, 0x2e8ba2e9
	s_delay_alu instid0(SALU_CYCLE_1) | instskip(SKIP_1) | instid1(SALU_CYCLE_1)
	s_lshr_b32 s4, s3, 31
	s_ashr_i32 s3, s3, 1
	s_add_i32 s3, s3, s4
	s_delay_alu instid0(SALU_CYCLE_1)
	s_cmp_ge_i32 s2, s3
	s_cbranch_scc1 .LBB72_135
; %bb.1:
	s_clause 0x4
	s_load_b128 s[8:11], s[0:1], 0x30
	s_load_b64 s[24:25], s[0:1], 0x40
	s_load_b128 s[4:7], s[0:1], 0x4c
	s_load_b128 s[16:19], s[0:1], 0x68
	s_load_b64 s[26:27], s[0:1], 0x78
	v_bfe_u32 v105, v0, 10, 10
	v_and_b32_e32 v106, 0x3ff, v0
	s_ashr_i32 s31, s30, 31
	s_waitcnt lgkmcnt(0)
	s_mov_b32 s7, exec_lo
                                        ; implicit-def: $sgpr3
	v_lshlrev_b32_e32 v107, 5, v105
	v_and_b32_e32 v108, 15, v106
	s_delay_alu instid0(VALU_DEP_2) | instskip(NEXT) | instid1(VALU_DEP_1)
	v_add_nc_u32_e32 v80, v107, v106
	v_cmpx_le_i32_e64 s8, v80
	s_xor_b32 s7, exec_lo, s7
; %bb.2:
	v_and_b32_e32 v108, 15, v106
	s_mov_b32 s3, 0
                                        ; implicit-def: $vgpr80
; %bb.3:
	s_or_saveexec_b32 s36, s7
	s_clause 0x1
	s_load_b64 s[34:35], s[0:1], 0x18
	s_load_b64 s[28:29], s[0:1], 0x28
	v_dual_mov_b32 v7, s3 :: v_dual_mov_b32 v6, s3
	v_dual_mov_b32 v5, s3 :: v_dual_mov_b32 v4, s3
	;; [unrolled: 1-line block ×8, first 2 shown]
	s_lshl_b32 s7, s13, 5
	s_mul_i32 s2, s2, 11
	s_xor_b32 exec_lo, exec_lo, s36
	s_cbranch_execz .LBB72_128
; %bb.4:
	s_clause 0x1
	s_load_b128 s[20:23], s[0:1], 0x0
	s_load_b64 s[12:13], s[0:1], 0x10
	s_mul_i32 s0, s7, s11
	s_mul_i32 s14, s14, s4
	s_ashr_i32 s1, s0, 31
	s_ashr_i32 s15, s14, 31
	s_lshl_b64 s[0:1], s[0:1], 2
	s_lshl_b64 s[14:15], s[14:15], 2
	v_dual_mov_b32 v8, 0 :: v_dual_lshlrev_b32 v3, 7, v105
	s_add_u32 s0, s14, s0
	s_addc_u32 s47, s15, s1
	v_mad_u32_u24 v0, 0x900, v105, 0
	v_dual_mov_b32 v110, 0 :: v_dual_lshlrev_b32 v1, 2, v106
	v_mul_u32_u24_e32 v2, 0x90, v108
	s_mov_b32 s41, 0
	s_mul_i32 s45, s11, 3
	s_delay_alu instid0(VALU_DEP_2)
	v_dual_mov_b32 v10, v110 :: v_dual_add_nc_u32 v109, v0, v1
	s_waitcnt lgkmcnt(0)
	s_add_u32 s1, s0, s20
	s_addc_u32 s4, s47, s21
	s_lshl_b64 s[14:15], s[30:31], 2
	v_add_co_u32 v3, s0, s0, v3
	s_add_u32 s14, s12, s14
	s_addc_u32 s15, s13, s15
	s_cmp_lt_i32 s2, s33
	v_add_co_ci_u32_e64 v4, null, s47, 0, s0
	s_cselect_b32 s37, -1, 0
	s_ashr_i32 s3, s2, 31
	v_add_co_u32 v1, vcc_lo, v3, v1
	s_lshl_b64 s[12:13], s[2:3], 2
	v_add_co_ci_u32_e32 v3, vcc_lo, 0, v4, vcc_lo
	s_add_u32 s12, s14, s12
	s_addc_u32 s13, s15, s13
	s_add_i32 s3, s2, 1
	v_add_co_u32 v81, vcc_lo, s20, v1
	s_cmp_lt_i32 s3, s33
	v_add_co_ci_u32_e32 v82, vcc_lo, s21, v3, vcc_lo
	s_cselect_b32 s3, -1, 0
	s_add_i32 s14, s2, 2
	v_dual_mov_b32 v12, v110 :: v_dual_add_nc_u32 v111, v0, v2
	s_cmp_lt_i32 s14, s33
	v_dual_mov_b32 v9, v110 :: v_dual_mov_b32 v0, 0
	s_cselect_b32 s38, -1, 0
	s_add_i32 s14, s2, 3
	v_mov_b32_e32 v11, v110
	s_cmp_lt_i32 s14, s33
	v_mov_b32_e32 v13, v110
	s_cselect_b32 s39, -1, 0
	s_add_i32 s14, s2, 4
	v_mov_b32_e32 v14, v110
	s_cmp_lt_i32 s14, s33
	v_mov_b32_e32 v15, v110
	;; [unrolled: 5-line block ×5, first 2 shown]
	s_cselect_b32 s44, -1, 0
	s_add_i32 s15, s2, 8
	v_mov_b32_e32 v7, v110
	s_cmp_lt_i32 s15, s33
	s_mov_b32 s14, s11
	s_cselect_b32 s46, -1, 0
	s_add_i32 s15, s2, 9
	s_mul_i32 s49, s11, 5
	s_cmp_lt_i32 s15, s33
	s_mul_i32 s50, s11, 6
	s_cselect_b32 s47, -1, 0
	s_add_i32 s0, s2, 10
	s_mul_i32 s51, s11, 7
	s_cmp_lt_i32 s0, s33
	s_mul_i32 s53, s11, 9
	s_cselect_b32 s20, -1, 0
	s_ashr_i32 s15, s11, 31
	s_lshl_b32 s21, s11, 1
	s_lshl_b32 s48, s11, 2
	s_lshl_b64 s[14:15], s[14:15], 2
	s_lshl_b32 s52, s11, 3
	s_mul_i32 s54, s11, 10
	s_mul_i32 s55, s11, 11
	;; [unrolled: 1-line block ×6, first 2 shown]
	s_lshl_b32 s60, s11, 4
	s_mul_i32 s61, s11, 17
	s_mul_i32 s62, s11, 18
	;; [unrolled: 1-line block ×15, first 2 shown]
	s_branch .LBB72_6
.LBB72_5:                               ;   in Loop: Header=BB72_6 Depth=1
	s_or_b32 exec_lo, exec_lo, s0
	s_delay_alu instid0(VALU_DEP_1)
	v_perm_b32 v83, v83, v85, 0x7060302
	v_add_nc_u32_e32 v84, 0x400, v109
	v_add_nc_u32_e32 v85, 0x600, v109
	;; [unrolled: 1-line block ×3, first 2 shown]
	v_add_co_u32 v81, s0, 0x400, v81
	ds_store_2addr_b32 v84, v83, v110 offset0:104 offset1:140
	ds_store_2addr_b32 v84, v110, v110 offset0:176 offset1:212
	;; [unrolled: 1-line block ×3, first 2 shown]
	ds_load_b128 v[83:86], v111
	ds_load_b128 v[87:90], v111 offset:16
	ds_load_b128 v[91:94], v111 offset:32
	;; [unrolled: 1-line block ×5, first 2 shown]
	v_cmp_le_i32_e32 vcc_lo, s8, v80
	v_add_co_ci_u32_e64 v82, s0, 0, v82, s0
	s_or_b32 s41, vcc_lo, s41
	s_waitcnt lgkmcnt(4)
	v_wmma_f32_16x16x16_bf16 v[8:15], v[56:63], v[83:90], v[8:15]
	ds_load_b128 v[56:59], v111 offset:96
	ds_load_b128 v[60:63], v111 offset:112
	v_wmma_f32_16x16x16_bf16 v[0:7], v[72:79], v[83:90], v[0:7]
	s_waitcnt lgkmcnt(4)
	v_wmma_f32_16x16x16_bf16 v[8:15], v[40:47], v[91:98], v[8:15]
	s_delay_alu instid0(VALU_DEP_2) | instskip(SKIP_1) | instid1(VALU_DEP_2)
	v_wmma_f32_16x16x16_bf16 v[0:7], v[64:71], v[91:98], v[0:7]
	s_waitcnt lgkmcnt(2)
	v_wmma_f32_16x16x16_bf16 v[8:15], v[24:31], v[112:119], v[8:15]
	s_delay_alu instid0(VALU_DEP_2) | instskip(SKIP_1) | instid1(VALU_DEP_2)
	v_wmma_f32_16x16x16_bf16 v[0:7], v[48:55], v[112:119], v[0:7]
	s_waitcnt lgkmcnt(0)
	v_wmma_f32_16x16x16_bf16 v[8:15], v[16:23], v[56:63], v[8:15]
	s_delay_alu instid0(VALU_DEP_2)
	v_wmma_f32_16x16x16_bf16 v[0:7], v[32:39], v[56:63], v[0:7]
	s_and_not1_b32 exec_lo, exec_lo, s41
	s_cbranch_execz .LBB72_127
.LBB72_6:                               ; =>This Inner Loop Header: Depth=1
	v_dual_mov_b32 v103, 0 :: v_dual_add_nc_u32 v16, s21, v80
	v_add_nc_u32_e32 v22, s48, v80
	v_add_nc_u32_e32 v18, s45, v80
	v_add_co_u32 v20, vcc_lo, v81, s14
	s_delay_alu instid0(VALU_DEP_4)
	v_ashrrev_i32_e32 v17, 31, v16
	v_add_co_ci_u32_e32 v21, vcc_lo, s15, v82, vcc_lo
	v_ashrrev_i32_e32 v23, 31, v22
	v_ashrrev_i32_e32 v19, 31, v18
	v_add_nc_u32_e32 v24, s49, v80
	v_lshlrev_b64 v[16:17], 2, v[16:17]
	s_clause 0x1
	global_load_b32 v38, v[81:82], off
	global_load_b32 v39, v[20:21], off
	v_lshlrev_b64 v[20:21], 2, v[22:23]
	v_add_nc_u32_e32 v22, s50, v80
	v_lshlrev_b64 v[18:19], 2, v[18:19]
	v_ashrrev_i32_e32 v25, 31, v24
	v_add_nc_u32_e32 v26, s51, v80
	v_add_co_u32 v16, vcc_lo, s1, v16
	v_ashrrev_i32_e32 v23, 31, v22
	v_add_co_ci_u32_e32 v17, vcc_lo, s4, v17, vcc_lo
	v_add_nc_u32_e32 v28, s52, v80
	v_add_co_u32 v18, vcc_lo, s1, v18
	v_lshlrev_b64 v[24:25], 2, v[24:25]
	v_ashrrev_i32_e32 v27, 31, v26
	v_add_co_ci_u32_e32 v19, vcc_lo, s4, v19, vcc_lo
	v_add_nc_u32_e32 v30, s53, v80
	v_add_co_u32 v20, vcc_lo, s1, v20
	v_lshlrev_b64 v[22:23], 2, v[22:23]
	v_ashrrev_i32_e32 v29, 31, v28
	v_add_co_ci_u32_e32 v21, vcc_lo, s4, v21, vcc_lo
	v_add_co_u32 v24, vcc_lo, s1, v24
	v_lshlrev_b64 v[26:27], 2, v[26:27]
	v_ashrrev_i32_e32 v31, 31, v30
	v_add_co_ci_u32_e32 v25, vcc_lo, s4, v25, vcc_lo
	v_add_co_u32 v22, vcc_lo, s1, v22
	v_lshlrev_b64 v[28:29], 2, v[28:29]
	v_add_co_ci_u32_e32 v23, vcc_lo, s4, v23, vcc_lo
	v_add_nc_u32_e32 v32, s54, v80
	v_add_co_u32 v26, vcc_lo, s1, v26
	v_lshlrev_b64 v[30:31], 2, v[30:31]
	v_add_co_ci_u32_e32 v27, vcc_lo, s4, v27, vcc_lo
	v_add_nc_u32_e32 v34, s55, v80
	v_add_co_u32 v28, vcc_lo, s1, v28
	v_ashrrev_i32_e32 v33, 31, v32
	v_add_co_ci_u32_e32 v29, vcc_lo, s4, v29, vcc_lo
	v_add_nc_u32_e32 v36, s56, v80
	v_add_co_u32 v30, vcc_lo, s1, v30
	v_ashrrev_i32_e32 v35, 31, v34
	v_add_co_ci_u32_e32 v31, vcc_lo, s4, v31, vcc_lo
	s_clause 0x7
	global_load_b32 v40, v[16:17], off
	global_load_b32 v41, v[18:19], off
	global_load_b32 v42, v[20:21], off
	global_load_b32 v43, v[24:25], off
	global_load_b32 v44, v[22:23], off
	global_load_b32 v45, v[26:27], off
	global_load_b32 v46, v[28:29], off
	global_load_b32 v47, v[30:31], off
	v_add_nc_u32_e32 v18, s57, v80
	v_lshlrev_b64 v[32:33], 2, v[32:33]
	v_ashrrev_i32_e32 v37, 31, v36
	v_add_nc_u32_e32 v24, s58, v80
	v_lshlrev_b64 v[16:17], 2, v[34:35]
	v_ashrrev_i32_e32 v19, 31, v18
	v_add_nc_u32_e32 v26, s59, v80
	v_add_co_u32 v20, vcc_lo, s1, v32
	v_lshlrev_b64 v[22:23], 2, v[36:37]
	v_ashrrev_i32_e32 v25, 31, v24
	v_add_co_ci_u32_e32 v21, vcc_lo, s4, v33, vcc_lo
	v_add_nc_u32_e32 v28, s60, v80
	v_add_co_u32 v16, vcc_lo, s1, v16
	v_lshlrev_b64 v[18:19], 2, v[18:19]
	v_ashrrev_i32_e32 v27, 31, v26
	v_add_co_ci_u32_e32 v17, vcc_lo, s4, v17, vcc_lo
	v_add_nc_u32_e32 v30, s61, v80
	v_add_co_u32 v22, vcc_lo, s1, v22
	v_lshlrev_b64 v[24:25], 2, v[24:25]
	v_ashrrev_i32_e32 v29, 31, v28
	v_add_co_ci_u32_e32 v23, vcc_lo, s4, v23, vcc_lo
	v_add_co_u32 v18, vcc_lo, s1, v18
	v_lshlrev_b64 v[26:27], 2, v[26:27]
	v_ashrrev_i32_e32 v31, 31, v30
	v_add_co_ci_u32_e32 v19, vcc_lo, s4, v19, vcc_lo
	v_add_co_u32 v24, vcc_lo, s1, v24
	v_lshlrev_b64 v[28:29], 2, v[28:29]
	v_add_co_ci_u32_e32 v25, vcc_lo, s4, v25, vcc_lo
	v_add_nc_u32_e32 v32, s62, v80
	v_add_co_u32 v26, vcc_lo, s1, v26
	v_lshlrev_b64 v[30:31], 2, v[30:31]
	v_add_co_ci_u32_e32 v27, vcc_lo, s4, v27, vcc_lo
	v_add_nc_u32_e32 v34, s63, v80
	v_add_co_u32 v28, vcc_lo, s1, v28
	v_ashrrev_i32_e32 v33, 31, v32
	v_add_co_ci_u32_e32 v29, vcc_lo, s4, v29, vcc_lo
	v_add_nc_u32_e32 v36, s64, v80
	v_add_co_u32 v30, vcc_lo, s1, v30
	v_ashrrev_i32_e32 v35, 31, v34
	v_add_co_ci_u32_e32 v31, vcc_lo, s4, v31, vcc_lo
	s_clause 0x7
	global_load_b32 v48, v[20:21], off
	global_load_b32 v49, v[16:17], off
	global_load_b32 v50, v[22:23], off
	global_load_b32 v51, v[18:19], off
	global_load_b32 v52, v[24:25], off
	global_load_b32 v53, v[26:27], off
	global_load_b32 v54, v[28:29], off
	global_load_b32 v55, v[30:31], off
	v_add_nc_u32_e32 v18, s65, v80
	v_lshlrev_b64 v[32:33], 2, v[32:33]
	v_ashrrev_i32_e32 v37, 31, v36
	v_add_nc_u32_e32 v24, s66, v80
	v_lshlrev_b64 v[16:17], 2, v[34:35]
	v_ashrrev_i32_e32 v19, 31, v18
	v_add_nc_u32_e32 v26, s67, v80
	v_add_co_u32 v20, vcc_lo, s1, v32
	v_lshlrev_b64 v[22:23], 2, v[36:37]
	;; [unrolled: 49-line block ×3, first 2 shown]
	v_ashrrev_i32_e32 v25, 31, v24
	v_add_co_ci_u32_e32 v21, vcc_lo, s4, v33, vcc_lo
	v_add_co_u32 v16, vcc_lo, s1, v16
	v_lshlrev_b64 v[18:19], 2, v[18:19]
	v_ashrrev_i32_e32 v27, 31, v26
	v_add_co_ci_u32_e32 v17, vcc_lo, s4, v17, vcc_lo
	v_add_co_u32 v22, vcc_lo, s1, v22
	v_lshlrev_b64 v[24:25], 2, v[24:25]
	v_add_co_ci_u32_e32 v23, vcc_lo, s4, v23, vcc_lo
	v_add_co_u32 v18, vcc_lo, s1, v18
	v_lshlrev_b64 v[26:27], 2, v[26:27]
	v_add_co_ci_u32_e32 v19, vcc_lo, s4, v19, vcc_lo
	v_add_co_u32 v24, vcc_lo, s1, v24
	v_add_co_ci_u32_e32 v25, vcc_lo, s4, v25, vcc_lo
	s_delay_alu instid0(VALU_DEP_4)
	v_add_co_u32 v26, vcc_lo, s1, v26
	v_add_co_ci_u32_e32 v27, vcc_lo, s4, v27, vcc_lo
	s_clause 0x5
	global_load_b32 v32, v[20:21], off
	global_load_b32 v33, v[16:17], off
	;; [unrolled: 1-line block ×6, first 2 shown]
	v_mov_b32_e32 v104, 0
	s_and_not1_b32 vcc_lo, exec_lo, s37
	s_waitcnt vmcnt(31)
	ds_store_b32 v109, v38
	s_waitcnt vmcnt(30)
	ds_store_b32 v109, v39 offset:144
	s_waitcnt vmcnt(29)
	ds_store_b32 v109, v40 offset:288
	;; [unrolled: 2-line block ×15, first 2 shown]
	ds_load_b128 v[56:59], v111
	ds_load_b128 v[60:63], v111 offset:16
	ds_load_b128 v[40:43], v111 offset:32
	;; [unrolled: 1-line block ×7, first 2 shown]
	s_waitcnt vmcnt(15)
	ds_store_b32 v109, v54
	s_waitcnt vmcnt(14)
	ds_store_b32 v109, v55 offset:144
	s_waitcnt vmcnt(13)
	ds_store_b32 v109, v64 offset:288
	;; [unrolled: 2-line block ×15, first 2 shown]
	ds_load_b128 v[72:75], v111
	ds_load_b128 v[76:79], v111 offset:16
	ds_load_b128 v[64:67], v111 offset:32
	;; [unrolled: 1-line block ×7, first 2 shown]
	s_cbranch_vccnz .LBB72_9
; %bb.7:                                ;   in Loop: Header=BB72_6 Depth=1
	s_load_b32 s0, s[12:13], 0x0
	v_dual_mov_b32 v104, 0 :: v_dual_mov_b32 v103, 0
	s_waitcnt lgkmcnt(0)
	s_mul_hi_u32 s75, s0, s16
	s_delay_alu instid0(SALU_CYCLE_1) | instskip(NEXT) | instid1(SALU_CYCLE_1)
	s_add_i32 s75, s0, s75
	s_lshr_b32 s75, s75, s17
	s_delay_alu instid0(SALU_CYCLE_1)
	s_cmp_ge_i32 s75, s9
	s_cbranch_scc1 .LBB72_9
; %bb.8:                                ;   in Loop: Header=BB72_6 Depth=1
	v_mad_u64_u32 v[83:84], null, s75, s24, v[80:81]
	s_mul_i32 s75, s75, s18
	s_delay_alu instid0(SALU_CYCLE_1) | instskip(NEXT) | instid1(SALU_CYCLE_1)
	s_sub_i32 s0, s0, s75
	s_mul_i32 s0, s0, s5
	s_delay_alu instid0(VALU_DEP_1) | instid1(SALU_CYCLE_1)
	v_lshl_add_u32 v83, v83, 1, s0
	s_delay_alu instid0(VALU_DEP_1) | instskip(NEXT) | instid1(VALU_DEP_1)
	v_ashrrev_i32_e32 v84, 31, v83
	v_lshlrev_b64 v[83:84], 2, v[83:84]
	s_delay_alu instid0(VALU_DEP_1) | instskip(NEXT) | instid1(VALU_DEP_2)
	v_add_co_u32 v83, vcc_lo, s22, v83
	v_add_co_ci_u32_e32 v84, vcc_lo, s23, v84, vcc_lo
	global_load_b64 v[103:104], v[83:84], off
.LBB72_9:                               ;   in Loop: Header=BB72_6 Depth=1
	v_dual_mov_b32 v97, 0 :: v_dual_mov_b32 v102, 0
	v_mov_b32_e32 v101, 0
	s_and_not1_b32 vcc_lo, exec_lo, s3
	s_cbranch_vccnz .LBB72_12
; %bb.10:                               ;   in Loop: Header=BB72_6 Depth=1
	s_load_b32 s0, s[12:13], 0x4
	v_dual_mov_b32 v102, 0 :: v_dual_mov_b32 v101, 0
	s_waitcnt lgkmcnt(0)
	s_mul_hi_u32 s75, s0, s16
	s_delay_alu instid0(SALU_CYCLE_1) | instskip(NEXT) | instid1(SALU_CYCLE_1)
	s_add_i32 s75, s0, s75
	s_lshr_b32 s75, s75, s17
	s_delay_alu instid0(SALU_CYCLE_1)
	s_cmp_ge_i32 s75, s9
	s_cbranch_scc1 .LBB72_12
; %bb.11:                               ;   in Loop: Header=BB72_6 Depth=1
	v_mad_u64_u32 v[83:84], null, s75, s24, v[80:81]
	s_mul_i32 s75, s75, s18
	s_delay_alu instid0(SALU_CYCLE_1) | instskip(NEXT) | instid1(SALU_CYCLE_1)
	s_sub_i32 s0, s0, s75
	s_mul_i32 s0, s0, s5
	s_delay_alu instid0(VALU_DEP_1) | instid1(SALU_CYCLE_1)
	v_lshl_add_u32 v83, v83, 1, s0
	s_delay_alu instid0(VALU_DEP_1) | instskip(NEXT) | instid1(VALU_DEP_1)
	v_ashrrev_i32_e32 v84, 31, v83
	v_lshlrev_b64 v[83:84], 2, v[83:84]
	s_delay_alu instid0(VALU_DEP_1) | instskip(NEXT) | instid1(VALU_DEP_2)
	v_add_co_u32 v83, vcc_lo, s22, v83
	v_add_co_ci_u32_e32 v84, vcc_lo, s23, v84, vcc_lo
	global_load_b64 v[101:102], v[83:84], off
.LBB72_12:                              ;   in Loop: Header=BB72_6 Depth=1
	v_mov_b32_e32 v98, 0
	s_and_not1_b32 vcc_lo, exec_lo, s38
	s_cbranch_vccnz .LBB72_15
; %bb.13:                               ;   in Loop: Header=BB72_6 Depth=1
	s_load_b32 s0, s[12:13], 0x8
	v_dual_mov_b32 v98, 0 :: v_dual_mov_b32 v97, 0
	s_waitcnt lgkmcnt(0)
	s_mul_hi_u32 s75, s0, s16
	s_delay_alu instid0(SALU_CYCLE_1) | instskip(NEXT) | instid1(SALU_CYCLE_1)
	s_add_i32 s75, s0, s75
	s_lshr_b32 s75, s75, s17
	s_delay_alu instid0(SALU_CYCLE_1)
	s_cmp_ge_i32 s75, s9
	s_cbranch_scc1 .LBB72_15
; %bb.14:                               ;   in Loop: Header=BB72_6 Depth=1
	v_mad_u64_u32 v[83:84], null, s75, s24, v[80:81]
	s_mul_i32 s75, s75, s18
	s_delay_alu instid0(SALU_CYCLE_1) | instskip(NEXT) | instid1(SALU_CYCLE_1)
	s_sub_i32 s0, s0, s75
	s_mul_i32 s0, s0, s5
	s_delay_alu instid0(VALU_DEP_1) | instid1(SALU_CYCLE_1)
	v_lshl_add_u32 v83, v83, 1, s0
	s_delay_alu instid0(VALU_DEP_1) | instskip(NEXT) | instid1(VALU_DEP_1)
	v_ashrrev_i32_e32 v84, 31, v83
	v_lshlrev_b64 v[83:84], 2, v[83:84]
	s_delay_alu instid0(VALU_DEP_1) | instskip(NEXT) | instid1(VALU_DEP_2)
	v_add_co_u32 v83, vcc_lo, s22, v83
	v_add_co_ci_u32_e32 v84, vcc_lo, s23, v84, vcc_lo
	global_load_b64 v[97:98], v[83:84], off
.LBB72_15:                              ;   in Loop: Header=BB72_6 Depth=1
	v_dual_mov_b32 v93, 0 :: v_dual_mov_b32 v100, 0
	v_mov_b32_e32 v99, 0
	s_and_not1_b32 vcc_lo, exec_lo, s39
	s_cbranch_vccnz .LBB72_18
; %bb.16:                               ;   in Loop: Header=BB72_6 Depth=1
	s_load_b32 s0, s[12:13], 0xc
	v_dual_mov_b32 v100, 0 :: v_dual_mov_b32 v99, 0
	s_waitcnt lgkmcnt(0)
	s_mul_hi_u32 s75, s0, s16
	s_delay_alu instid0(SALU_CYCLE_1) | instskip(NEXT) | instid1(SALU_CYCLE_1)
	s_add_i32 s75, s0, s75
	s_lshr_b32 s75, s75, s17
	s_delay_alu instid0(SALU_CYCLE_1)
	s_cmp_ge_i32 s75, s9
	s_cbranch_scc1 .LBB72_18
; %bb.17:                               ;   in Loop: Header=BB72_6 Depth=1
	v_mad_u64_u32 v[83:84], null, s75, s24, v[80:81]
	s_mul_i32 s75, s75, s18
	s_delay_alu instid0(SALU_CYCLE_1) | instskip(NEXT) | instid1(SALU_CYCLE_1)
	s_sub_i32 s0, s0, s75
	s_mul_i32 s0, s0, s5
	s_delay_alu instid0(VALU_DEP_1) | instid1(SALU_CYCLE_1)
	v_lshl_add_u32 v83, v83, 1, s0
	s_delay_alu instid0(VALU_DEP_1) | instskip(NEXT) | instid1(VALU_DEP_1)
	v_ashrrev_i32_e32 v84, 31, v83
	v_lshlrev_b64 v[83:84], 2, v[83:84]
	s_delay_alu instid0(VALU_DEP_1) | instskip(NEXT) | instid1(VALU_DEP_2)
	v_add_co_u32 v83, vcc_lo, s22, v83
	v_add_co_ci_u32_e32 v84, vcc_lo, s23, v84, vcc_lo
	global_load_b64 v[99:100], v[83:84], off
.LBB72_18:                              ;   in Loop: Header=BB72_6 Depth=1
	v_mov_b32_e32 v94, 0
	s_and_not1_b32 vcc_lo, exec_lo, s40
	s_cbranch_vccnz .LBB72_21
; %bb.19:                               ;   in Loop: Header=BB72_6 Depth=1
	s_load_b32 s0, s[12:13], 0x10
	v_dual_mov_b32 v94, 0 :: v_dual_mov_b32 v93, 0
	s_waitcnt lgkmcnt(0)
	s_mul_hi_u32 s75, s0, s16
	s_delay_alu instid0(SALU_CYCLE_1) | instskip(NEXT) | instid1(SALU_CYCLE_1)
	s_add_i32 s75, s0, s75
	s_lshr_b32 s75, s75, s17
	s_delay_alu instid0(SALU_CYCLE_1)
	s_cmp_ge_i32 s75, s9
	s_cbranch_scc1 .LBB72_21
; %bb.20:                               ;   in Loop: Header=BB72_6 Depth=1
	v_mad_u64_u32 v[83:84], null, s75, s24, v[80:81]
	s_mul_i32 s75, s75, s18
	s_delay_alu instid0(SALU_CYCLE_1) | instskip(NEXT) | instid1(SALU_CYCLE_1)
	s_sub_i32 s0, s0, s75
	s_mul_i32 s0, s0, s5
	s_delay_alu instid0(VALU_DEP_1) | instid1(SALU_CYCLE_1)
	v_lshl_add_u32 v83, v83, 1, s0
	s_delay_alu instid0(VALU_DEP_1) | instskip(NEXT) | instid1(VALU_DEP_1)
	v_ashrrev_i32_e32 v84, 31, v83
	v_lshlrev_b64 v[83:84], 2, v[83:84]
	s_delay_alu instid0(VALU_DEP_1) | instskip(NEXT) | instid1(VALU_DEP_2)
	v_add_co_u32 v83, vcc_lo, s22, v83
	v_add_co_ci_u32_e32 v84, vcc_lo, s23, v84, vcc_lo
	global_load_b64 v[93:94], v[83:84], off
.LBB72_21:                              ;   in Loop: Header=BB72_6 Depth=1
	;; [unrolled: 61-line block ×5, first 2 shown]
	s_waitcnt vmcnt(0)
	v_and_b32_e32 v112, 0x7f800000, v103
	s_delay_alu instid0(VALU_DEP_1) | instskip(SKIP_1) | instid1(SALU_CYCLE_1)
	v_cmp_ne_u32_e32 vcc_lo, 0x7f800000, v112
                                        ; implicit-def: $vgpr112
	s_and_saveexec_b32 s0, vcc_lo
	s_xor_b32 s0, exec_lo, s0
; %bb.40:                               ;   in Loop: Header=BB72_6 Depth=1
	v_bfe_u32 v112, v103, 16, 1
	s_delay_alu instid0(VALU_DEP_1)
	v_add3_u32 v112, v103, v112, 0x7fff
; %bb.41:                               ;   in Loop: Header=BB72_6 Depth=1
	s_and_not1_saveexec_b32 s0, s0
; %bb.42:                               ;   in Loop: Header=BB72_6 Depth=1
	v_and_b32_e32 v112, 0xffff, v103
	v_or_b32_e32 v113, 0x10000, v103
	s_delay_alu instid0(VALU_DEP_2) | instskip(NEXT) | instid1(VALU_DEP_2)
	v_cmp_eq_u32_e32 vcc_lo, 0, v112
	v_cndmask_b32_e32 v112, v113, v103, vcc_lo
; %bb.43:                               ;   in Loop: Header=BB72_6 Depth=1
	s_or_b32 exec_lo, exec_lo, s0
	v_and_b32_e32 v103, 0x7f800000, v104
	s_delay_alu instid0(VALU_DEP_1) | instskip(SKIP_1) | instid1(SALU_CYCLE_1)
	v_cmp_ne_u32_e32 vcc_lo, 0x7f800000, v103
                                        ; implicit-def: $vgpr103
	s_and_saveexec_b32 s0, vcc_lo
	s_xor_b32 s0, exec_lo, s0
; %bb.44:                               ;   in Loop: Header=BB72_6 Depth=1
	v_bfe_u32 v103, v104, 16, 1
	s_delay_alu instid0(VALU_DEP_1)
	v_add3_u32 v103, v104, v103, 0x7fff
                                        ; implicit-def: $vgpr104
; %bb.45:                               ;   in Loop: Header=BB72_6 Depth=1
	s_and_not1_saveexec_b32 s0, s0
; %bb.46:                               ;   in Loop: Header=BB72_6 Depth=1
	v_and_b32_e32 v103, 0xffff, v104
	v_or_b32_e32 v113, 0x10000, v104
	s_delay_alu instid0(VALU_DEP_2) | instskip(NEXT) | instid1(VALU_DEP_2)
	v_cmp_eq_u32_e32 vcc_lo, 0, v103
	v_cndmask_b32_e32 v103, v113, v104, vcc_lo
; %bb.47:                               ;   in Loop: Header=BB72_6 Depth=1
	s_or_b32 exec_lo, exec_lo, s0
	v_and_b32_e32 v104, 0x7f800000, v101
	s_delay_alu instid0(VALU_DEP_2)
	v_perm_b32 v103, v103, v112, 0x7060302
	s_mov_b32 s0, exec_lo
	ds_store_b32 v109, v103
                                        ; implicit-def: $vgpr103
	v_cmpx_ne_u32_e32 0x7f800000, v104
	s_xor_b32 s0, exec_lo, s0
; %bb.48:                               ;   in Loop: Header=BB72_6 Depth=1
	v_bfe_u32 v103, v101, 16, 1
	s_delay_alu instid0(VALU_DEP_1)
	v_add3_u32 v103, v101, v103, 0x7fff
; %bb.49:                               ;   in Loop: Header=BB72_6 Depth=1
	s_and_not1_saveexec_b32 s0, s0
; %bb.50:                               ;   in Loop: Header=BB72_6 Depth=1
	v_and_b32_e32 v103, 0xffff, v101
	v_or_b32_e32 v104, 0x10000, v101
	s_delay_alu instid0(VALU_DEP_2) | instskip(NEXT) | instid1(VALU_DEP_2)
	v_cmp_eq_u32_e32 vcc_lo, 0, v103
	v_cndmask_b32_e32 v103, v104, v101, vcc_lo
; %bb.51:                               ;   in Loop: Header=BB72_6 Depth=1
	s_or_b32 exec_lo, exec_lo, s0
	v_and_b32_e32 v101, 0x7f800000, v102
	s_delay_alu instid0(VALU_DEP_1) | instskip(SKIP_1) | instid1(SALU_CYCLE_1)
	v_cmp_ne_u32_e32 vcc_lo, 0x7f800000, v101
                                        ; implicit-def: $vgpr101
	s_and_saveexec_b32 s0, vcc_lo
	s_xor_b32 s0, exec_lo, s0
; %bb.52:                               ;   in Loop: Header=BB72_6 Depth=1
	v_bfe_u32 v101, v102, 16, 1
	s_delay_alu instid0(VALU_DEP_1)
	v_add3_u32 v101, v102, v101, 0x7fff
                                        ; implicit-def: $vgpr102
; %bb.53:                               ;   in Loop: Header=BB72_6 Depth=1
	s_and_not1_saveexec_b32 s0, s0
; %bb.54:                               ;   in Loop: Header=BB72_6 Depth=1
	v_and_b32_e32 v101, 0xffff, v102
	v_or_b32_e32 v104, 0x10000, v102
	s_delay_alu instid0(VALU_DEP_2) | instskip(NEXT) | instid1(VALU_DEP_2)
	v_cmp_eq_u32_e32 vcc_lo, 0, v101
	v_cndmask_b32_e32 v101, v104, v102, vcc_lo
; %bb.55:                               ;   in Loop: Header=BB72_6 Depth=1
	s_or_b32 exec_lo, exec_lo, s0
	v_and_b32_e32 v102, 0x7f800000, v97
	s_delay_alu instid0(VALU_DEP_2)
	v_perm_b32 v101, v101, v103, 0x7060302
	s_mov_b32 s0, exec_lo
	ds_store_b32 v109, v101 offset:144
                                        ; implicit-def: $vgpr101
	v_cmpx_ne_u32_e32 0x7f800000, v102
	s_xor_b32 s0, exec_lo, s0
; %bb.56:                               ;   in Loop: Header=BB72_6 Depth=1
	v_bfe_u32 v101, v97, 16, 1
	s_delay_alu instid0(VALU_DEP_1)
	v_add3_u32 v101, v97, v101, 0x7fff
; %bb.57:                               ;   in Loop: Header=BB72_6 Depth=1
	s_and_not1_saveexec_b32 s0, s0
; %bb.58:                               ;   in Loop: Header=BB72_6 Depth=1
	v_and_b32_e32 v101, 0xffff, v97
	v_or_b32_e32 v102, 0x10000, v97
	s_delay_alu instid0(VALU_DEP_2) | instskip(NEXT) | instid1(VALU_DEP_2)
	v_cmp_eq_u32_e32 vcc_lo, 0, v101
	v_cndmask_b32_e32 v101, v102, v97, vcc_lo
; %bb.59:                               ;   in Loop: Header=BB72_6 Depth=1
	s_or_b32 exec_lo, exec_lo, s0
	v_and_b32_e32 v97, 0x7f800000, v98
	s_delay_alu instid0(VALU_DEP_1) | instskip(SKIP_1) | instid1(SALU_CYCLE_1)
	v_cmp_ne_u32_e32 vcc_lo, 0x7f800000, v97
                                        ; implicit-def: $vgpr97
	s_and_saveexec_b32 s0, vcc_lo
	s_xor_b32 s0, exec_lo, s0
; %bb.60:                               ;   in Loop: Header=BB72_6 Depth=1
	v_bfe_u32 v97, v98, 16, 1
	s_delay_alu instid0(VALU_DEP_1)
	v_add3_u32 v97, v98, v97, 0x7fff
                                        ; implicit-def: $vgpr98
; %bb.61:                               ;   in Loop: Header=BB72_6 Depth=1
	s_and_not1_saveexec_b32 s0, s0
; %bb.62:                               ;   in Loop: Header=BB72_6 Depth=1
	v_and_b32_e32 v97, 0xffff, v98
	v_or_b32_e32 v102, 0x10000, v98
	s_delay_alu instid0(VALU_DEP_2) | instskip(NEXT) | instid1(VALU_DEP_2)
	v_cmp_eq_u32_e32 vcc_lo, 0, v97
	v_cndmask_b32_e32 v97, v102, v98, vcc_lo
; %bb.63:                               ;   in Loop: Header=BB72_6 Depth=1
	s_or_b32 exec_lo, exec_lo, s0
	v_and_b32_e32 v98, 0x7f800000, v99
	s_delay_alu instid0(VALU_DEP_2)
	v_perm_b32 v97, v97, v101, 0x7060302
	s_mov_b32 s0, exec_lo
	ds_store_b32 v109, v97 offset:288
                                        ; implicit-def: $vgpr97
	v_cmpx_ne_u32_e32 0x7f800000, v98
	s_xor_b32 s0, exec_lo, s0
; %bb.64:                               ;   in Loop: Header=BB72_6 Depth=1
	v_bfe_u32 v97, v99, 16, 1
	s_delay_alu instid0(VALU_DEP_1)
	v_add3_u32 v97, v99, v97, 0x7fff
; %bb.65:                               ;   in Loop: Header=BB72_6 Depth=1
	s_and_not1_saveexec_b32 s0, s0
; %bb.66:                               ;   in Loop: Header=BB72_6 Depth=1
	v_and_b32_e32 v97, 0xffff, v99
	v_or_b32_e32 v98, 0x10000, v99
	s_delay_alu instid0(VALU_DEP_2) | instskip(NEXT) | instid1(VALU_DEP_2)
	v_cmp_eq_u32_e32 vcc_lo, 0, v97
	v_cndmask_b32_e32 v97, v98, v99, vcc_lo
; %bb.67:                               ;   in Loop: Header=BB72_6 Depth=1
	s_or_b32 exec_lo, exec_lo, s0
	v_and_b32_e32 v98, 0x7f800000, v100
	s_delay_alu instid0(VALU_DEP_1) | instskip(SKIP_1) | instid1(SALU_CYCLE_1)
	v_cmp_ne_u32_e32 vcc_lo, 0x7f800000, v98
                                        ; implicit-def: $vgpr98
	s_and_saveexec_b32 s0, vcc_lo
	s_xor_b32 s0, exec_lo, s0
; %bb.68:                               ;   in Loop: Header=BB72_6 Depth=1
	v_bfe_u32 v98, v100, 16, 1
	s_delay_alu instid0(VALU_DEP_1)
	v_add3_u32 v98, v100, v98, 0x7fff
                                        ; implicit-def: $vgpr100
; %bb.69:                               ;   in Loop: Header=BB72_6 Depth=1
	s_and_not1_saveexec_b32 s0, s0
; %bb.70:                               ;   in Loop: Header=BB72_6 Depth=1
	v_and_b32_e32 v98, 0xffff, v100
	v_or_b32_e32 v99, 0x10000, v100
	s_delay_alu instid0(VALU_DEP_2) | instskip(NEXT) | instid1(VALU_DEP_2)
	v_cmp_eq_u32_e32 vcc_lo, 0, v98
	v_cndmask_b32_e32 v98, v99, v100, vcc_lo
; %bb.71:                               ;   in Loop: Header=BB72_6 Depth=1
	s_or_b32 exec_lo, exec_lo, s0
	v_and_b32_e32 v99, 0x7f800000, v93
	s_delay_alu instid0(VALU_DEP_2)
	v_perm_b32 v97, v98, v97, 0x7060302
	s_mov_b32 s0, exec_lo
	ds_store_b32 v109, v97 offset:432
                                        ; implicit-def: $vgpr97
	v_cmpx_ne_u32_e32 0x7f800000, v99
	s_xor_b32 s0, exec_lo, s0
; %bb.72:                               ;   in Loop: Header=BB72_6 Depth=1
	v_bfe_u32 v97, v93, 16, 1
	s_delay_alu instid0(VALU_DEP_1)
	v_add3_u32 v97, v93, v97, 0x7fff
; %bb.73:                               ;   in Loop: Header=BB72_6 Depth=1
	s_and_not1_saveexec_b32 s0, s0
; %bb.74:                               ;   in Loop: Header=BB72_6 Depth=1
	v_and_b32_e32 v97, 0xffff, v93
	v_or_b32_e32 v98, 0x10000, v93
	s_delay_alu instid0(VALU_DEP_2) | instskip(NEXT) | instid1(VALU_DEP_2)
	v_cmp_eq_u32_e32 vcc_lo, 0, v97
	v_cndmask_b32_e32 v97, v98, v93, vcc_lo
; %bb.75:                               ;   in Loop: Header=BB72_6 Depth=1
	s_or_b32 exec_lo, exec_lo, s0
	v_and_b32_e32 v93, 0x7f800000, v94
	s_delay_alu instid0(VALU_DEP_1) | instskip(SKIP_1) | instid1(SALU_CYCLE_1)
	v_cmp_ne_u32_e32 vcc_lo, 0x7f800000, v93
                                        ; implicit-def: $vgpr93
	s_and_saveexec_b32 s0, vcc_lo
	s_xor_b32 s0, exec_lo, s0
; %bb.76:                               ;   in Loop: Header=BB72_6 Depth=1
	v_bfe_u32 v93, v94, 16, 1
	s_delay_alu instid0(VALU_DEP_1)
	v_add3_u32 v93, v94, v93, 0x7fff
                                        ; implicit-def: $vgpr94
; %bb.77:                               ;   in Loop: Header=BB72_6 Depth=1
	s_and_not1_saveexec_b32 s0, s0
; %bb.78:                               ;   in Loop: Header=BB72_6 Depth=1
	v_and_b32_e32 v93, 0xffff, v94
	v_or_b32_e32 v98, 0x10000, v94
	s_delay_alu instid0(VALU_DEP_2) | instskip(NEXT) | instid1(VALU_DEP_2)
	v_cmp_eq_u32_e32 vcc_lo, 0, v93
	v_cndmask_b32_e32 v93, v98, v94, vcc_lo
; %bb.79:                               ;   in Loop: Header=BB72_6 Depth=1
	s_or_b32 exec_lo, exec_lo, s0
	v_and_b32_e32 v94, 0x7f800000, v95
	s_delay_alu instid0(VALU_DEP_2)
	v_perm_b32 v93, v93, v97, 0x7060302
	s_mov_b32 s0, exec_lo
	ds_store_b32 v109, v93 offset:576
                                        ; implicit-def: $vgpr93
	v_cmpx_ne_u32_e32 0x7f800000, v94
	s_xor_b32 s0, exec_lo, s0
; %bb.80:                               ;   in Loop: Header=BB72_6 Depth=1
	v_bfe_u32 v93, v95, 16, 1
	s_delay_alu instid0(VALU_DEP_1)
	v_add3_u32 v93, v95, v93, 0x7fff
; %bb.81:                               ;   in Loop: Header=BB72_6 Depth=1
	s_and_not1_saveexec_b32 s0, s0
; %bb.82:                               ;   in Loop: Header=BB72_6 Depth=1
	v_and_b32_e32 v93, 0xffff, v95
	v_or_b32_e32 v94, 0x10000, v95
	s_delay_alu instid0(VALU_DEP_2) | instskip(NEXT) | instid1(VALU_DEP_2)
	v_cmp_eq_u32_e32 vcc_lo, 0, v93
	v_cndmask_b32_e32 v93, v94, v95, vcc_lo
; %bb.83:                               ;   in Loop: Header=BB72_6 Depth=1
	s_or_b32 exec_lo, exec_lo, s0
	v_and_b32_e32 v94, 0x7f800000, v96
	s_delay_alu instid0(VALU_DEP_1) | instskip(SKIP_1) | instid1(SALU_CYCLE_1)
	v_cmp_ne_u32_e32 vcc_lo, 0x7f800000, v94
                                        ; implicit-def: $vgpr94
	s_and_saveexec_b32 s0, vcc_lo
	s_xor_b32 s0, exec_lo, s0
; %bb.84:                               ;   in Loop: Header=BB72_6 Depth=1
	v_bfe_u32 v94, v96, 16, 1
	s_delay_alu instid0(VALU_DEP_1)
	v_add3_u32 v94, v96, v94, 0x7fff
                                        ; implicit-def: $vgpr96
; %bb.85:                               ;   in Loop: Header=BB72_6 Depth=1
	s_and_not1_saveexec_b32 s0, s0
; %bb.86:                               ;   in Loop: Header=BB72_6 Depth=1
	v_and_b32_e32 v94, 0xffff, v96
	v_or_b32_e32 v95, 0x10000, v96
	s_delay_alu instid0(VALU_DEP_2) | instskip(NEXT) | instid1(VALU_DEP_2)
	v_cmp_eq_u32_e32 vcc_lo, 0, v94
	v_cndmask_b32_e32 v94, v95, v96, vcc_lo
; %bb.87:                               ;   in Loop: Header=BB72_6 Depth=1
	s_or_b32 exec_lo, exec_lo, s0
	v_and_b32_e32 v95, 0x7f800000, v89
	s_delay_alu instid0(VALU_DEP_2)
	v_perm_b32 v93, v94, v93, 0x7060302
	s_mov_b32 s0, exec_lo
	ds_store_b32 v109, v93 offset:720
                                        ; implicit-def: $vgpr93
	v_cmpx_ne_u32_e32 0x7f800000, v95
	s_xor_b32 s0, exec_lo, s0
; %bb.88:                               ;   in Loop: Header=BB72_6 Depth=1
	v_bfe_u32 v93, v89, 16, 1
	s_delay_alu instid0(VALU_DEP_1)
	v_add3_u32 v93, v89, v93, 0x7fff
; %bb.89:                               ;   in Loop: Header=BB72_6 Depth=1
	s_and_not1_saveexec_b32 s0, s0
; %bb.90:                               ;   in Loop: Header=BB72_6 Depth=1
	v_and_b32_e32 v93, 0xffff, v89
	v_or_b32_e32 v94, 0x10000, v89
	s_delay_alu instid0(VALU_DEP_2) | instskip(NEXT) | instid1(VALU_DEP_2)
	v_cmp_eq_u32_e32 vcc_lo, 0, v93
	v_cndmask_b32_e32 v93, v94, v89, vcc_lo
; %bb.91:                               ;   in Loop: Header=BB72_6 Depth=1
	s_or_b32 exec_lo, exec_lo, s0
	v_and_b32_e32 v89, 0x7f800000, v90
	s_delay_alu instid0(VALU_DEP_1) | instskip(SKIP_1) | instid1(SALU_CYCLE_1)
	v_cmp_ne_u32_e32 vcc_lo, 0x7f800000, v89
                                        ; implicit-def: $vgpr89
	s_and_saveexec_b32 s0, vcc_lo
	s_xor_b32 s0, exec_lo, s0
; %bb.92:                               ;   in Loop: Header=BB72_6 Depth=1
	v_bfe_u32 v89, v90, 16, 1
	s_delay_alu instid0(VALU_DEP_1)
	v_add3_u32 v89, v90, v89, 0x7fff
                                        ; implicit-def: $vgpr90
; %bb.93:                               ;   in Loop: Header=BB72_6 Depth=1
	s_and_not1_saveexec_b32 s0, s0
; %bb.94:                               ;   in Loop: Header=BB72_6 Depth=1
	v_and_b32_e32 v89, 0xffff, v90
	v_or_b32_e32 v94, 0x10000, v90
	s_delay_alu instid0(VALU_DEP_2) | instskip(NEXT) | instid1(VALU_DEP_2)
	v_cmp_eq_u32_e32 vcc_lo, 0, v89
	v_cndmask_b32_e32 v89, v94, v90, vcc_lo
; %bb.95:                               ;   in Loop: Header=BB72_6 Depth=1
	s_or_b32 exec_lo, exec_lo, s0
	v_and_b32_e32 v90, 0x7f800000, v91
	s_delay_alu instid0(VALU_DEP_2)
	v_perm_b32 v89, v89, v93, 0x7060302
	s_mov_b32 s0, exec_lo
	ds_store_b32 v109, v89 offset:864
                                        ; implicit-def: $vgpr89
	v_cmpx_ne_u32_e32 0x7f800000, v90
	s_xor_b32 s0, exec_lo, s0
; %bb.96:                               ;   in Loop: Header=BB72_6 Depth=1
	v_bfe_u32 v89, v91, 16, 1
	s_delay_alu instid0(VALU_DEP_1)
	v_add3_u32 v89, v91, v89, 0x7fff
; %bb.97:                               ;   in Loop: Header=BB72_6 Depth=1
	s_and_not1_saveexec_b32 s0, s0
; %bb.98:                               ;   in Loop: Header=BB72_6 Depth=1
	v_and_b32_e32 v89, 0xffff, v91
	v_or_b32_e32 v90, 0x10000, v91
	s_delay_alu instid0(VALU_DEP_2) | instskip(NEXT) | instid1(VALU_DEP_2)
	v_cmp_eq_u32_e32 vcc_lo, 0, v89
	v_cndmask_b32_e32 v89, v90, v91, vcc_lo
; %bb.99:                               ;   in Loop: Header=BB72_6 Depth=1
	s_or_b32 exec_lo, exec_lo, s0
	v_and_b32_e32 v90, 0x7f800000, v92
	s_delay_alu instid0(VALU_DEP_1) | instskip(SKIP_1) | instid1(SALU_CYCLE_1)
	v_cmp_ne_u32_e32 vcc_lo, 0x7f800000, v90
                                        ; implicit-def: $vgpr90
	s_and_saveexec_b32 s0, vcc_lo
	s_xor_b32 s0, exec_lo, s0
; %bb.100:                              ;   in Loop: Header=BB72_6 Depth=1
	v_bfe_u32 v90, v92, 16, 1
	s_delay_alu instid0(VALU_DEP_1)
	v_add3_u32 v90, v92, v90, 0x7fff
                                        ; implicit-def: $vgpr92
; %bb.101:                              ;   in Loop: Header=BB72_6 Depth=1
	s_and_not1_saveexec_b32 s0, s0
; %bb.102:                              ;   in Loop: Header=BB72_6 Depth=1
	v_and_b32_e32 v90, 0xffff, v92
	v_or_b32_e32 v91, 0x10000, v92
	s_delay_alu instid0(VALU_DEP_2) | instskip(NEXT) | instid1(VALU_DEP_2)
	v_cmp_eq_u32_e32 vcc_lo, 0, v90
	v_cndmask_b32_e32 v90, v91, v92, vcc_lo
; %bb.103:                              ;   in Loop: Header=BB72_6 Depth=1
	s_or_b32 exec_lo, exec_lo, s0
	v_and_b32_e32 v91, 0x7f800000, v85
	s_delay_alu instid0(VALU_DEP_2)
	v_perm_b32 v89, v90, v89, 0x7060302
	s_mov_b32 s0, exec_lo
	ds_store_b32 v109, v89 offset:1008
                                        ; implicit-def: $vgpr89
	v_cmpx_ne_u32_e32 0x7f800000, v91
	s_xor_b32 s0, exec_lo, s0
; %bb.104:                              ;   in Loop: Header=BB72_6 Depth=1
	v_bfe_u32 v89, v85, 16, 1
	s_delay_alu instid0(VALU_DEP_1)
	v_add3_u32 v89, v85, v89, 0x7fff
; %bb.105:                              ;   in Loop: Header=BB72_6 Depth=1
	s_and_not1_saveexec_b32 s0, s0
; %bb.106:                              ;   in Loop: Header=BB72_6 Depth=1
	v_and_b32_e32 v89, 0xffff, v85
	v_or_b32_e32 v90, 0x10000, v85
	s_delay_alu instid0(VALU_DEP_2) | instskip(NEXT) | instid1(VALU_DEP_2)
	v_cmp_eq_u32_e32 vcc_lo, 0, v89
	v_cndmask_b32_e32 v89, v90, v85, vcc_lo
; %bb.107:                              ;   in Loop: Header=BB72_6 Depth=1
	s_or_b32 exec_lo, exec_lo, s0
	v_and_b32_e32 v85, 0x7f800000, v86
	s_delay_alu instid0(VALU_DEP_1) | instskip(SKIP_1) | instid1(SALU_CYCLE_1)
	v_cmp_ne_u32_e32 vcc_lo, 0x7f800000, v85
                                        ; implicit-def: $vgpr85
	s_and_saveexec_b32 s0, vcc_lo
	s_xor_b32 s0, exec_lo, s0
; %bb.108:                              ;   in Loop: Header=BB72_6 Depth=1
	v_bfe_u32 v85, v86, 16, 1
	s_delay_alu instid0(VALU_DEP_1)
	v_add3_u32 v85, v86, v85, 0x7fff
                                        ; implicit-def: $vgpr86
; %bb.109:                              ;   in Loop: Header=BB72_6 Depth=1
	s_and_not1_saveexec_b32 s0, s0
; %bb.110:                              ;   in Loop: Header=BB72_6 Depth=1
	v_and_b32_e32 v85, 0xffff, v86
	v_or_b32_e32 v90, 0x10000, v86
	s_delay_alu instid0(VALU_DEP_2) | instskip(NEXT) | instid1(VALU_DEP_2)
	v_cmp_eq_u32_e32 vcc_lo, 0, v85
	v_cndmask_b32_e32 v85, v90, v86, vcc_lo
; %bb.111:                              ;   in Loop: Header=BB72_6 Depth=1
	s_or_b32 exec_lo, exec_lo, s0
	v_and_b32_e32 v86, 0x7f800000, v87
	s_delay_alu instid0(VALU_DEP_2)
	v_perm_b32 v85, v85, v89, 0x7060302
	s_mov_b32 s0, exec_lo
	ds_store_b32 v109, v85 offset:1152
                                        ; implicit-def: $vgpr85
	v_cmpx_ne_u32_e32 0x7f800000, v86
	s_xor_b32 s0, exec_lo, s0
; %bb.112:                              ;   in Loop: Header=BB72_6 Depth=1
	v_bfe_u32 v85, v87, 16, 1
	s_delay_alu instid0(VALU_DEP_1)
	v_add3_u32 v85, v87, v85, 0x7fff
; %bb.113:                              ;   in Loop: Header=BB72_6 Depth=1
	s_and_not1_saveexec_b32 s0, s0
; %bb.114:                              ;   in Loop: Header=BB72_6 Depth=1
	v_and_b32_e32 v85, 0xffff, v87
	v_or_b32_e32 v86, 0x10000, v87
	s_delay_alu instid0(VALU_DEP_2) | instskip(NEXT) | instid1(VALU_DEP_2)
	v_cmp_eq_u32_e32 vcc_lo, 0, v85
	v_cndmask_b32_e32 v85, v86, v87, vcc_lo
; %bb.115:                              ;   in Loop: Header=BB72_6 Depth=1
	s_or_b32 exec_lo, exec_lo, s0
	v_and_b32_e32 v86, 0x7f800000, v88
	s_delay_alu instid0(VALU_DEP_1) | instskip(SKIP_1) | instid1(SALU_CYCLE_1)
	v_cmp_ne_u32_e32 vcc_lo, 0x7f800000, v86
                                        ; implicit-def: $vgpr86
	s_and_saveexec_b32 s0, vcc_lo
	s_xor_b32 s0, exec_lo, s0
; %bb.116:                              ;   in Loop: Header=BB72_6 Depth=1
	v_bfe_u32 v86, v88, 16, 1
	s_delay_alu instid0(VALU_DEP_1)
	v_add3_u32 v86, v88, v86, 0x7fff
                                        ; implicit-def: $vgpr88
; %bb.117:                              ;   in Loop: Header=BB72_6 Depth=1
	s_and_not1_saveexec_b32 s0, s0
; %bb.118:                              ;   in Loop: Header=BB72_6 Depth=1
	v_and_b32_e32 v86, 0xffff, v88
	v_or_b32_e32 v87, 0x10000, v88
	s_delay_alu instid0(VALU_DEP_2) | instskip(NEXT) | instid1(VALU_DEP_2)
	v_cmp_eq_u32_e32 vcc_lo, 0, v86
	v_cndmask_b32_e32 v86, v87, v88, vcc_lo
; %bb.119:                              ;   in Loop: Header=BB72_6 Depth=1
	s_or_b32 exec_lo, exec_lo, s0
	v_and_b32_e32 v87, 0x7f800000, v83
	s_delay_alu instid0(VALU_DEP_2)
	v_perm_b32 v85, v86, v85, 0x7060302
	s_mov_b32 s0, exec_lo
	ds_store_b32 v109, v85 offset:1296
                                        ; implicit-def: $vgpr85
	v_cmpx_ne_u32_e32 0x7f800000, v87
	s_xor_b32 s0, exec_lo, s0
; %bb.120:                              ;   in Loop: Header=BB72_6 Depth=1
	v_bfe_u32 v85, v83, 16, 1
	s_delay_alu instid0(VALU_DEP_1)
	v_add3_u32 v85, v83, v85, 0x7fff
; %bb.121:                              ;   in Loop: Header=BB72_6 Depth=1
	s_and_not1_saveexec_b32 s0, s0
; %bb.122:                              ;   in Loop: Header=BB72_6 Depth=1
	v_and_b32_e32 v85, 0xffff, v83
	v_or_b32_e32 v86, 0x10000, v83
	s_delay_alu instid0(VALU_DEP_2) | instskip(NEXT) | instid1(VALU_DEP_2)
	v_cmp_eq_u32_e32 vcc_lo, 0, v85
	v_cndmask_b32_e32 v85, v86, v83, vcc_lo
; %bb.123:                              ;   in Loop: Header=BB72_6 Depth=1
	s_or_b32 exec_lo, exec_lo, s0
	v_and_b32_e32 v83, 0x7f800000, v84
	s_delay_alu instid0(VALU_DEP_1) | instskip(SKIP_1) | instid1(SALU_CYCLE_1)
	v_cmp_ne_u32_e32 vcc_lo, 0x7f800000, v83
                                        ; implicit-def: $vgpr83
	s_and_saveexec_b32 s0, vcc_lo
	s_xor_b32 s0, exec_lo, s0
; %bb.124:                              ;   in Loop: Header=BB72_6 Depth=1
	v_bfe_u32 v83, v84, 16, 1
	s_delay_alu instid0(VALU_DEP_1)
	v_add3_u32 v83, v84, v83, 0x7fff
                                        ; implicit-def: $vgpr84
; %bb.125:                              ;   in Loop: Header=BB72_6 Depth=1
	s_and_not1_saveexec_b32 s0, s0
	s_cbranch_execz .LBB72_5
; %bb.126:                              ;   in Loop: Header=BB72_6 Depth=1
	v_and_b32_e32 v83, 0xffff, v84
	v_or_b32_e32 v86, 0x10000, v84
	s_delay_alu instid0(VALU_DEP_2) | instskip(NEXT) | instid1(VALU_DEP_2)
	v_cmp_eq_u32_e32 vcc_lo, 0, v83
	v_cndmask_b32_e32 v83, v86, v84, vcc_lo
	s_branch .LBB72_5
.LBB72_127:
	s_or_b32 exec_lo, exec_lo, s41
.LBB72_128:
	s_delay_alu instid0(SALU_CYCLE_1)
	s_or_b32 exec_lo, exec_lo, s36
	v_lshrrev_b32_e32 v16, 2, v106
	v_mad_u32_u24 v17, 0x410, v108, 0
	v_lshlrev_b32_e32 v18, 2, v107
	s_waitcnt lgkmcnt(0)
	s_barrier
	v_and_b32_e32 v16, 0xfc, v16
	buffer_gl0_inv
	s_lshl_b64 s[4:5], s[30:31], 2
	v_cmp_gt_u32_e64 s0, 11, v105
	s_add_u32 s1, s34, s4
	v_add3_u32 v16, v17, v16, v18
	s_addc_u32 s3, s35, s5
	s_cmp_gt_i32 s10, 0
	ds_store_2addr_b32 v16, v8, v9 offset1:2
	ds_store_2addr_b32 v16, v10, v11 offset0:4 offset1:6
	ds_store_2addr_b32 v16, v12, v13 offset0:8 offset1:10
	;; [unrolled: 1-line block ×5, first 2 shown]
	v_add_nc_u32_e32 v0, s2, v105
	s_cselect_b32 s4, -1, 0
	v_lshl_add_u32 v3, v106, 2, 0
	v_add_nc_u32_e32 v2, s7, v106
	ds_store_2addr_b32 v16, v4, v5 offset0:24 offset1:26
	ds_store_2addr_b32 v16, v6, v7 offset0:28 offset1:30
	v_cmp_gt_i32_e32 vcc_lo, s33, v0
	s_waitcnt lgkmcnt(0)
	s_barrier
	buffer_gl0_inv
	s_and_b32 s5, s4, vcc_lo
	s_delay_alu instid0(SALU_CYCLE_1) | instskip(NEXT) | instid1(SALU_CYCLE_1)
	s_and_b32 s5, s0, s5
	s_and_saveexec_b32 s0, s5
	s_cbranch_execz .LBB72_131
; %bb.129:
	v_ashrrev_i32_e32 v1, 31, v0
	s_delay_alu instid0(VALU_DEP_1) | instskip(NEXT) | instid1(VALU_DEP_1)
	v_lshlrev_b64 v[0:1], 2, v[0:1]
	v_add_co_u32 v0, vcc_lo, s1, v0
	s_delay_alu instid0(VALU_DEP_2) | instskip(SKIP_3) | instid1(VALU_DEP_1)
	v_add_co_ci_u32_e32 v1, vcc_lo, s3, v1, vcc_lo
	global_load_b32 v0, v[0:1], off
	s_waitcnt vmcnt(0)
	v_mul_hi_u32 v1, v0, s19
	v_add_nc_u32_e32 v1, v0, v1
	s_delay_alu instid0(VALU_DEP_1) | instskip(NEXT) | instid1(VALU_DEP_1)
	v_lshrrev_b32_e32 v1, s26, v1
	v_cmp_gt_i32_e32 vcc_lo, s9, v1
	s_and_b32 exec_lo, exec_lo, vcc_lo
	s_cbranch_execz .LBB72_131
; %bb.130:
	v_mad_u32_u24 v10, 0x410, v105, v3
	v_mul_lo_u32 v11, v1, s27
	ds_load_2addr_b32 v[4:5], v10 offset1:32
	ds_load_2addr_b32 v[6:7], v10 offset0:64 offset1:96
	ds_load_2addr_b32 v[8:9], v10 offset0:128 offset1:160
	v_sub_nc_u32_e32 v0, v0, v11
	s_delay_alu instid0(VALU_DEP_1) | instskip(SKIP_2) | instid1(VALU_DEP_1)
	v_mul_lo_u32 v0, v0, s6
	s_waitcnt lgkmcnt(2)
	v_add_f32_e32 v4, 0, v4
	v_add_f32_e32 v12, v4, v5
	ds_load_2addr_b32 v[4:5], v10 offset0:192 offset1:224
	s_waitcnt lgkmcnt(2)
	v_add_f32_e32 v6, v12, v6
	s_delay_alu instid0(VALU_DEP_1) | instskip(SKIP_2) | instid1(VALU_DEP_2)
	v_add_f32_e32 v6, v6, v7
	v_mul_lo_u32 v7, v1, s25
	s_waitcnt lgkmcnt(1)
	v_dual_mov_b32 v1, 0 :: v_dual_add_f32 v6, v6, v8
	s_delay_alu instid0(VALU_DEP_2) | instskip(NEXT) | instid1(VALU_DEP_2)
	v_add3_u32 v0, v2, v7, v0
	v_add_f32_e32 v6, v6, v9
	s_delay_alu instid0(VALU_DEP_2) | instskip(SKIP_1) | instid1(VALU_DEP_2)
	v_lshlrev_b64 v[0:1], 2, v[0:1]
	s_waitcnt lgkmcnt(0)
	v_add_f32_e32 v4, v6, v4
	s_delay_alu instid0(VALU_DEP_2) | instskip(NEXT) | instid1(VALU_DEP_2)
	v_add_co_u32 v0, vcc_lo, s28, v0
	v_add_f32_e32 v4, v4, v5
	s_delay_alu instid0(VALU_DEP_4)
	v_add_co_ci_u32_e32 v1, vcc_lo, s29, v1, vcc_lo
	global_store_b32 v[0:1], v4, off
.LBB72_131:
	s_or_b32 exec_lo, exec_lo, s0
	s_delay_alu instid0(SALU_CYCLE_1)
	s_mov_b32 s0, exec_lo
	v_cmpx_gt_u32_e32 3, v105
	s_cbranch_execz .LBB72_135
; %bb.132:
	v_or_b32_e32 v0, 8, v105
	s_delay_alu instid0(VALU_DEP_1) | instskip(NEXT) | instid1(VALU_DEP_1)
	v_add_nc_u32_e32 v1, s2, v0
	v_cmp_gt_i32_e32 vcc_lo, s33, v1
	s_and_b32 s0, s4, vcc_lo
	s_delay_alu instid0(SALU_CYCLE_1)
	s_and_b32 exec_lo, exec_lo, s0
	s_cbranch_execz .LBB72_135
; %bb.133:
	s_ashr_i32 s0, s2, 31
	v_add_co_u32 v4, s2, v105, s2
	s_delay_alu instid0(VALU_DEP_1) | instskip(NEXT) | instid1(VALU_DEP_1)
	v_add_co_ci_u32_e64 v5, null, 0, s0, s2
	v_lshlrev_b64 v[4:5], 2, v[4:5]
	s_delay_alu instid0(VALU_DEP_1) | instskip(NEXT) | instid1(VALU_DEP_2)
	v_add_co_u32 v4, vcc_lo, s1, v4
	v_add_co_ci_u32_e32 v5, vcc_lo, s3, v5, vcc_lo
	global_load_b32 v4, v[4:5], off offset:32
	s_waitcnt vmcnt(0)
	v_mul_hi_u32 v1, v4, s19
	s_delay_alu instid0(VALU_DEP_1) | instskip(NEXT) | instid1(VALU_DEP_1)
	v_add_nc_u32_e32 v1, v4, v1
	v_lshrrev_b32_e32 v5, s26, v1
	v_mov_b32_e32 v1, 0
	s_delay_alu instid0(VALU_DEP_2)
	v_cmp_gt_i32_e32 vcc_lo, s9, v5
	s_and_b32 exec_lo, exec_lo, vcc_lo
	s_cbranch_execz .LBB72_135
; %bb.134:
	v_mad_u32_u24 v0, 0x410, v0, v3
	v_mul_lo_u32 v12, v5, s27
	ds_load_2addr_b32 v[6:7], v0 offset1:32
	ds_load_2addr_b32 v[8:9], v0 offset0:64 offset1:96
	ds_load_2addr_b32 v[10:11], v0 offset0:128 offset1:160
	s_waitcnt lgkmcnt(2)
	v_add_f32_e32 v3, 0, v6
	s_delay_alu instid0(VALU_DEP_1)
	v_add_f32_e32 v3, v3, v7
	ds_load_2addr_b32 v[6:7], v0 offset0:192 offset1:224
	s_waitcnt lgkmcnt(2)
	v_add_f32_e32 v0, v3, v8
	v_sub_nc_u32_e32 v3, v4, v12
	v_mul_lo_u32 v4, v5, s25
	s_delay_alu instid0(VALU_DEP_3) | instskip(NEXT) | instid1(VALU_DEP_3)
	v_add_f32_e32 v0, v0, v9
	v_mul_lo_u32 v3, v3, s6
	s_waitcnt lgkmcnt(1)
	s_delay_alu instid0(VALU_DEP_2) | instskip(NEXT) | instid1(VALU_DEP_1)
	v_add_f32_e32 v0, v0, v10
	v_add_f32_e32 v5, v0, v11
	s_delay_alu instid0(VALU_DEP_3) | instskip(SKIP_1) | instid1(VALU_DEP_2)
	v_add3_u32 v0, v2, v4, v3
	s_waitcnt lgkmcnt(0)
	v_add_f32_e32 v2, v5, v6
	s_delay_alu instid0(VALU_DEP_2) | instskip(NEXT) | instid1(VALU_DEP_2)
	v_lshlrev_b64 v[0:1], 2, v[0:1]
	v_add_f32_e32 v2, v2, v7
	s_delay_alu instid0(VALU_DEP_2) | instskip(NEXT) | instid1(VALU_DEP_3)
	v_add_co_u32 v0, vcc_lo, s28, v0
	v_add_co_ci_u32_e32 v1, vcc_lo, s29, v1, vcc_lo
	global_store_b32 v[0:1], v2, off
.LBB72_135:
	s_nop 0
	s_sendmsg sendmsg(MSG_DEALLOC_VGPRS)
	s_endpgm
	.section	.rodata,"a",@progbits
	.p2align	6, 0x0
	.amdhsa_kernel _ZL13mul_mat_f_idsI15__hip_bfloat162Li32ELi11ELi8EEvPKT_PKfPKiS7_S7_Pfiiiiiiiiiiiiii15HIP_vector_typeIjLj3EESA_
		.amdhsa_group_segment_fixed_size 0
		.amdhsa_private_segment_fixed_size 0
		.amdhsa_kernarg_size 128
		.amdhsa_user_sgpr_count 13
		.amdhsa_user_sgpr_dispatch_ptr 0
		.amdhsa_user_sgpr_queue_ptr 0
		.amdhsa_user_sgpr_kernarg_segment_ptr 1
		.amdhsa_user_sgpr_dispatch_id 0
		.amdhsa_user_sgpr_private_segment_size 0
		.amdhsa_wavefront_size32 1
		.amdhsa_uses_dynamic_stack 0
		.amdhsa_enable_private_segment 0
		.amdhsa_system_sgpr_workgroup_id_x 1
		.amdhsa_system_sgpr_workgroup_id_y 1
		.amdhsa_system_sgpr_workgroup_id_z 1
		.amdhsa_system_sgpr_workgroup_info 0
		.amdhsa_system_vgpr_workitem_id 1
		.amdhsa_next_free_vgpr 120
		.amdhsa_next_free_sgpr 76
		.amdhsa_reserve_vcc 1
		.amdhsa_float_round_mode_32 0
		.amdhsa_float_round_mode_16_64 0
		.amdhsa_float_denorm_mode_32 3
		.amdhsa_float_denorm_mode_16_64 3
		.amdhsa_dx10_clamp 1
		.amdhsa_ieee_mode 1
		.amdhsa_fp16_overflow 0
		.amdhsa_workgroup_processor_mode 1
		.amdhsa_memory_ordered 1
		.amdhsa_forward_progress 0
		.amdhsa_shared_vgpr_count 0
		.amdhsa_exception_fp_ieee_invalid_op 0
		.amdhsa_exception_fp_denorm_src 0
		.amdhsa_exception_fp_ieee_div_zero 0
		.amdhsa_exception_fp_ieee_overflow 0
		.amdhsa_exception_fp_ieee_underflow 0
		.amdhsa_exception_fp_ieee_inexact 0
		.amdhsa_exception_int_div_zero 0
	.end_amdhsa_kernel
	.section	.text._ZL13mul_mat_f_idsI15__hip_bfloat162Li32ELi11ELi8EEvPKT_PKfPKiS7_S7_Pfiiiiiiiiiiiiii15HIP_vector_typeIjLj3EESA_,"axG",@progbits,_ZL13mul_mat_f_idsI15__hip_bfloat162Li32ELi11ELi8EEvPKT_PKfPKiS7_S7_Pfiiiiiiiiiiiiii15HIP_vector_typeIjLj3EESA_,comdat
.Lfunc_end72:
	.size	_ZL13mul_mat_f_idsI15__hip_bfloat162Li32ELi11ELi8EEvPKT_PKfPKiS7_S7_Pfiiiiiiiiiiiiii15HIP_vector_typeIjLj3EESA_, .Lfunc_end72-_ZL13mul_mat_f_idsI15__hip_bfloat162Li32ELi11ELi8EEvPKT_PKfPKiS7_S7_Pfiiiiiiiiiiiiii15HIP_vector_typeIjLj3EESA_
                                        ; -- End function
	.section	.AMDGPU.csdata,"",@progbits
; Kernel info:
; codeLenInByte = 7224
; NumSgprs: 78
; NumVgprs: 120
; ScratchSize: 0
; MemoryBound: 0
; FloatMode: 240
; IeeeMode: 1
; LDSByteSize: 0 bytes/workgroup (compile time only)
; SGPRBlocks: 9
; VGPRBlocks: 14
; NumSGPRsForWavesPerEU: 78
; NumVGPRsForWavesPerEU: 120
; Occupancy: 12
; WaveLimiterHint : 1
; COMPUTE_PGM_RSRC2:SCRATCH_EN: 0
; COMPUTE_PGM_RSRC2:USER_SGPR: 13
; COMPUTE_PGM_RSRC2:TRAP_HANDLER: 0
; COMPUTE_PGM_RSRC2:TGID_X_EN: 1
; COMPUTE_PGM_RSRC2:TGID_Y_EN: 1
; COMPUTE_PGM_RSRC2:TGID_Z_EN: 1
; COMPUTE_PGM_RSRC2:TIDIG_COMP_CNT: 1
	.section	.text._ZL9mul_mat_fI15__hip_bfloat162Li32ELi11ELi8ELb1EEvPKT_PKfPKiPfiiiiiiiiiiiiiiii,"axG",@progbits,_ZL9mul_mat_fI15__hip_bfloat162Li32ELi11ELi8ELb1EEvPKT_PKfPKiPfiiiiiiiiiiiiiiii,comdat
	.globl	_ZL9mul_mat_fI15__hip_bfloat162Li32ELi11ELi8ELb1EEvPKT_PKfPKiPfiiiiiiiiiiiiiiii ; -- Begin function _ZL9mul_mat_fI15__hip_bfloat162Li32ELi11ELi8ELb1EEvPKT_PKfPKiPfiiiiiiiiiiiiiiii
	.p2align	8
	.type	_ZL9mul_mat_fI15__hip_bfloat162Li32ELi11ELi8ELb1EEvPKT_PKfPKiPfiiiiiiiiiiiiiiii,@function
_ZL9mul_mat_fI15__hip_bfloat162Li32ELi11ELi8ELb1EEvPKT_PKfPKiPfiiiiiiiiiiiiiiii: ; @_ZL9mul_mat_fI15__hip_bfloat162Li32ELi11ELi8ELb1EEvPKT_PKfPKiPfiiiiiiiiiiiiiiii
; %bb.0:
	s_clause 0x1
	s_load_b256 s[16:23], s[0:1], 0x20
	s_load_b64 s[24:25], s[0:1], 0x10
	v_and_b32_e32 v80, 0x3ff, v0
	v_bfe_u32 v86, v0, 10, 10
	s_load_b128 s[8:11], s[0:1], 0x44
	s_delay_alu instid0(VALU_DEP_2) | instskip(NEXT) | instid1(VALU_DEP_2)
	v_cmp_eq_u32_e32 vcc_lo, 0, v80
	v_lshl_add_u32 v87, v86, 2, 0x100
	s_waitcnt lgkmcnt(0)
	s_add_i32 s2, s17, 10
	s_delay_alu instid0(SALU_CYCLE_1) | instskip(NEXT) | instid1(SALU_CYCLE_1)
	s_mul_hi_i32 s2, s2, 0x2e8ba2e9
	s_lshr_b32 s3, s2, 31
	s_ashr_i32 s2, s2, 1
	s_delay_alu instid0(SALU_CYCLE_1)
	s_add_i32 s2, s2, s3
	s_load_b32 s3, s[0:1], 0x64
	v_cvt_f32_u32_e32 v1, s2
	s_add_u32 s6, s0, 0x60
	s_addc_u32 s7, s1, 0
	s_sub_i32 s5, 0, s2
	s_delay_alu instid0(VALU_DEP_1) | instskip(SKIP_2) | instid1(VALU_DEP_1)
	v_rcp_iflag_f32_e32 v1, v1
	s_waitcnt_depctr 0xfff
	v_mul_f32_e32 v1, 0x4f7ffffe, v1
	v_cvt_u32_f32_e32 v1, v1
	s_delay_alu instid0(VALU_DEP_1) | instskip(NEXT) | instid1(VALU_DEP_1)
	v_readfirstlane_b32 s4, v1
	s_mul_i32 s5, s5, s4
	s_delay_alu instid0(SALU_CYCLE_1) | instskip(NEXT) | instid1(SALU_CYCLE_1)
	s_mul_hi_u32 s5, s4, s5
	s_add_i32 s4, s4, s5
	s_waitcnt lgkmcnt(0)
	s_mul_hi_u32 s4, s3, s4
	s_delay_alu instid0(SALU_CYCLE_1) | instskip(NEXT) | instid1(SALU_CYCLE_1)
	s_mul_i32 s5, s4, s2
	s_sub_i32 s3, s3, s5
	s_add_i32 s5, s4, 1
	s_sub_i32 s12, s3, s2
	s_cmp_ge_u32 s3, s2
	s_cselect_b32 s4, s5, s4
	s_cselect_b32 s3, s12, s3
	s_add_i32 s5, s4, 1
	s_cmp_ge_u32 s3, s2
	s_cselect_b32 s2, s5, s4
	s_abs_i32 s28, s11
	v_cvt_f32_u32_e32 v1, s2
	v_cvt_f32_u32_e32 v2, s28
	s_sub_i32 s4, 0, s2
	s_sub_i32 s26, 0, s28
	s_delay_alu instid0(VALU_DEP_2) | instskip(NEXT) | instid1(VALU_DEP_1)
	v_rcp_iflag_f32_e32 v1, v1
	v_rcp_iflag_f32_e32 v2, v2
	s_waitcnt_depctr 0xfff
	v_dual_mul_f32 v1, 0x4f7ffffe, v1 :: v_dual_mul_f32 v2, 0x4f7ffffe, v2
	s_delay_alu instid0(VALU_DEP_1) | instskip(NEXT) | instid1(VALU_DEP_1)
	v_cvt_u32_f32_e32 v1, v1
	v_readfirstlane_b32 s3, v1
	s_delay_alu instid0(VALU_DEP_3) | instskip(NEXT) | instid1(VALU_DEP_2)
	v_cvt_u32_f32_e32 v1, v2
	s_mul_i32 s4, s4, s3
	s_delay_alu instid0(VALU_DEP_1) | instskip(SKIP_1) | instid1(SALU_CYCLE_1)
	v_readfirstlane_b32 s29, v1
	s_mul_hi_u32 s4, s3, s4
	s_add_i32 s3, s3, s4
	s_delay_alu instid0(SALU_CYCLE_1)
	s_mul_hi_u32 s3, s14, s3
	s_and_saveexec_b32 s4, vcc_lo
	s_cbranch_execz .LBB73_2
; %bb.1:
	v_mov_b32_e32 v1, -1
	ds_store_b32 v87, v1
.LBB73_2:
	s_or_b32 exec_lo, exec_lo, s4
	s_mul_i32 s4, s3, s2
	s_add_i32 s5, s3, 1
	s_sub_i32 s4, s14, s4
	v_mov_b32_e32 v3, 0
	s_sub_i32 s12, s4, s2
	s_cmp_ge_u32 s4, s2
	s_mul_i32 s26, s26, s29
	s_cselect_b32 s3, s5, s3
	s_cselect_b32 s4, s12, s4
	s_add_i32 s5, s3, 1
	s_cmp_ge_u32 s4, s2
	v_cmp_gt_i32_e64 s4, s18, v80
	s_cselect_b32 s3, s5, s3
	s_delay_alu instid0(SALU_CYCLE_1)
	s_mul_i32 s12, s3, 11
	s_mul_i32 s3, s3, s2
	v_add_nc_u32_e32 v1, s12, v86
	s_mul_hi_i32 s31, s12, s23
	s_mul_i32 s30, s12, s23
	s_sub_i32 s14, s14, s3
	s_lshl_b64 s[30:31], s[30:31], 2
	v_cmp_gt_i32_e64 s2, s17, v1
	s_add_u32 s30, s24, s30
	s_addc_u32 s31, s25, s31
	s_delay_alu instid0(VALU_DEP_1)
	s_and_saveexec_b32 s24, s2
	s_cbranch_execz .LBB73_10
; %bb.3:
	v_mov_b32_e32 v3, 0
	s_and_saveexec_b32 s25, s4
	s_cbranch_execz .LBB73_9
; %bb.4:
	v_mul_lo_u32 v1, v86, s23
	v_dual_mov_b32 v3, 0 :: v_dual_mov_b32 v6, v80
	s_lshl_b32 s33, s22, 5
	s_mov_b32 s27, 0
	s_delay_alu instid0(VALU_DEP_2) | instskip(NEXT) | instid1(VALU_DEP_1)
	v_ashrrev_i32_e32 v2, 31, v1
	v_lshlrev_b64 v[4:5], 2, v[1:2]
	v_mul_lo_u32 v1, v80, s22
	s_delay_alu instid0(VALU_DEP_2) | instskip(NEXT) | instid1(VALU_DEP_1)
	v_add_co_u32 v4, s3, s30, v4
	v_add_co_ci_u32_e64 v5, s3, s31, v5, s3
	s_set_inst_prefetch_distance 0x1
	s_branch .LBB73_6
	.p2align	6
.LBB73_5:                               ;   in Loop: Header=BB73_6 Depth=1
	s_or_b32 exec_lo, exec_lo, s34
	v_add_nc_u32_e32 v6, 32, v6
	s_xor_b32 s3, s3, -1
	v_add_nc_u32_e32 v1, s33, v1
	s_delay_alu instid0(VALU_DEP_2) | instskip(NEXT) | instid1(VALU_DEP_1)
	v_cmp_le_i32_e64 s5, s18, v6
	s_or_b32 s3, s3, s5
	s_delay_alu instid0(SALU_CYCLE_1) | instskip(NEXT) | instid1(SALU_CYCLE_1)
	s_and_b32 s3, exec_lo, s3
	s_or_b32 s27, s3, s27
	s_delay_alu instid0(SALU_CYCLE_1)
	s_and_not1_b32 exec_lo, exec_lo, s27
	s_cbranch_execz .LBB73_8
.LBB73_6:                               ; =>This Inner Loop Header: Depth=1
	s_delay_alu instid0(VALU_DEP_3) | instskip(SKIP_1) | instid1(VALU_DEP_1)
	v_ashrrev_i32_e32 v2, 31, v1
	s_mov_b32 s34, exec_lo
	v_lshlrev_b64 v[7:8], 2, v[1:2]
	s_delay_alu instid0(VALU_DEP_1) | instskip(NEXT) | instid1(VALU_DEP_1)
	v_add_co_u32 v7, s3, v4, v7
	v_add_co_ci_u32_e64 v8, s3, v5, v8, s3
	global_load_b32 v2, v[7:8], off
	s_waitcnt vmcnt(0)
	v_cmp_ne_u32_e64 s3, s14, v2
	v_cmpx_eq_u32_e64 s14, v2
	s_cbranch_execz .LBB73_5
; %bb.7:                                ;   in Loop: Header=BB73_6 Depth=1
	v_mov_b32_e32 v3, 1
	ds_store_b32 v87, v6
	s_branch .LBB73_5
.LBB73_8:
	s_set_inst_prefetch_distance 0x2
	s_or_b32 exec_lo, exec_lo, s27
.LBB73_9:
	s_delay_alu instid0(SALU_CYCLE_1)
	s_or_b32 exec_lo, exec_lo, s25
.LBB73_10:
	s_delay_alu instid0(SALU_CYCLE_1)
	s_or_b32 exec_lo, exec_lo, s24
	s_mul_hi_u32 s5, s29, s26
	s_and_saveexec_b32 s3, vcc_lo
	s_cbranch_execz .LBB73_12
; %bb.11:
	v_mov_b32_e32 v1, -1
	ds_store_b32 v87, v1 offset:32
.LBB73_12:
	s_or_b32 exec_lo, exec_lo, s3
	s_load_b128 s[24:27], s[0:1], 0x54
	v_add_nc_u32_e32 v88, 8, v86
	s_waitcnt lgkmcnt(0)
	s_abs_i32 s27, s15
	s_add_i32 s29, s29, s5
	s_delay_alu instid0(VALU_DEP_1) | instskip(NEXT) | instid1(VALU_DEP_1)
	v_add_nc_u32_e32 v1, s12, v88
	v_cmp_gt_i32_e64 s3, s17, v1
	s_delay_alu instid0(VALU_DEP_1)
	s_and_saveexec_b32 s5, s3
	s_cbranch_execz .LBB73_20
; %bb.13:
	s_and_saveexec_b32 s33, s4
	s_cbranch_execz .LBB73_19
; %bb.14:
	v_mul_lo_u32 v1, v88, s23
	v_mov_b32_e32 v6, v80
	s_lshl_b32 s23, s22, 5
	s_delay_alu instid0(VALU_DEP_2) | instskip(NEXT) | instid1(VALU_DEP_1)
	v_ashrrev_i32_e32 v2, 31, v1
	v_lshlrev_b64 v[4:5], 2, v[1:2]
	v_mul_lo_u32 v1, v80, s22
	s_mov_b32 s22, 0
	s_delay_alu instid0(VALU_DEP_2) | instskip(NEXT) | instid1(VALU_DEP_3)
	v_add_co_u32 v4, vcc_lo, s30, v4
	v_add_co_ci_u32_e32 v5, vcc_lo, s31, v5, vcc_lo
	s_set_inst_prefetch_distance 0x1
	s_branch .LBB73_16
	.p2align	6
.LBB73_15:                              ;   in Loop: Header=BB73_16 Depth=1
	s_or_b32 exec_lo, exec_lo, s30
	v_add_nc_u32_e32 v6, 32, v6
	s_xor_b32 s30, vcc_lo, -1
	v_add_nc_u32_e32 v1, s23, v1
	s_delay_alu instid0(VALU_DEP_2) | instskip(NEXT) | instid1(VALU_DEP_1)
	v_cmp_le_i32_e64 s4, s18, v6
	s_or_b32 s4, s30, s4
	s_delay_alu instid0(SALU_CYCLE_1) | instskip(NEXT) | instid1(SALU_CYCLE_1)
	s_and_b32 s4, exec_lo, s4
	s_or_b32 s22, s4, s22
	s_delay_alu instid0(SALU_CYCLE_1)
	s_and_not1_b32 exec_lo, exec_lo, s22
	s_cbranch_execz .LBB73_18
.LBB73_16:                              ; =>This Inner Loop Header: Depth=1
	s_delay_alu instid0(VALU_DEP_3) | instskip(SKIP_1) | instid1(VALU_DEP_1)
	v_ashrrev_i32_e32 v2, 31, v1
	s_mov_b32 s30, exec_lo
	v_lshlrev_b64 v[7:8], 2, v[1:2]
	s_delay_alu instid0(VALU_DEP_1) | instskip(NEXT) | instid1(VALU_DEP_2)
	v_add_co_u32 v7, vcc_lo, v4, v7
	v_add_co_ci_u32_e32 v8, vcc_lo, v5, v8, vcc_lo
	global_load_b32 v2, v[7:8], off
	s_waitcnt vmcnt(0)
	v_cmp_ne_u32_e32 vcc_lo, s14, v2
	v_cmpx_eq_u32_e64 s14, v2
	s_cbranch_execz .LBB73_15
; %bb.17:                               ;   in Loop: Header=BB73_16 Depth=1
	v_mov_b32_e32 v3, 1
	ds_store_b32 v87, v6 offset:32
	s_branch .LBB73_15
.LBB73_18:
	s_set_inst_prefetch_distance 0x2
	s_or_b32 exec_lo, exec_lo, s22
.LBB73_19:
	s_delay_alu instid0(SALU_CYCLE_1)
	s_or_b32 exec_lo, exec_lo, s33
.LBB73_20:
	s_delay_alu instid0(SALU_CYCLE_1)
	s_or_b32 exec_lo, exec_lo, s5
	v_cmp_ne_u32_e32 vcc_lo, 0, v3
	s_load_b64 s[30:31], s[6:7], 0xc
	s_clause 0x1
	s_load_b128 s[4:7], s[0:1], 0x0
	s_load_b64 s[22:23], s[0:1], 0x18
	v_cndmask_b32_e64 v1, 0, 1, vcc_lo
	s_delay_alu instid0(VALU_DEP_1) | instskip(NEXT) | instid1(VALU_DEP_1)
	v_or_b32_dpp v1, v1, v1 row_shl:1 row_mask:0xf bank_mask:0xf bound_ctrl:1
	v_or_b32_dpp v1, v1, v1 row_shl:2 row_mask:0xf bank_mask:0xf bound_ctrl:1
	s_delay_alu instid0(VALU_DEP_1)
	v_or_b32_dpp v1, v1, v1 row_shl:4 row_mask:0xf bank_mask:0xf bound_ctrl:1
	s_waitcnt lgkmcnt(0)
	s_lshr_b32 s1, s30, 16
	s_and_b32 s0, s30, 0xffff
	s_and_b32 s30, s31, 0xffff
	s_mul_i32 s18, s1, s0
	v_or_b32_dpp v1, v1, v1 row_shl:8 row_mask:0xf bank_mask:0xf bound_ctrl:1
	s_bfe_i32 s18, s18, 0x180000
	s_delay_alu instid0(SALU_CYCLE_1) | instskip(NEXT) | instid1(SALU_CYCLE_1)
	s_mul_i32 s18, s18, s30
	s_add_i32 s18, s18, 31
	s_delay_alu instid0(VALU_DEP_1) | instskip(SKIP_1) | instid1(SALU_CYCLE_1)
	v_mov_b32_dpp v1, v1 row_share:0 row_mask:0xf bank_mask:0xf bound_ctrl:1
	s_and_not1_b32 s18, s18, 31
	s_cmp_lg_u32 s18, 32
	s_mul_hi_u32 s18, s27, s29
	s_delay_alu instid0(VALU_DEP_1) | instskip(NEXT) | instid1(VALU_DEP_1)
	v_permlanex16_b32 v2, v1, 0, 0 op_sel:[0,1]
	v_or_b32_e32 v2, v2, v1
	s_cbranch_scc0 .LBB73_29
; %bb.21:
	v_bfe_u32 v0, v0, 20, 10
	s_delay_alu instid0(VALU_DEP_1) | instskip(NEXT) | instid1(VALU_DEP_1)
	v_mad_u32_u24 v3, v0, s1, v86
	v_mad_u64_u32 v[0:1], null, v3, s0, v[80:81]
	v_mbcnt_lo_u32_b32 v1, -1, 0
	s_mov_b32 s0, exec_lo
	s_delay_alu instid0(VALU_DEP_2) | instskip(NEXT) | instid1(VALU_DEP_1)
	v_lshrrev_b32_e32 v3, 5, v0
	v_or_b32_e32 v3, v1, v3
	s_delay_alu instid0(VALU_DEP_1)
	v_cmpx_eq_u32_e32 0, v3
	s_cbranch_execz .LBB73_23
; %bb.22:
	v_mov_b32_e32 v3, 0
	ds_store_b32 v3, v2
.LBB73_23:
	s_or_b32 exec_lo, exec_lo, s0
	v_cmp_eq_u32_e32 vcc_lo, 0, v1
	v_cmp_lt_u32_e64 s0, 31, v0
	s_mov_b32 s1, 0
	s_waitcnt lgkmcnt(0)
	s_barrier
	buffer_gl0_inv
	s_and_b32 s29, s0, vcc_lo
	s_delay_alu instid0(SALU_CYCLE_1)
	s_and_saveexec_b32 s0, s29
	s_cbranch_execz .LBB73_28
; %bb.24:
	s_mov_b32 s29, exec_lo
.LBB73_25:                              ; =>This Inner Loop Header: Depth=1
	s_delay_alu instid0(SALU_CYCLE_1) | instskip(NEXT) | instid1(SALU_CYCLE_1)
	s_ctz_i32_b32 s30, s29
	v_readlane_b32 s31, v2, s30
	s_lshl_b32 s30, 1, s30
	s_delay_alu instid0(SALU_CYCLE_1) | instskip(NEXT) | instid1(VALU_DEP_1)
	s_and_not1_b32 s29, s29, s30
	s_or_b32 s1, s1, s31
	s_cmp_lg_u32 s29, 0
	s_cbranch_scc1 .LBB73_25
; %bb.26:
	v_mbcnt_lo_u32_b32 v0, exec_lo, 0
	s_mov_b32 s29, exec_lo
	s_delay_alu instid0(VALU_DEP_1)
	v_cmpx_eq_u32_e32 0, v0
	s_xor_b32 s29, exec_lo, s29
	s_cbranch_execz .LBB73_28
; %bb.27:
	v_dual_mov_b32 v0, 0 :: v_dual_mov_b32 v1, s1
	ds_or_b32 v0, v1
.LBB73_28:
	s_or_b32 exec_lo, exec_lo, s0
	v_mov_b32_e32 v0, 0
	s_waitcnt lgkmcnt(0)
	s_barrier
	buffer_gl0_inv
	ds_load_b32 v2, v0
	s_waitcnt lgkmcnt(0)
	s_barrier
	buffer_gl0_inv
.LBB73_29:
	s_ashr_i32 s0, s15, 31
	s_ashr_i32 s29, s11, 31
	s_mov_b32 s1, exec_lo
	v_cmpx_ne_u32_e32 0, v2
	s_cbranch_execz .LBB73_164
; %bb.30:
	v_lshlrev_b32_e32 v89, 5, v86
	v_and_b32_e32 v90, 15, v80
	s_mov_b32 s11, exec_lo
                                        ; implicit-def: $sgpr1
	s_delay_alu instid0(VALU_DEP_2) | instskip(NEXT) | instid1(VALU_DEP_1)
	v_add_nc_u32_e32 v91, v89, v80
	v_cmpx_le_i32_e64 s16, v91
	s_xor_b32 s11, exec_lo, s11
; %bb.31:
	v_and_b32_e32 v90, 15, v80
	s_mov_b32 s1, 0
                                        ; implicit-def: $vgpr91
; %bb.32:
	s_or_saveexec_b32 s11, s11
	v_dual_mov_b32 v15, s1 :: v_dual_mov_b32 v14, s1
	v_dual_mov_b32 v13, s1 :: v_dual_mov_b32 v12, s1
	;; [unrolled: 1-line block ×8, first 2 shown]
	s_lshl_b32 s1, s13, 5
	s_xor_b32 exec_lo, exec_lo, s11
	s_cbranch_execz .LBB73_157
; %bb.33:
	s_mul_i32 s13, s18, s28
	s_xor_b32 s0, s0, s29
	s_sub_i32 s13, s27, s13
	s_add_i32 s27, s18, 1
	s_sub_i32 s29, s13, s28
	s_cmp_ge_u32 s13, s28
	s_mul_i32 s30, s1, s19
	s_cselect_b32 s18, s27, s18
	s_cselect_b32 s13, s29, s13
	s_add_i32 s27, s18, 1
	s_cmp_ge_u32 s13, s28
	s_mul_i32 s28, s14, s8
	s_cselect_b32 s13, s27, s18
	s_ashr_i32 s29, s28, 31
	s_xor_b32 s13, s13, s0
	s_mul_hi_i32 s37, s25, s15
	s_sub_i32 s0, s13, s0
	s_mul_i32 s36, s25, s15
	s_mul_hi_i32 s35, s0, s24
	s_mul_i32 s34, s0, s24
	s_mul_hi_i32 s25, s20, s12
	s_lshl_b64 s[42:43], s[34:35], 2
	s_mul_i32 s24, s20, s12
	s_add_u32 s0, s4, s42
	s_addc_u32 s8, s5, s43
	s_lshl_b64 s[44:45], s[28:29], 2
	v_dual_mov_b32 v93, 0 :: v_dual_lshlrev_b32 v2, 1, v80
	s_add_u32 s0, s0, s44
	s_addc_u32 s13, s8, s45
	s_ashr_i32 s31, s30, 31
	s_delay_alu instid0(VALU_DEP_1)
	v_lshl_add_u32 v81, v86, 6, v2
	s_lshl_b64 s[46:47], s[30:31], 2
	v_dual_mov_b32 v95, 0x100 :: v_dual_lshlrev_b32 v2, 2, v91
	s_add_u32 s8, s0, s46
	s_addc_u32 s13, s13, s47
	s_lshl_b64 s[28:29], s[36:37], 2
	s_lshl_b64 s[24:25], s[24:25], 3
	s_add_u32 s0, s6, s28
	s_addc_u32 s6, s7, s29
	s_add_u32 s14, s0, s24
	s_addc_u32 s18, s6, s25
	s_cmp_lt_i32 s12, s17
	s_movk_i32 s6, 0x900
	s_cselect_b32 s24, -1, 0
	s_add_i32 s0, s12, 1
	v_mad_u32_u24 v1, v86, s6, 0x100
	s_cmp_lt_i32 s0, s17
	s_mov_b32 s6, s19
	s_cselect_b32 s25, -1, 0
	s_add_i32 s0, s12, 2
	v_mul_u32_u24_e32 v0, 0x90, v90
	s_cmp_lt_i32 s0, s17
	v_lshl_add_u32 v92, v80, 2, v1
	s_cselect_b32 s27, -1, 0
	s_add_i32 s0, s12, 3
	s_lshl_b32 s28, s20, 2
	s_cmp_lt_i32 s0, s17
	v_add_nc_u32_e32 v94, v1, v0
	s_cselect_b32 s29, -1, 0
	s_add_i32 s0, s12, 4
	v_dual_mov_b32 v0, 0 :: v_dual_mov_b32 v1, v93
	s_cmp_lt_i32 s0, s17
	v_dual_mov_b32 v3, v93 :: v_dual_mov_b32 v8, 0
	s_cselect_b32 s30, -1, 0
	s_add_i32 s0, s12, 5
	s_lshl_b32 s31, s20, 3
	s_cmp_lt_i32 s0, s17
	v_mov_b32_e32 v4, v93
	s_cselect_b32 s33, -1, 0
	s_add_i32 s0, s12, 6
	v_mov_b32_e32 v5, v93
	s_cmp_lt_i32 s0, s17
	v_mov_b32_e32 v6, v93
	s_cselect_b32 s34, -1, 0
	s_add_i32 s0, s12, 7
	v_mov_b32_e32 v7, v93
	;; [unrolled: 5-line block ×3, first 2 shown]
	s_cmp_lt_i32 s0, s17
	v_mov_b32_e32 v11, v93
	s_cselect_b32 s38, -1, 0
	s_add_i32 s0, s12, 9
	s_lshl_b32 s39, s20, 4
	s_cmp_lt_i32 s0, s17
	v_mov_b32_e32 v12, v93
	s_cselect_b32 s40, -1, 0
	s_add_i32 s0, s12, 10
	v_mov_b32_e32 v13, v93
	s_cmp_lt_i32 s0, s17
	v_mov_b32_e32 v14, v93
	s_cselect_b32 s17, -1, 0
	s_ashr_i32 s7, s19, 31
	v_mov_b32_e32 v15, v93
	s_lshl_b64 s[6:7], s[6:7], 2
	s_add_u32 s0, s42, s46
	s_addc_u32 s41, s43, s47
	s_add_u32 s0, s0, s44
	s_addc_u32 s41, s41, s45
	;; [unrolled: 2-line block ×3, first 2 shown]
	v_add_co_u32 v82, s0, s0, v2
	s_delay_alu instid0(VALU_DEP_1)
	v_add_co_ci_u32_e64 v83, null, s4, 0, s0
	v_mov_b32_e32 v2, v93
	s_mul_i32 s36, s20, 6
	s_mul_i32 s37, s20, 10
	;; [unrolled: 1-line block ×6, first 2 shown]
	s_lshl_b32 s20, s20, 1
	s_lshl_b32 s43, s19, 1
	s_mul_i32 s44, s19, 3
	s_lshl_b32 s45, s19, 2
	s_mul_i32 s46, s19, 5
	s_mul_i32 s47, s19, 6
	s_mul_i32 s48, s19, 7
	s_lshl_b32 s49, s19, 3
	s_mul_i32 s50, s19, 9
	s_mul_i32 s51, s19, 10
	;; [unrolled: 1-line block ×7, first 2 shown]
	s_lshl_b32 s57, s19, 4
	s_mul_i32 s58, s19, 17
	s_mul_i32 s59, s19, 18
	s_mul_i32 s60, s19, 19
	s_mul_i32 s61, s19, 20
	s_mul_i32 s62, s19, 21
	s_mul_i32 s63, s19, 22
	s_mul_i32 s64, s19, 23
	s_mul_i32 s65, s19, 24
	s_mul_i32 s66, s19, 25
	s_mul_i32 s67, s19, 26
	s_mul_i32 s68, s19, 27
	s_mul_i32 s69, s19, 28
	s_mul_i32 s70, s19, 29
	s_mul_i32 s71, s19, 30
	s_mul_i32 s72, s19, 31
	s_mov_b32 s19, 0
	s_branch .LBB73_35
.LBB73_34:                              ;   in Loop: Header=BB73_35 Depth=1
	s_or_b32 exec_lo, exec_lo, s0
	s_delay_alu instid0(VALU_DEP_1)
	v_perm_b32 v84, v84, v96, 0x7060302
	v_add_nc_u32_e32 v85, 0x400, v92
	v_add_nc_u32_e32 v96, 0x800, v92
	;; [unrolled: 1-line block ×3, first 2 shown]
	v_add_co_u32 v82, s0, 0x400, v82
	ds_store_2addr_b32 v85, v84, v93 offset0:120 offset1:156
	ds_store_2addr_b32 v85, v93, v93 offset0:192 offset1:228
	;; [unrolled: 1-line block ×3, first 2 shown]
	ds_load_b128 v[96:99], v94 offset:64
	ds_load_b128 v[100:103], v94 offset:80
	;; [unrolled: 1-line block ×6, first 2 shown]
	v_cmp_le_i32_e32 vcc_lo, s16, v91
	v_add_nc_u32_e32 v81, 0x200, v81
	v_add_co_ci_u32_e64 v83, s0, 0, v83, s0
	s_or_b32 s19, vcc_lo, s19
	s_waitcnt lgkmcnt(4)
	v_wmma_f32_16x16x16_bf16 v[8:15], v[56:63], v[96:103], v[8:15]
	ds_load_b128 v[56:59], v94 offset:160
	ds_load_b128 v[60:63], v94 offset:176
	v_wmma_f32_16x16x16_bf16 v[0:7], v[72:79], v[96:103], v[0:7]
	s_waitcnt lgkmcnt(4)
	v_wmma_f32_16x16x16_bf16 v[8:15], v[40:47], v[104:111], v[8:15]
	s_delay_alu instid0(VALU_DEP_2) | instskip(SKIP_1) | instid1(VALU_DEP_2)
	v_wmma_f32_16x16x16_bf16 v[0:7], v[64:71], v[104:111], v[0:7]
	s_waitcnt lgkmcnt(2)
	v_wmma_f32_16x16x16_bf16 v[8:15], v[24:31], v[112:119], v[8:15]
	s_delay_alu instid0(VALU_DEP_2) | instskip(SKIP_1) | instid1(VALU_DEP_2)
	v_wmma_f32_16x16x16_bf16 v[0:7], v[48:55], v[112:119], v[0:7]
	s_waitcnt lgkmcnt(0)
	v_wmma_f32_16x16x16_bf16 v[8:15], v[16:23], v[56:63], v[8:15]
	s_delay_alu instid0(VALU_DEP_2)
	v_wmma_f32_16x16x16_bf16 v[0:7], v[32:39], v[56:63], v[0:7]
	s_and_not1_b32 exec_lo, exec_lo, s19
	s_cbranch_execz .LBB73_156
.LBB73_35:                              ; =>This Inner Loop Header: Depth=1
	v_dual_mov_b32 v85, 0 :: v_dual_add_nc_u32 v16, s43, v91
	v_add_nc_u32_e32 v22, s45, v91
	v_add_nc_u32_e32 v18, s44, v91
	v_add_co_u32 v20, vcc_lo, v82, s6
	s_delay_alu instid0(VALU_DEP_4)
	v_ashrrev_i32_e32 v17, 31, v16
	v_add_co_ci_u32_e32 v21, vcc_lo, s7, v83, vcc_lo
	v_ashrrev_i32_e32 v23, 31, v22
	v_ashrrev_i32_e32 v19, 31, v18
	v_add_nc_u32_e32 v24, s46, v91
	v_lshlrev_b64 v[16:17], 2, v[16:17]
	s_clause 0x1
	global_load_b32 v38, v[82:83], off
	global_load_b32 v39, v[20:21], off
	v_lshlrev_b64 v[20:21], 2, v[22:23]
	v_add_nc_u32_e32 v22, s47, v91
	v_lshlrev_b64 v[18:19], 2, v[18:19]
	v_ashrrev_i32_e32 v25, 31, v24
	v_add_nc_u32_e32 v26, s48, v91
	v_add_co_u32 v16, vcc_lo, s8, v16
	v_ashrrev_i32_e32 v23, 31, v22
	v_add_co_ci_u32_e32 v17, vcc_lo, s13, v17, vcc_lo
	v_add_nc_u32_e32 v28, s49, v91
	v_add_co_u32 v18, vcc_lo, s8, v18
	v_lshlrev_b64 v[24:25], 2, v[24:25]
	v_ashrrev_i32_e32 v27, 31, v26
	v_add_co_ci_u32_e32 v19, vcc_lo, s13, v19, vcc_lo
	v_add_nc_u32_e32 v30, s50, v91
	v_add_co_u32 v20, vcc_lo, s8, v20
	v_lshlrev_b64 v[22:23], 2, v[22:23]
	v_ashrrev_i32_e32 v29, 31, v28
	v_add_co_ci_u32_e32 v21, vcc_lo, s13, v21, vcc_lo
	v_add_co_u32 v24, vcc_lo, s8, v24
	v_lshlrev_b64 v[26:27], 2, v[26:27]
	v_ashrrev_i32_e32 v31, 31, v30
	v_add_co_ci_u32_e32 v25, vcc_lo, s13, v25, vcc_lo
	v_add_co_u32 v22, vcc_lo, s8, v22
	v_lshlrev_b64 v[28:29], 2, v[28:29]
	v_add_co_ci_u32_e32 v23, vcc_lo, s13, v23, vcc_lo
	v_add_nc_u32_e32 v32, s51, v91
	v_add_co_u32 v26, vcc_lo, s8, v26
	v_lshlrev_b64 v[30:31], 2, v[30:31]
	v_add_co_ci_u32_e32 v27, vcc_lo, s13, v27, vcc_lo
	v_add_nc_u32_e32 v34, s52, v91
	v_add_co_u32 v28, vcc_lo, s8, v28
	v_ashrrev_i32_e32 v33, 31, v32
	v_add_co_ci_u32_e32 v29, vcc_lo, s13, v29, vcc_lo
	v_add_nc_u32_e32 v36, s53, v91
	v_add_co_u32 v30, vcc_lo, s8, v30
	v_ashrrev_i32_e32 v35, 31, v34
	v_add_co_ci_u32_e32 v31, vcc_lo, s13, v31, vcc_lo
	s_clause 0x7
	global_load_b32 v40, v[16:17], off
	global_load_b32 v41, v[18:19], off
	global_load_b32 v42, v[20:21], off
	global_load_b32 v43, v[24:25], off
	global_load_b32 v44, v[22:23], off
	global_load_b32 v45, v[26:27], off
	global_load_b32 v46, v[28:29], off
	global_load_b32 v47, v[30:31], off
	v_add_nc_u32_e32 v18, s54, v91
	v_lshlrev_b64 v[32:33], 2, v[32:33]
	v_ashrrev_i32_e32 v37, 31, v36
	v_add_nc_u32_e32 v24, s55, v91
	v_lshlrev_b64 v[16:17], 2, v[34:35]
	v_ashrrev_i32_e32 v19, 31, v18
	v_add_nc_u32_e32 v26, s56, v91
	v_add_co_u32 v20, vcc_lo, s8, v32
	v_lshlrev_b64 v[22:23], 2, v[36:37]
	v_ashrrev_i32_e32 v25, 31, v24
	v_add_co_ci_u32_e32 v21, vcc_lo, s13, v33, vcc_lo
	v_add_nc_u32_e32 v28, s57, v91
	v_add_co_u32 v16, vcc_lo, s8, v16
	v_lshlrev_b64 v[18:19], 2, v[18:19]
	v_ashrrev_i32_e32 v27, 31, v26
	v_add_co_ci_u32_e32 v17, vcc_lo, s13, v17, vcc_lo
	v_add_nc_u32_e32 v30, s58, v91
	v_add_co_u32 v22, vcc_lo, s8, v22
	v_lshlrev_b64 v[24:25], 2, v[24:25]
	v_ashrrev_i32_e32 v29, 31, v28
	v_add_co_ci_u32_e32 v23, vcc_lo, s13, v23, vcc_lo
	v_add_co_u32 v18, vcc_lo, s8, v18
	v_lshlrev_b64 v[26:27], 2, v[26:27]
	v_ashrrev_i32_e32 v31, 31, v30
	v_add_co_ci_u32_e32 v19, vcc_lo, s13, v19, vcc_lo
	v_add_co_u32 v24, vcc_lo, s8, v24
	v_lshlrev_b64 v[28:29], 2, v[28:29]
	v_add_co_ci_u32_e32 v25, vcc_lo, s13, v25, vcc_lo
	v_add_nc_u32_e32 v32, s59, v91
	v_add_co_u32 v26, vcc_lo, s8, v26
	v_lshlrev_b64 v[30:31], 2, v[30:31]
	v_add_co_ci_u32_e32 v27, vcc_lo, s13, v27, vcc_lo
	v_add_nc_u32_e32 v34, s60, v91
	v_add_co_u32 v28, vcc_lo, s8, v28
	v_ashrrev_i32_e32 v33, 31, v32
	v_add_co_ci_u32_e32 v29, vcc_lo, s13, v29, vcc_lo
	v_add_nc_u32_e32 v36, s61, v91
	v_add_co_u32 v30, vcc_lo, s8, v30
	v_ashrrev_i32_e32 v35, 31, v34
	v_add_co_ci_u32_e32 v31, vcc_lo, s13, v31, vcc_lo
	s_clause 0x7
	global_load_b32 v48, v[20:21], off
	global_load_b32 v49, v[16:17], off
	global_load_b32 v50, v[22:23], off
	global_load_b32 v51, v[18:19], off
	global_load_b32 v52, v[24:25], off
	global_load_b32 v53, v[26:27], off
	global_load_b32 v54, v[28:29], off
	global_load_b32 v55, v[30:31], off
	v_add_nc_u32_e32 v18, s62, v91
	v_lshlrev_b64 v[32:33], 2, v[32:33]
	v_ashrrev_i32_e32 v37, 31, v36
	v_add_nc_u32_e32 v24, s63, v91
	v_lshlrev_b64 v[16:17], 2, v[34:35]
	v_ashrrev_i32_e32 v19, 31, v18
	v_add_nc_u32_e32 v26, s64, v91
	v_add_co_u32 v20, vcc_lo, s8, v32
	v_lshlrev_b64 v[22:23], 2, v[36:37]
	;; [unrolled: 49-line block ×3, first 2 shown]
	v_ashrrev_i32_e32 v25, 31, v24
	v_add_co_ci_u32_e32 v21, vcc_lo, s13, v33, vcc_lo
	v_add_co_u32 v16, vcc_lo, s8, v16
	v_lshlrev_b64 v[18:19], 2, v[18:19]
	v_ashrrev_i32_e32 v27, 31, v26
	v_add_co_ci_u32_e32 v17, vcc_lo, s13, v17, vcc_lo
	v_add_co_u32 v22, vcc_lo, s8, v22
	v_lshlrev_b64 v[24:25], 2, v[24:25]
	v_add_co_ci_u32_e32 v23, vcc_lo, s13, v23, vcc_lo
	v_add_co_u32 v18, vcc_lo, s8, v18
	v_lshlrev_b64 v[26:27], 2, v[26:27]
	v_add_co_ci_u32_e32 v19, vcc_lo, s13, v19, vcc_lo
	v_add_co_u32 v24, vcc_lo, s8, v24
	v_add_co_ci_u32_e32 v25, vcc_lo, s13, v25, vcc_lo
	s_delay_alu instid0(VALU_DEP_4)
	v_add_co_u32 v26, vcc_lo, s8, v26
	v_add_co_ci_u32_e32 v27, vcc_lo, s13, v27, vcc_lo
	s_clause 0x5
	global_load_b32 v32, v[20:21], off
	global_load_b32 v33, v[16:17], off
	;; [unrolled: 1-line block ×6, first 2 shown]
	v_mov_b32_e32 v84, 0
	s_and_not1_b32 vcc_lo, exec_lo, s24
	s_waitcnt vmcnt(31)
	ds_store_b32 v92, v38 offset:64
	s_waitcnt vmcnt(30)
	ds_store_b32 v92, v39 offset:208
	;; [unrolled: 2-line block ×16, first 2 shown]
	ds_load_b128 v[56:59], v94 offset:64
	ds_load_b128 v[60:63], v94 offset:80
	;; [unrolled: 1-line block ×8, first 2 shown]
	s_waitcnt vmcnt(15)
	ds_store_b32 v92, v54 offset:64
	s_waitcnt vmcnt(14)
	ds_store_b32 v92, v55 offset:208
	;; [unrolled: 2-line block ×16, first 2 shown]
	ds_load_b128 v[72:75], v94 offset:64
	ds_load_b128 v[76:79], v94 offset:80
	ds_load_b128 v[64:67], v94 offset:96
	ds_load_b128 v[68:71], v94 offset:112
	ds_load_b128 v[48:51], v94 offset:128
	ds_load_b128 v[52:55], v94 offset:144
	ds_load_b128 v[32:35], v94 offset:160
	ds_load_b128 v[36:39], v94 offset:176
	s_cbranch_vccnz .LBB73_38
; %bb.36:                               ;   in Loop: Header=BB73_35 Depth=1
	ds_load_b32 v96, v95
	v_dual_mov_b32 v84, 0 :: v_dual_mov_b32 v85, 0
	s_waitcnt lgkmcnt(0)
	v_cmp_gt_i32_e32 vcc_lo, 0, v96
	s_cbranch_vccnz .LBB73_38
; %bb.37:                               ;   in Loop: Header=BB73_35 Depth=1
	v_mad_u64_u32 v[84:85], null, v96, s9, v[81:82]
	s_delay_alu instid0(VALU_DEP_1) | instskip(NEXT) | instid1(VALU_DEP_1)
	v_ashrrev_i32_e32 v85, 31, v84
	v_lshlrev_b64 v[84:85], 2, v[84:85]
	s_delay_alu instid0(VALU_DEP_1) | instskip(NEXT) | instid1(VALU_DEP_2)
	v_add_co_u32 v84, vcc_lo, s14, v84
	v_add_co_ci_u32_e32 v85, vcc_lo, s18, v85, vcc_lo
	global_load_b64 v[84:85], v[84:85], off
.LBB73_38:                              ;   in Loop: Header=BB73_35 Depth=1
	s_waitcnt vmcnt(0)
	v_and_b32_e32 v96, 0x7f800000, v84
	s_delay_alu instid0(VALU_DEP_1) | instskip(SKIP_1) | instid1(SALU_CYCLE_1)
	v_cmp_ne_u32_e32 vcc_lo, 0x7f800000, v96
                                        ; implicit-def: $vgpr96
	s_and_saveexec_b32 s0, vcc_lo
	s_xor_b32 s0, exec_lo, s0
; %bb.39:                               ;   in Loop: Header=BB73_35 Depth=1
	v_bfe_u32 v96, v84, 16, 1
	s_delay_alu instid0(VALU_DEP_1)
	v_add3_u32 v96, v84, v96, 0x7fff
; %bb.40:                               ;   in Loop: Header=BB73_35 Depth=1
	s_and_not1_saveexec_b32 s0, s0
; %bb.41:                               ;   in Loop: Header=BB73_35 Depth=1
	v_and_b32_e32 v96, 0xffff, v84
	v_or_b32_e32 v97, 0x10000, v84
	s_delay_alu instid0(VALU_DEP_2) | instskip(NEXT) | instid1(VALU_DEP_2)
	v_cmp_eq_u32_e32 vcc_lo, 0, v96
	v_cndmask_b32_e32 v96, v97, v84, vcc_lo
; %bb.42:                               ;   in Loop: Header=BB73_35 Depth=1
	s_or_b32 exec_lo, exec_lo, s0
	v_and_b32_e32 v84, 0x7f800000, v85
	s_delay_alu instid0(VALU_DEP_1) | instskip(SKIP_1) | instid1(SALU_CYCLE_1)
	v_cmp_ne_u32_e32 vcc_lo, 0x7f800000, v84
                                        ; implicit-def: $vgpr84
	s_and_saveexec_b32 s0, vcc_lo
	s_xor_b32 s0, exec_lo, s0
; %bb.43:                               ;   in Loop: Header=BB73_35 Depth=1
	v_bfe_u32 v84, v85, 16, 1
	s_delay_alu instid0(VALU_DEP_1)
	v_add3_u32 v84, v85, v84, 0x7fff
                                        ; implicit-def: $vgpr85
; %bb.44:                               ;   in Loop: Header=BB73_35 Depth=1
	s_and_not1_saveexec_b32 s0, s0
; %bb.45:                               ;   in Loop: Header=BB73_35 Depth=1
	v_and_b32_e32 v84, 0xffff, v85
	v_or_b32_e32 v97, 0x10000, v85
	s_delay_alu instid0(VALU_DEP_2) | instskip(NEXT) | instid1(VALU_DEP_2)
	v_cmp_eq_u32_e32 vcc_lo, 0, v84
	v_cndmask_b32_e32 v84, v97, v85, vcc_lo
; %bb.46:                               ;   in Loop: Header=BB73_35 Depth=1
	s_or_b32 exec_lo, exec_lo, s0
	s_delay_alu instid0(VALU_DEP_1)
	v_perm_b32 v96, v84, v96, 0x7060302
	v_dual_mov_b32 v85, 0 :: v_dual_mov_b32 v84, 0
	s_and_not1_b32 vcc_lo, exec_lo, s25
	ds_store_b32 v92, v96 offset:64
	s_cbranch_vccnz .LBB73_49
; %bb.47:                               ;   in Loop: Header=BB73_35 Depth=1
	ds_load_b32 v96, v95 offset:4
	v_dual_mov_b32 v84, 0 :: v_dual_mov_b32 v85, 0
	s_waitcnt lgkmcnt(0)
	v_cmp_gt_i32_e32 vcc_lo, 0, v96
	s_cbranch_vccnz .LBB73_49
; %bb.48:                               ;   in Loop: Header=BB73_35 Depth=1
	v_mul_lo_u32 v84, v96, s9
	s_delay_alu instid0(VALU_DEP_1) | instskip(NEXT) | instid1(VALU_DEP_1)
	v_add3_u32 v84, v84, s20, v81
	v_ashrrev_i32_e32 v85, 31, v84
	s_delay_alu instid0(VALU_DEP_1) | instskip(NEXT) | instid1(VALU_DEP_1)
	v_lshlrev_b64 v[84:85], 2, v[84:85]
	v_add_co_u32 v84, vcc_lo, s14, v84
	s_delay_alu instid0(VALU_DEP_2)
	v_add_co_ci_u32_e32 v85, vcc_lo, s18, v85, vcc_lo
	global_load_b64 v[84:85], v[84:85], off
.LBB73_49:                              ;   in Loop: Header=BB73_35 Depth=1
	s_waitcnt vmcnt(0)
	v_and_b32_e32 v96, 0x7f800000, v84
	s_delay_alu instid0(VALU_DEP_1) | instskip(SKIP_1) | instid1(SALU_CYCLE_1)
	v_cmp_ne_u32_e32 vcc_lo, 0x7f800000, v96
                                        ; implicit-def: $vgpr96
	s_and_saveexec_b32 s0, vcc_lo
	s_xor_b32 s0, exec_lo, s0
; %bb.50:                               ;   in Loop: Header=BB73_35 Depth=1
	v_bfe_u32 v96, v84, 16, 1
	s_delay_alu instid0(VALU_DEP_1)
	v_add3_u32 v96, v84, v96, 0x7fff
; %bb.51:                               ;   in Loop: Header=BB73_35 Depth=1
	s_and_not1_saveexec_b32 s0, s0
; %bb.52:                               ;   in Loop: Header=BB73_35 Depth=1
	v_and_b32_e32 v96, 0xffff, v84
	v_or_b32_e32 v97, 0x10000, v84
	s_delay_alu instid0(VALU_DEP_2) | instskip(NEXT) | instid1(VALU_DEP_2)
	v_cmp_eq_u32_e32 vcc_lo, 0, v96
	v_cndmask_b32_e32 v96, v97, v84, vcc_lo
; %bb.53:                               ;   in Loop: Header=BB73_35 Depth=1
	s_or_b32 exec_lo, exec_lo, s0
	v_and_b32_e32 v84, 0x7f800000, v85
	s_delay_alu instid0(VALU_DEP_1) | instskip(SKIP_1) | instid1(SALU_CYCLE_1)
	v_cmp_ne_u32_e32 vcc_lo, 0x7f800000, v84
                                        ; implicit-def: $vgpr84
	s_and_saveexec_b32 s0, vcc_lo
	s_xor_b32 s0, exec_lo, s0
; %bb.54:                               ;   in Loop: Header=BB73_35 Depth=1
	v_bfe_u32 v84, v85, 16, 1
	s_delay_alu instid0(VALU_DEP_1)
	v_add3_u32 v84, v85, v84, 0x7fff
                                        ; implicit-def: $vgpr85
; %bb.55:                               ;   in Loop: Header=BB73_35 Depth=1
	s_and_not1_saveexec_b32 s0, s0
; %bb.56:                               ;   in Loop: Header=BB73_35 Depth=1
	v_and_b32_e32 v84, 0xffff, v85
	v_or_b32_e32 v97, 0x10000, v85
	s_delay_alu instid0(VALU_DEP_2) | instskip(NEXT) | instid1(VALU_DEP_2)
	v_cmp_eq_u32_e32 vcc_lo, 0, v84
	v_cndmask_b32_e32 v84, v97, v85, vcc_lo
; %bb.57:                               ;   in Loop: Header=BB73_35 Depth=1
	s_or_b32 exec_lo, exec_lo, s0
	s_delay_alu instid0(VALU_DEP_1)
	v_perm_b32 v96, v84, v96, 0x7060302
	v_dual_mov_b32 v85, 0 :: v_dual_mov_b32 v84, 0
	s_and_not1_b32 vcc_lo, exec_lo, s27
	ds_store_b32 v92, v96 offset:208
	s_cbranch_vccnz .LBB73_60
; %bb.58:                               ;   in Loop: Header=BB73_35 Depth=1
	ds_load_b32 v96, v95 offset:8
	v_dual_mov_b32 v84, 0 :: v_dual_mov_b32 v85, 0
	s_waitcnt lgkmcnt(0)
	v_cmp_gt_i32_e32 vcc_lo, 0, v96
	s_cbranch_vccnz .LBB73_60
; %bb.59:                               ;   in Loop: Header=BB73_35 Depth=1
	v_mul_lo_u32 v84, v96, s9
	s_delay_alu instid0(VALU_DEP_1) | instskip(NEXT) | instid1(VALU_DEP_1)
	v_add3_u32 v84, v84, s28, v81
	v_ashrrev_i32_e32 v85, 31, v84
	s_delay_alu instid0(VALU_DEP_1) | instskip(NEXT) | instid1(VALU_DEP_1)
	v_lshlrev_b64 v[84:85], 2, v[84:85]
	v_add_co_u32 v84, vcc_lo, s14, v84
	s_delay_alu instid0(VALU_DEP_2)
	v_add_co_ci_u32_e32 v85, vcc_lo, s18, v85, vcc_lo
	global_load_b64 v[84:85], v[84:85], off
.LBB73_60:                              ;   in Loop: Header=BB73_35 Depth=1
	s_waitcnt vmcnt(0)
	v_and_b32_e32 v96, 0x7f800000, v84
	s_delay_alu instid0(VALU_DEP_1) | instskip(SKIP_1) | instid1(SALU_CYCLE_1)
	v_cmp_ne_u32_e32 vcc_lo, 0x7f800000, v96
                                        ; implicit-def: $vgpr96
	s_and_saveexec_b32 s0, vcc_lo
	s_xor_b32 s0, exec_lo, s0
; %bb.61:                               ;   in Loop: Header=BB73_35 Depth=1
	v_bfe_u32 v96, v84, 16, 1
	s_delay_alu instid0(VALU_DEP_1)
	v_add3_u32 v96, v84, v96, 0x7fff
; %bb.62:                               ;   in Loop: Header=BB73_35 Depth=1
	s_and_not1_saveexec_b32 s0, s0
; %bb.63:                               ;   in Loop: Header=BB73_35 Depth=1
	v_and_b32_e32 v96, 0xffff, v84
	v_or_b32_e32 v97, 0x10000, v84
	s_delay_alu instid0(VALU_DEP_2) | instskip(NEXT) | instid1(VALU_DEP_2)
	v_cmp_eq_u32_e32 vcc_lo, 0, v96
	v_cndmask_b32_e32 v96, v97, v84, vcc_lo
; %bb.64:                               ;   in Loop: Header=BB73_35 Depth=1
	s_or_b32 exec_lo, exec_lo, s0
	v_and_b32_e32 v84, 0x7f800000, v85
	s_delay_alu instid0(VALU_DEP_1) | instskip(SKIP_1) | instid1(SALU_CYCLE_1)
	v_cmp_ne_u32_e32 vcc_lo, 0x7f800000, v84
                                        ; implicit-def: $vgpr84
	s_and_saveexec_b32 s0, vcc_lo
	s_xor_b32 s0, exec_lo, s0
; %bb.65:                               ;   in Loop: Header=BB73_35 Depth=1
	v_bfe_u32 v84, v85, 16, 1
	s_delay_alu instid0(VALU_DEP_1)
	v_add3_u32 v84, v85, v84, 0x7fff
                                        ; implicit-def: $vgpr85
; %bb.66:                               ;   in Loop: Header=BB73_35 Depth=1
	s_and_not1_saveexec_b32 s0, s0
; %bb.67:                               ;   in Loop: Header=BB73_35 Depth=1
	v_and_b32_e32 v84, 0xffff, v85
	v_or_b32_e32 v97, 0x10000, v85
	s_delay_alu instid0(VALU_DEP_2) | instskip(NEXT) | instid1(VALU_DEP_2)
	v_cmp_eq_u32_e32 vcc_lo, 0, v84
	v_cndmask_b32_e32 v84, v97, v85, vcc_lo
; %bb.68:                               ;   in Loop: Header=BB73_35 Depth=1
	s_or_b32 exec_lo, exec_lo, s0
	s_delay_alu instid0(VALU_DEP_1)
	v_perm_b32 v96, v84, v96, 0x7060302
	v_dual_mov_b32 v85, 0 :: v_dual_mov_b32 v84, 0
	s_and_not1_b32 vcc_lo, exec_lo, s29
	ds_store_b32 v92, v96 offset:352
	s_cbranch_vccnz .LBB73_71
; %bb.69:                               ;   in Loop: Header=BB73_35 Depth=1
	ds_load_b32 v96, v95 offset:12
	v_dual_mov_b32 v84, 0 :: v_dual_mov_b32 v85, 0
	s_waitcnt lgkmcnt(0)
	v_cmp_gt_i32_e32 vcc_lo, 0, v96
	s_cbranch_vccnz .LBB73_71
; %bb.70:                               ;   in Loop: Header=BB73_35 Depth=1
	v_mul_lo_u32 v84, v96, s9
	s_delay_alu instid0(VALU_DEP_1) | instskip(NEXT) | instid1(VALU_DEP_1)
	v_add3_u32 v84, v84, s36, v81
	v_ashrrev_i32_e32 v85, 31, v84
	s_delay_alu instid0(VALU_DEP_1) | instskip(NEXT) | instid1(VALU_DEP_1)
	v_lshlrev_b64 v[84:85], 2, v[84:85]
	v_add_co_u32 v84, vcc_lo, s14, v84
	s_delay_alu instid0(VALU_DEP_2)
	v_add_co_ci_u32_e32 v85, vcc_lo, s18, v85, vcc_lo
	global_load_b64 v[84:85], v[84:85], off
.LBB73_71:                              ;   in Loop: Header=BB73_35 Depth=1
	s_waitcnt vmcnt(0)
	v_and_b32_e32 v96, 0x7f800000, v84
	s_delay_alu instid0(VALU_DEP_1) | instskip(SKIP_1) | instid1(SALU_CYCLE_1)
	v_cmp_ne_u32_e32 vcc_lo, 0x7f800000, v96
                                        ; implicit-def: $vgpr96
	s_and_saveexec_b32 s0, vcc_lo
	s_xor_b32 s0, exec_lo, s0
; %bb.72:                               ;   in Loop: Header=BB73_35 Depth=1
	v_bfe_u32 v96, v84, 16, 1
	s_delay_alu instid0(VALU_DEP_1)
	v_add3_u32 v96, v84, v96, 0x7fff
; %bb.73:                               ;   in Loop: Header=BB73_35 Depth=1
	s_and_not1_saveexec_b32 s0, s0
; %bb.74:                               ;   in Loop: Header=BB73_35 Depth=1
	v_and_b32_e32 v96, 0xffff, v84
	v_or_b32_e32 v97, 0x10000, v84
	s_delay_alu instid0(VALU_DEP_2) | instskip(NEXT) | instid1(VALU_DEP_2)
	v_cmp_eq_u32_e32 vcc_lo, 0, v96
	v_cndmask_b32_e32 v96, v97, v84, vcc_lo
; %bb.75:                               ;   in Loop: Header=BB73_35 Depth=1
	s_or_b32 exec_lo, exec_lo, s0
	v_and_b32_e32 v84, 0x7f800000, v85
	s_delay_alu instid0(VALU_DEP_1) | instskip(SKIP_1) | instid1(SALU_CYCLE_1)
	v_cmp_ne_u32_e32 vcc_lo, 0x7f800000, v84
                                        ; implicit-def: $vgpr84
	s_and_saveexec_b32 s0, vcc_lo
	s_xor_b32 s0, exec_lo, s0
; %bb.76:                               ;   in Loop: Header=BB73_35 Depth=1
	v_bfe_u32 v84, v85, 16, 1
	s_delay_alu instid0(VALU_DEP_1)
	v_add3_u32 v84, v85, v84, 0x7fff
                                        ; implicit-def: $vgpr85
; %bb.77:                               ;   in Loop: Header=BB73_35 Depth=1
	s_and_not1_saveexec_b32 s0, s0
; %bb.78:                               ;   in Loop: Header=BB73_35 Depth=1
	v_and_b32_e32 v84, 0xffff, v85
	v_or_b32_e32 v97, 0x10000, v85
	s_delay_alu instid0(VALU_DEP_2) | instskip(NEXT) | instid1(VALU_DEP_2)
	v_cmp_eq_u32_e32 vcc_lo, 0, v84
	v_cndmask_b32_e32 v84, v97, v85, vcc_lo
; %bb.79:                               ;   in Loop: Header=BB73_35 Depth=1
	s_or_b32 exec_lo, exec_lo, s0
	s_delay_alu instid0(VALU_DEP_1)
	v_perm_b32 v96, v84, v96, 0x7060302
	v_dual_mov_b32 v85, 0 :: v_dual_mov_b32 v84, 0
	s_and_not1_b32 vcc_lo, exec_lo, s30
	ds_store_b32 v92, v96 offset:496
	s_cbranch_vccnz .LBB73_82
; %bb.80:                               ;   in Loop: Header=BB73_35 Depth=1
	ds_load_b32 v96, v95 offset:16
	v_dual_mov_b32 v84, 0 :: v_dual_mov_b32 v85, 0
	s_waitcnt lgkmcnt(0)
	v_cmp_gt_i32_e32 vcc_lo, 0, v96
	s_cbranch_vccnz .LBB73_82
; %bb.81:                               ;   in Loop: Header=BB73_35 Depth=1
	v_mul_lo_u32 v84, v96, s9
	s_delay_alu instid0(VALU_DEP_1) | instskip(NEXT) | instid1(VALU_DEP_1)
	v_add3_u32 v84, v84, s31, v81
	v_ashrrev_i32_e32 v85, 31, v84
	s_delay_alu instid0(VALU_DEP_1) | instskip(NEXT) | instid1(VALU_DEP_1)
	v_lshlrev_b64 v[84:85], 2, v[84:85]
	v_add_co_u32 v84, vcc_lo, s14, v84
	s_delay_alu instid0(VALU_DEP_2)
	v_add_co_ci_u32_e32 v85, vcc_lo, s18, v85, vcc_lo
	global_load_b64 v[84:85], v[84:85], off
.LBB73_82:                              ;   in Loop: Header=BB73_35 Depth=1
	s_waitcnt vmcnt(0)
	v_and_b32_e32 v96, 0x7f800000, v84
	s_delay_alu instid0(VALU_DEP_1) | instskip(SKIP_1) | instid1(SALU_CYCLE_1)
	v_cmp_ne_u32_e32 vcc_lo, 0x7f800000, v96
                                        ; implicit-def: $vgpr96
	s_and_saveexec_b32 s0, vcc_lo
	s_xor_b32 s0, exec_lo, s0
; %bb.83:                               ;   in Loop: Header=BB73_35 Depth=1
	v_bfe_u32 v96, v84, 16, 1
	s_delay_alu instid0(VALU_DEP_1)
	v_add3_u32 v96, v84, v96, 0x7fff
; %bb.84:                               ;   in Loop: Header=BB73_35 Depth=1
	s_and_not1_saveexec_b32 s0, s0
; %bb.85:                               ;   in Loop: Header=BB73_35 Depth=1
	v_and_b32_e32 v96, 0xffff, v84
	v_or_b32_e32 v97, 0x10000, v84
	s_delay_alu instid0(VALU_DEP_2) | instskip(NEXT) | instid1(VALU_DEP_2)
	v_cmp_eq_u32_e32 vcc_lo, 0, v96
	v_cndmask_b32_e32 v96, v97, v84, vcc_lo
; %bb.86:                               ;   in Loop: Header=BB73_35 Depth=1
	s_or_b32 exec_lo, exec_lo, s0
	v_and_b32_e32 v84, 0x7f800000, v85
	s_delay_alu instid0(VALU_DEP_1) | instskip(SKIP_1) | instid1(SALU_CYCLE_1)
	v_cmp_ne_u32_e32 vcc_lo, 0x7f800000, v84
                                        ; implicit-def: $vgpr84
	s_and_saveexec_b32 s0, vcc_lo
	s_xor_b32 s0, exec_lo, s0
; %bb.87:                               ;   in Loop: Header=BB73_35 Depth=1
	v_bfe_u32 v84, v85, 16, 1
	s_delay_alu instid0(VALU_DEP_1)
	v_add3_u32 v84, v85, v84, 0x7fff
                                        ; implicit-def: $vgpr85
; %bb.88:                               ;   in Loop: Header=BB73_35 Depth=1
	s_and_not1_saveexec_b32 s0, s0
; %bb.89:                               ;   in Loop: Header=BB73_35 Depth=1
	v_and_b32_e32 v84, 0xffff, v85
	v_or_b32_e32 v97, 0x10000, v85
	s_delay_alu instid0(VALU_DEP_2) | instskip(NEXT) | instid1(VALU_DEP_2)
	v_cmp_eq_u32_e32 vcc_lo, 0, v84
	v_cndmask_b32_e32 v84, v97, v85, vcc_lo
; %bb.90:                               ;   in Loop: Header=BB73_35 Depth=1
	s_or_b32 exec_lo, exec_lo, s0
	s_delay_alu instid0(VALU_DEP_1)
	v_perm_b32 v96, v84, v96, 0x7060302
	v_dual_mov_b32 v85, 0 :: v_dual_mov_b32 v84, 0
	s_and_not1_b32 vcc_lo, exec_lo, s33
	ds_store_b32 v92, v96 offset:640
	s_cbranch_vccnz .LBB73_93
; %bb.91:                               ;   in Loop: Header=BB73_35 Depth=1
	ds_load_b32 v96, v95 offset:20
	v_dual_mov_b32 v84, 0 :: v_dual_mov_b32 v85, 0
	s_waitcnt lgkmcnt(0)
	v_cmp_gt_i32_e32 vcc_lo, 0, v96
	s_cbranch_vccnz .LBB73_93
; %bb.92:                               ;   in Loop: Header=BB73_35 Depth=1
	v_mul_lo_u32 v84, v96, s9
	s_delay_alu instid0(VALU_DEP_1) | instskip(NEXT) | instid1(VALU_DEP_1)
	v_add3_u32 v84, v84, s37, v81
	v_ashrrev_i32_e32 v85, 31, v84
	s_delay_alu instid0(VALU_DEP_1) | instskip(NEXT) | instid1(VALU_DEP_1)
	v_lshlrev_b64 v[84:85], 2, v[84:85]
	v_add_co_u32 v84, vcc_lo, s14, v84
	s_delay_alu instid0(VALU_DEP_2)
	v_add_co_ci_u32_e32 v85, vcc_lo, s18, v85, vcc_lo
	global_load_b64 v[84:85], v[84:85], off
.LBB73_93:                              ;   in Loop: Header=BB73_35 Depth=1
	s_waitcnt vmcnt(0)
	v_and_b32_e32 v96, 0x7f800000, v84
	s_delay_alu instid0(VALU_DEP_1) | instskip(SKIP_1) | instid1(SALU_CYCLE_1)
	v_cmp_ne_u32_e32 vcc_lo, 0x7f800000, v96
                                        ; implicit-def: $vgpr96
	s_and_saveexec_b32 s0, vcc_lo
	s_xor_b32 s0, exec_lo, s0
; %bb.94:                               ;   in Loop: Header=BB73_35 Depth=1
	v_bfe_u32 v96, v84, 16, 1
	s_delay_alu instid0(VALU_DEP_1)
	v_add3_u32 v96, v84, v96, 0x7fff
; %bb.95:                               ;   in Loop: Header=BB73_35 Depth=1
	s_and_not1_saveexec_b32 s0, s0
; %bb.96:                               ;   in Loop: Header=BB73_35 Depth=1
	v_and_b32_e32 v96, 0xffff, v84
	v_or_b32_e32 v97, 0x10000, v84
	s_delay_alu instid0(VALU_DEP_2) | instskip(NEXT) | instid1(VALU_DEP_2)
	v_cmp_eq_u32_e32 vcc_lo, 0, v96
	v_cndmask_b32_e32 v96, v97, v84, vcc_lo
; %bb.97:                               ;   in Loop: Header=BB73_35 Depth=1
	s_or_b32 exec_lo, exec_lo, s0
	v_and_b32_e32 v84, 0x7f800000, v85
	s_delay_alu instid0(VALU_DEP_1) | instskip(SKIP_1) | instid1(SALU_CYCLE_1)
	v_cmp_ne_u32_e32 vcc_lo, 0x7f800000, v84
                                        ; implicit-def: $vgpr84
	s_and_saveexec_b32 s0, vcc_lo
	s_xor_b32 s0, exec_lo, s0
; %bb.98:                               ;   in Loop: Header=BB73_35 Depth=1
	v_bfe_u32 v84, v85, 16, 1
	s_delay_alu instid0(VALU_DEP_1)
	v_add3_u32 v84, v85, v84, 0x7fff
                                        ; implicit-def: $vgpr85
; %bb.99:                               ;   in Loop: Header=BB73_35 Depth=1
	s_and_not1_saveexec_b32 s0, s0
; %bb.100:                              ;   in Loop: Header=BB73_35 Depth=1
	v_and_b32_e32 v84, 0xffff, v85
	v_or_b32_e32 v97, 0x10000, v85
	s_delay_alu instid0(VALU_DEP_2) | instskip(NEXT) | instid1(VALU_DEP_2)
	v_cmp_eq_u32_e32 vcc_lo, 0, v84
	v_cndmask_b32_e32 v84, v97, v85, vcc_lo
; %bb.101:                              ;   in Loop: Header=BB73_35 Depth=1
	s_or_b32 exec_lo, exec_lo, s0
	s_delay_alu instid0(VALU_DEP_1)
	v_perm_b32 v96, v84, v96, 0x7060302
	v_dual_mov_b32 v85, 0 :: v_dual_mov_b32 v84, 0
	s_and_not1_b32 vcc_lo, exec_lo, s34
	ds_store_b32 v92, v96 offset:784
	s_cbranch_vccnz .LBB73_104
; %bb.102:                              ;   in Loop: Header=BB73_35 Depth=1
	ds_load_b32 v96, v95 offset:24
	v_dual_mov_b32 v84, 0 :: v_dual_mov_b32 v85, 0
	s_waitcnt lgkmcnt(0)
	v_cmp_gt_i32_e32 vcc_lo, 0, v96
	s_cbranch_vccnz .LBB73_104
; %bb.103:                              ;   in Loop: Header=BB73_35 Depth=1
	v_mul_lo_u32 v84, v96, s9
	s_delay_alu instid0(VALU_DEP_1) | instskip(NEXT) | instid1(VALU_DEP_1)
	v_add3_u32 v84, v84, s42, v81
	v_ashrrev_i32_e32 v85, 31, v84
	s_delay_alu instid0(VALU_DEP_1) | instskip(NEXT) | instid1(VALU_DEP_1)
	v_lshlrev_b64 v[84:85], 2, v[84:85]
	v_add_co_u32 v84, vcc_lo, s14, v84
	s_delay_alu instid0(VALU_DEP_2)
	v_add_co_ci_u32_e32 v85, vcc_lo, s18, v85, vcc_lo
	global_load_b64 v[84:85], v[84:85], off
.LBB73_104:                             ;   in Loop: Header=BB73_35 Depth=1
	s_waitcnt vmcnt(0)
	v_and_b32_e32 v96, 0x7f800000, v84
	s_delay_alu instid0(VALU_DEP_1) | instskip(SKIP_1) | instid1(SALU_CYCLE_1)
	v_cmp_ne_u32_e32 vcc_lo, 0x7f800000, v96
                                        ; implicit-def: $vgpr96
	s_and_saveexec_b32 s0, vcc_lo
	s_xor_b32 s0, exec_lo, s0
; %bb.105:                              ;   in Loop: Header=BB73_35 Depth=1
	v_bfe_u32 v96, v84, 16, 1
	s_delay_alu instid0(VALU_DEP_1)
	v_add3_u32 v96, v84, v96, 0x7fff
; %bb.106:                              ;   in Loop: Header=BB73_35 Depth=1
	s_and_not1_saveexec_b32 s0, s0
; %bb.107:                              ;   in Loop: Header=BB73_35 Depth=1
	v_and_b32_e32 v96, 0xffff, v84
	v_or_b32_e32 v97, 0x10000, v84
	s_delay_alu instid0(VALU_DEP_2) | instskip(NEXT) | instid1(VALU_DEP_2)
	v_cmp_eq_u32_e32 vcc_lo, 0, v96
	v_cndmask_b32_e32 v96, v97, v84, vcc_lo
; %bb.108:                              ;   in Loop: Header=BB73_35 Depth=1
	s_or_b32 exec_lo, exec_lo, s0
	v_and_b32_e32 v84, 0x7f800000, v85
	s_delay_alu instid0(VALU_DEP_1) | instskip(SKIP_1) | instid1(SALU_CYCLE_1)
	v_cmp_ne_u32_e32 vcc_lo, 0x7f800000, v84
                                        ; implicit-def: $vgpr84
	s_and_saveexec_b32 s0, vcc_lo
	s_xor_b32 s0, exec_lo, s0
; %bb.109:                              ;   in Loop: Header=BB73_35 Depth=1
	v_bfe_u32 v84, v85, 16, 1
	s_delay_alu instid0(VALU_DEP_1)
	v_add3_u32 v84, v85, v84, 0x7fff
                                        ; implicit-def: $vgpr85
; %bb.110:                              ;   in Loop: Header=BB73_35 Depth=1
	s_and_not1_saveexec_b32 s0, s0
; %bb.111:                              ;   in Loop: Header=BB73_35 Depth=1
	v_and_b32_e32 v84, 0xffff, v85
	v_or_b32_e32 v97, 0x10000, v85
	s_delay_alu instid0(VALU_DEP_2) | instskip(NEXT) | instid1(VALU_DEP_2)
	v_cmp_eq_u32_e32 vcc_lo, 0, v84
	v_cndmask_b32_e32 v84, v97, v85, vcc_lo
; %bb.112:                              ;   in Loop: Header=BB73_35 Depth=1
	s_or_b32 exec_lo, exec_lo, s0
	s_delay_alu instid0(VALU_DEP_1)
	v_perm_b32 v96, v84, v96, 0x7060302
	v_dual_mov_b32 v85, 0 :: v_dual_mov_b32 v84, 0
	s_and_not1_b32 vcc_lo, exec_lo, s35
	ds_store_b32 v92, v96 offset:928
	s_cbranch_vccnz .LBB73_115
; %bb.113:                              ;   in Loop: Header=BB73_35 Depth=1
	ds_load_b32 v96, v95 offset:28
	v_dual_mov_b32 v84, 0 :: v_dual_mov_b32 v85, 0
	s_waitcnt lgkmcnt(0)
	v_cmp_gt_i32_e32 vcc_lo, 0, v96
	s_cbranch_vccnz .LBB73_115
; %bb.114:                              ;   in Loop: Header=BB73_35 Depth=1
	v_mul_lo_u32 v84, v96, s9
	s_delay_alu instid0(VALU_DEP_1) | instskip(NEXT) | instid1(VALU_DEP_1)
	v_add3_u32 v84, v84, s41, v81
	v_ashrrev_i32_e32 v85, 31, v84
	s_delay_alu instid0(VALU_DEP_1) | instskip(NEXT) | instid1(VALU_DEP_1)
	v_lshlrev_b64 v[84:85], 2, v[84:85]
	v_add_co_u32 v84, vcc_lo, s14, v84
	s_delay_alu instid0(VALU_DEP_2)
	v_add_co_ci_u32_e32 v85, vcc_lo, s18, v85, vcc_lo
	global_load_b64 v[84:85], v[84:85], off
.LBB73_115:                             ;   in Loop: Header=BB73_35 Depth=1
	s_waitcnt vmcnt(0)
	v_and_b32_e32 v96, 0x7f800000, v84
	s_delay_alu instid0(VALU_DEP_1) | instskip(SKIP_1) | instid1(SALU_CYCLE_1)
	v_cmp_ne_u32_e32 vcc_lo, 0x7f800000, v96
                                        ; implicit-def: $vgpr96
	s_and_saveexec_b32 s0, vcc_lo
	s_xor_b32 s0, exec_lo, s0
; %bb.116:                              ;   in Loop: Header=BB73_35 Depth=1
	v_bfe_u32 v96, v84, 16, 1
	s_delay_alu instid0(VALU_DEP_1)
	v_add3_u32 v96, v84, v96, 0x7fff
; %bb.117:                              ;   in Loop: Header=BB73_35 Depth=1
	s_and_not1_saveexec_b32 s0, s0
; %bb.118:                              ;   in Loop: Header=BB73_35 Depth=1
	v_and_b32_e32 v96, 0xffff, v84
	v_or_b32_e32 v97, 0x10000, v84
	s_delay_alu instid0(VALU_DEP_2) | instskip(NEXT) | instid1(VALU_DEP_2)
	v_cmp_eq_u32_e32 vcc_lo, 0, v96
	v_cndmask_b32_e32 v96, v97, v84, vcc_lo
; %bb.119:                              ;   in Loop: Header=BB73_35 Depth=1
	s_or_b32 exec_lo, exec_lo, s0
	v_and_b32_e32 v84, 0x7f800000, v85
	s_delay_alu instid0(VALU_DEP_1) | instskip(SKIP_1) | instid1(SALU_CYCLE_1)
	v_cmp_ne_u32_e32 vcc_lo, 0x7f800000, v84
                                        ; implicit-def: $vgpr84
	s_and_saveexec_b32 s0, vcc_lo
	s_xor_b32 s0, exec_lo, s0
; %bb.120:                              ;   in Loop: Header=BB73_35 Depth=1
	v_bfe_u32 v84, v85, 16, 1
	s_delay_alu instid0(VALU_DEP_1)
	v_add3_u32 v84, v85, v84, 0x7fff
                                        ; implicit-def: $vgpr85
; %bb.121:                              ;   in Loop: Header=BB73_35 Depth=1
	s_and_not1_saveexec_b32 s0, s0
; %bb.122:                              ;   in Loop: Header=BB73_35 Depth=1
	v_and_b32_e32 v84, 0xffff, v85
	v_or_b32_e32 v97, 0x10000, v85
	s_delay_alu instid0(VALU_DEP_2) | instskip(NEXT) | instid1(VALU_DEP_2)
	v_cmp_eq_u32_e32 vcc_lo, 0, v84
	v_cndmask_b32_e32 v84, v97, v85, vcc_lo
; %bb.123:                              ;   in Loop: Header=BB73_35 Depth=1
	s_or_b32 exec_lo, exec_lo, s0
	s_delay_alu instid0(VALU_DEP_1)
	v_perm_b32 v96, v84, v96, 0x7060302
	v_dual_mov_b32 v85, 0 :: v_dual_mov_b32 v84, 0
	s_and_not1_b32 vcc_lo, exec_lo, s38
	ds_store_b32 v92, v96 offset:1072
	s_cbranch_vccnz .LBB73_126
; %bb.124:                              ;   in Loop: Header=BB73_35 Depth=1
	ds_load_b32 v96, v95 offset:32
	v_dual_mov_b32 v84, 0 :: v_dual_mov_b32 v85, 0
	s_waitcnt lgkmcnt(0)
	v_cmp_gt_i32_e32 vcc_lo, 0, v96
	s_cbranch_vccnz .LBB73_126
; %bb.125:                              ;   in Loop: Header=BB73_35 Depth=1
	v_mul_lo_u32 v84, v96, s9
	s_delay_alu instid0(VALU_DEP_1) | instskip(NEXT) | instid1(VALU_DEP_1)
	v_add3_u32 v84, v84, s39, v81
	v_ashrrev_i32_e32 v85, 31, v84
	s_delay_alu instid0(VALU_DEP_1) | instskip(NEXT) | instid1(VALU_DEP_1)
	v_lshlrev_b64 v[84:85], 2, v[84:85]
	v_add_co_u32 v84, vcc_lo, s14, v84
	s_delay_alu instid0(VALU_DEP_2)
	v_add_co_ci_u32_e32 v85, vcc_lo, s18, v85, vcc_lo
	global_load_b64 v[84:85], v[84:85], off
.LBB73_126:                             ;   in Loop: Header=BB73_35 Depth=1
	s_waitcnt vmcnt(0)
	v_and_b32_e32 v96, 0x7f800000, v84
	s_delay_alu instid0(VALU_DEP_1) | instskip(SKIP_1) | instid1(SALU_CYCLE_1)
	v_cmp_ne_u32_e32 vcc_lo, 0x7f800000, v96
                                        ; implicit-def: $vgpr96
	s_and_saveexec_b32 s0, vcc_lo
	s_xor_b32 s0, exec_lo, s0
; %bb.127:                              ;   in Loop: Header=BB73_35 Depth=1
	v_bfe_u32 v96, v84, 16, 1
	s_delay_alu instid0(VALU_DEP_1)
	v_add3_u32 v96, v84, v96, 0x7fff
; %bb.128:                              ;   in Loop: Header=BB73_35 Depth=1
	s_and_not1_saveexec_b32 s0, s0
; %bb.129:                              ;   in Loop: Header=BB73_35 Depth=1
	v_and_b32_e32 v96, 0xffff, v84
	v_or_b32_e32 v97, 0x10000, v84
	s_delay_alu instid0(VALU_DEP_2) | instskip(NEXT) | instid1(VALU_DEP_2)
	v_cmp_eq_u32_e32 vcc_lo, 0, v96
	v_cndmask_b32_e32 v96, v97, v84, vcc_lo
; %bb.130:                              ;   in Loop: Header=BB73_35 Depth=1
	s_or_b32 exec_lo, exec_lo, s0
	v_and_b32_e32 v84, 0x7f800000, v85
	s_delay_alu instid0(VALU_DEP_1) | instskip(SKIP_1) | instid1(SALU_CYCLE_1)
	v_cmp_ne_u32_e32 vcc_lo, 0x7f800000, v84
                                        ; implicit-def: $vgpr84
	s_and_saveexec_b32 s0, vcc_lo
	s_xor_b32 s0, exec_lo, s0
; %bb.131:                              ;   in Loop: Header=BB73_35 Depth=1
	v_bfe_u32 v84, v85, 16, 1
	s_delay_alu instid0(VALU_DEP_1)
	v_add3_u32 v84, v85, v84, 0x7fff
                                        ; implicit-def: $vgpr85
; %bb.132:                              ;   in Loop: Header=BB73_35 Depth=1
	s_and_not1_saveexec_b32 s0, s0
; %bb.133:                              ;   in Loop: Header=BB73_35 Depth=1
	v_and_b32_e32 v84, 0xffff, v85
	v_or_b32_e32 v97, 0x10000, v85
	s_delay_alu instid0(VALU_DEP_2) | instskip(NEXT) | instid1(VALU_DEP_2)
	v_cmp_eq_u32_e32 vcc_lo, 0, v84
	v_cndmask_b32_e32 v84, v97, v85, vcc_lo
; %bb.134:                              ;   in Loop: Header=BB73_35 Depth=1
	s_or_b32 exec_lo, exec_lo, s0
	s_delay_alu instid0(VALU_DEP_1)
	v_perm_b32 v96, v84, v96, 0x7060302
	v_dual_mov_b32 v85, 0 :: v_dual_mov_b32 v84, 0
	s_and_not1_b32 vcc_lo, exec_lo, s40
	ds_store_b32 v92, v96 offset:1216
	s_cbranch_vccnz .LBB73_137
; %bb.135:                              ;   in Loop: Header=BB73_35 Depth=1
	ds_load_b32 v96, v95 offset:36
	v_dual_mov_b32 v84, 0 :: v_dual_mov_b32 v85, 0
	s_waitcnt lgkmcnt(0)
	v_cmp_gt_i32_e32 vcc_lo, 0, v96
	s_cbranch_vccnz .LBB73_137
; %bb.136:                              ;   in Loop: Header=BB73_35 Depth=1
	v_mul_lo_u32 v84, v96, s9
	s_delay_alu instid0(VALU_DEP_1) | instskip(NEXT) | instid1(VALU_DEP_1)
	v_add3_u32 v84, v84, s5, v81
	v_ashrrev_i32_e32 v85, 31, v84
	s_delay_alu instid0(VALU_DEP_1) | instskip(NEXT) | instid1(VALU_DEP_1)
	v_lshlrev_b64 v[84:85], 2, v[84:85]
	v_add_co_u32 v84, vcc_lo, s14, v84
	s_delay_alu instid0(VALU_DEP_2)
	v_add_co_ci_u32_e32 v85, vcc_lo, s18, v85, vcc_lo
	global_load_b64 v[84:85], v[84:85], off
.LBB73_137:                             ;   in Loop: Header=BB73_35 Depth=1
	s_waitcnt vmcnt(0)
	v_and_b32_e32 v96, 0x7f800000, v84
	s_delay_alu instid0(VALU_DEP_1) | instskip(SKIP_1) | instid1(SALU_CYCLE_1)
	v_cmp_ne_u32_e32 vcc_lo, 0x7f800000, v96
                                        ; implicit-def: $vgpr96
	s_and_saveexec_b32 s0, vcc_lo
	s_xor_b32 s0, exec_lo, s0
; %bb.138:                              ;   in Loop: Header=BB73_35 Depth=1
	v_bfe_u32 v96, v84, 16, 1
	s_delay_alu instid0(VALU_DEP_1)
	v_add3_u32 v96, v84, v96, 0x7fff
; %bb.139:                              ;   in Loop: Header=BB73_35 Depth=1
	s_and_not1_saveexec_b32 s0, s0
; %bb.140:                              ;   in Loop: Header=BB73_35 Depth=1
	v_and_b32_e32 v96, 0xffff, v84
	v_or_b32_e32 v97, 0x10000, v84
	s_delay_alu instid0(VALU_DEP_2) | instskip(NEXT) | instid1(VALU_DEP_2)
	v_cmp_eq_u32_e32 vcc_lo, 0, v96
	v_cndmask_b32_e32 v96, v97, v84, vcc_lo
; %bb.141:                              ;   in Loop: Header=BB73_35 Depth=1
	s_or_b32 exec_lo, exec_lo, s0
	v_and_b32_e32 v84, 0x7f800000, v85
	s_delay_alu instid0(VALU_DEP_1) | instskip(SKIP_1) | instid1(SALU_CYCLE_1)
	v_cmp_ne_u32_e32 vcc_lo, 0x7f800000, v84
                                        ; implicit-def: $vgpr84
	s_and_saveexec_b32 s0, vcc_lo
	s_xor_b32 s0, exec_lo, s0
; %bb.142:                              ;   in Loop: Header=BB73_35 Depth=1
	v_bfe_u32 v84, v85, 16, 1
	s_delay_alu instid0(VALU_DEP_1)
	v_add3_u32 v84, v85, v84, 0x7fff
                                        ; implicit-def: $vgpr85
; %bb.143:                              ;   in Loop: Header=BB73_35 Depth=1
	s_and_not1_saveexec_b32 s0, s0
; %bb.144:                              ;   in Loop: Header=BB73_35 Depth=1
	v_and_b32_e32 v84, 0xffff, v85
	v_or_b32_e32 v97, 0x10000, v85
	s_delay_alu instid0(VALU_DEP_2) | instskip(NEXT) | instid1(VALU_DEP_2)
	v_cmp_eq_u32_e32 vcc_lo, 0, v84
	v_cndmask_b32_e32 v84, v97, v85, vcc_lo
; %bb.145:                              ;   in Loop: Header=BB73_35 Depth=1
	s_or_b32 exec_lo, exec_lo, s0
	s_delay_alu instid0(VALU_DEP_1)
	v_perm_b32 v96, v84, v96, 0x7060302
	v_dual_mov_b32 v85, 0 :: v_dual_mov_b32 v84, 0
	s_and_not1_b32 vcc_lo, exec_lo, s17
	ds_store_b32 v92, v96 offset:1360
	s_cbranch_vccnz .LBB73_148
; %bb.146:                              ;   in Loop: Header=BB73_35 Depth=1
	ds_load_b32 v96, v95 offset:40
	v_dual_mov_b32 v84, 0 :: v_dual_mov_b32 v85, 0
	s_waitcnt lgkmcnt(0)
	v_cmp_gt_i32_e32 vcc_lo, 0, v96
	s_cbranch_vccnz .LBB73_148
; %bb.147:                              ;   in Loop: Header=BB73_35 Depth=1
	v_mul_lo_u32 v84, v96, s9
	s_delay_alu instid0(VALU_DEP_1) | instskip(NEXT) | instid1(VALU_DEP_1)
	v_add3_u32 v84, v84, s4, v81
	v_ashrrev_i32_e32 v85, 31, v84
	s_delay_alu instid0(VALU_DEP_1) | instskip(NEXT) | instid1(VALU_DEP_1)
	v_lshlrev_b64 v[84:85], 2, v[84:85]
	v_add_co_u32 v84, vcc_lo, s14, v84
	s_delay_alu instid0(VALU_DEP_2)
	v_add_co_ci_u32_e32 v85, vcc_lo, s18, v85, vcc_lo
	global_load_b64 v[84:85], v[84:85], off
.LBB73_148:                             ;   in Loop: Header=BB73_35 Depth=1
	s_waitcnt vmcnt(0)
	v_and_b32_e32 v96, 0x7f800000, v84
	s_delay_alu instid0(VALU_DEP_1) | instskip(SKIP_1) | instid1(SALU_CYCLE_1)
	v_cmp_ne_u32_e32 vcc_lo, 0x7f800000, v96
                                        ; implicit-def: $vgpr96
	s_and_saveexec_b32 s0, vcc_lo
	s_xor_b32 s0, exec_lo, s0
; %bb.149:                              ;   in Loop: Header=BB73_35 Depth=1
	v_bfe_u32 v96, v84, 16, 1
	s_delay_alu instid0(VALU_DEP_1)
	v_add3_u32 v96, v84, v96, 0x7fff
; %bb.150:                              ;   in Loop: Header=BB73_35 Depth=1
	s_and_not1_saveexec_b32 s0, s0
; %bb.151:                              ;   in Loop: Header=BB73_35 Depth=1
	v_and_b32_e32 v96, 0xffff, v84
	v_or_b32_e32 v97, 0x10000, v84
	s_delay_alu instid0(VALU_DEP_2) | instskip(NEXT) | instid1(VALU_DEP_2)
	v_cmp_eq_u32_e32 vcc_lo, 0, v96
	v_cndmask_b32_e32 v96, v97, v84, vcc_lo
; %bb.152:                              ;   in Loop: Header=BB73_35 Depth=1
	s_or_b32 exec_lo, exec_lo, s0
	v_and_b32_e32 v84, 0x7f800000, v85
	s_delay_alu instid0(VALU_DEP_1) | instskip(SKIP_1) | instid1(SALU_CYCLE_1)
	v_cmp_ne_u32_e32 vcc_lo, 0x7f800000, v84
                                        ; implicit-def: $vgpr84
	s_and_saveexec_b32 s0, vcc_lo
	s_xor_b32 s0, exec_lo, s0
; %bb.153:                              ;   in Loop: Header=BB73_35 Depth=1
	v_bfe_u32 v84, v85, 16, 1
	s_delay_alu instid0(VALU_DEP_1)
	v_add3_u32 v84, v85, v84, 0x7fff
                                        ; implicit-def: $vgpr85
; %bb.154:                              ;   in Loop: Header=BB73_35 Depth=1
	s_and_not1_saveexec_b32 s0, s0
	s_cbranch_execz .LBB73_34
; %bb.155:                              ;   in Loop: Header=BB73_35 Depth=1
	v_and_b32_e32 v84, 0xffff, v85
	v_or_b32_e32 v97, 0x10000, v85
	s_delay_alu instid0(VALU_DEP_2) | instskip(NEXT) | instid1(VALU_DEP_2)
	v_cmp_eq_u32_e32 vcc_lo, 0, v84
	v_cndmask_b32_e32 v84, v97, v85, vcc_lo
	s_branch .LBB73_34
.LBB73_156:
	s_or_b32 exec_lo, exec_lo, s19
.LBB73_157:
	s_delay_alu instid0(SALU_CYCLE_1) | instskip(SKIP_4) | instid1(VALU_DEP_3)
	s_or_b32 exec_lo, exec_lo, s11
	v_lshrrev_b32_e32 v16, 2, v80
	s_movk_i32 s0, 0x410
	v_lshlrev_b32_e32 v17, 2, v89
	v_mad_u32_u24 v18, v90, s0, 0x100
	v_and_b32_e32 v16, 0xfc, v16
	s_barrier
	buffer_gl0_inv
	s_mov_b32 s0, exec_lo
	v_add3_u32 v17, v18, v16, v17
	v_lshl_add_u32 v16, v80, 2, 0x100
	ds_store_2addr_b32 v17, v8, v9 offset0:16 offset1:18
	ds_store_2addr_b32 v17, v10, v11 offset0:20 offset1:22
	;; [unrolled: 1-line block ×7, first 2 shown]
	v_mov_b32_e32 v9, -1
	v_mad_u32_u24 v0, 0x410, v86, v16
	ds_store_2addr_b32 v17, v6, v7 offset0:44 offset1:46
	s_waitcnt lgkmcnt(0)
	s_barrier
	buffer_gl0_inv
	ds_load_2addr_b32 v[6:7], v0 offset0:16 offset1:48
	ds_load_2addr_b32 v[4:5], v0 offset0:80 offset1:112
	;; [unrolled: 1-line block ×4, first 2 shown]
	v_cmpx_gt_u32_e32 11, v86
	s_cbranch_execz .LBB73_159
; %bb.158:
	ds_load_b32 v9, v87
.LBB73_159:
	s_or_b32 exec_lo, exec_lo, s0
	s_mul_hi_i32 s5, s26, s15
	s_mul_i32 s4, s26, s15
	s_mul_hi_i32 s7, s12, s21
	s_lshl_b64 s[4:5], s[4:5], 2
	s_mul_i32 s6, s12, s21
	s_waitcnt lgkmcnt(0)
	v_cmp_lt_i32_e32 vcc_lo, -1, v9
	s_add_u32 s0, s22, s4
	s_addc_u32 s8, s23, s5
	s_lshl_b64 s[4:5], s[6:7], 2
	v_add_nc_u32_e32 v8, s1, v80
	s_add_u32 s0, s0, s4
	s_addc_u32 s1, s8, s5
	s_and_b32 s4, vcc_lo, s2
	s_delay_alu instid0(SALU_CYCLE_1)
	s_and_saveexec_b32 s2, s4
	s_cbranch_execz .LBB73_161
; %bb.160:
	v_add_f32_e32 v6, 0, v6
	s_delay_alu instid0(VALU_DEP_1) | instskip(NEXT) | instid1(VALU_DEP_1)
	v_add_f32_e32 v6, v6, v7
	v_add_f32_e32 v4, v6, v4
	v_mul_lo_u32 v6, v86, s21
	s_delay_alu instid0(VALU_DEP_2) | instskip(SKIP_1) | instid1(VALU_DEP_2)
	v_add_f32_e32 v4, v4, v5
	v_mul_lo_u32 v5, v9, s10
	v_add_f32_e32 v2, v4, v2
	v_mov_b32_e32 v4, 0
	s_delay_alu instid0(VALU_DEP_2) | instskip(NEXT) | instid1(VALU_DEP_4)
	v_add_f32_e32 v2, v2, v3
	v_add3_u32 v3, v8, v6, v5
	s_delay_alu instid0(VALU_DEP_2) | instskip(NEXT) | instid1(VALU_DEP_2)
	v_add_f32_e32 v0, v2, v0
	v_lshlrev_b64 v[2:3], 2, v[3:4]
	s_delay_alu instid0(VALU_DEP_2) | instskip(NEXT) | instid1(VALU_DEP_2)
	v_add_f32_e32 v4, v0, v1
	v_add_co_u32 v0, vcc_lo, s0, v2
	s_delay_alu instid0(VALU_DEP_3)
	v_add_co_ci_u32_e32 v1, vcc_lo, s1, v3, vcc_lo
	global_store_b32 v[0:1], v4, off
.LBB73_161:
	s_or_b32 exec_lo, exec_lo, s2
	v_cmp_gt_u32_e32 vcc_lo, 3, v86
	s_and_b32 exec_lo, exec_lo, vcc_lo
	s_cbranch_execz .LBB73_164
; %bb.162:
	ds_load_b32 v0, v87 offset:32
	s_waitcnt lgkmcnt(0)
	v_cmp_lt_i32_e32 vcc_lo, -1, v0
	s_and_b32 s2, vcc_lo, s3
	s_delay_alu instid0(SALU_CYCLE_1)
	s_and_b32 exec_lo, exec_lo, s2
	s_cbranch_execz .LBB73_164
; %bb.163:
	v_mul_u32_u24_e32 v1, 0x410, v86
	v_mul_lo_u32 v0, v0, s10
	s_delay_alu instid0(VALU_DEP_2) | instskip(NEXT) | instid1(VALU_DEP_1)
	v_add_nc_u32_e32 v7, v1, v16
	v_add_nc_u32_e32 v5, 0x2000, v7
	ds_load_2addr_b32 v[1:2], v5 offset0:48 offset1:80
	ds_load_2addr_b32 v[3:4], v5 offset0:112 offset1:144
	;; [unrolled: 1-line block ×3, first 2 shown]
	s_waitcnt lgkmcnt(2)
	v_add_f32_e32 v1, 0, v1
	s_delay_alu instid0(VALU_DEP_1) | instskip(SKIP_1) | instid1(VALU_DEP_1)
	v_add_f32_e32 v9, v1, v2
	s_waitcnt lgkmcnt(1)
	v_add_f32_e32 v3, v9, v3
	s_delay_alu instid0(VALU_DEP_1) | instskip(SKIP_2) | instid1(VALU_DEP_2)
	v_dual_add_f32 v3, v3, v4 :: v_dual_mov_b32 v4, 0
	v_add_nc_u32_e32 v7, 0x2200, v7
	s_waitcnt lgkmcnt(0)
	v_add_f32_e32 v3, v3, v5
	ds_load_2addr_b32 v[1:2], v7 offset0:112 offset1:144
	v_mul_lo_u32 v7, v88, s21
	v_add_f32_e32 v5, v3, v6
	s_delay_alu instid0(VALU_DEP_2) | instskip(SKIP_1) | instid1(VALU_DEP_2)
	v_add3_u32 v3, v8, v7, v0
	s_waitcnt lgkmcnt(0)
	v_add_f32_e32 v5, v5, v1
	s_delay_alu instid0(VALU_DEP_2) | instskip(NEXT) | instid1(VALU_DEP_2)
	v_lshlrev_b64 v[0:1], 2, v[3:4]
	v_add_f32_e32 v2, v5, v2
	s_delay_alu instid0(VALU_DEP_2) | instskip(NEXT) | instid1(VALU_DEP_3)
	v_add_co_u32 v0, vcc_lo, s0, v0
	v_add_co_ci_u32_e32 v1, vcc_lo, s1, v1, vcc_lo
	global_store_b32 v[0:1], v2, off
.LBB73_164:
	s_nop 0
	s_sendmsg sendmsg(MSG_DEALLOC_VGPRS)
	s_endpgm
	.section	.rodata,"a",@progbits
	.p2align	6, 0x0
	.amdhsa_kernel _ZL9mul_mat_fI15__hip_bfloat162Li32ELi11ELi8ELb1EEvPKT_PKfPKiPfiiiiiiiiiiiiiiii
		.amdhsa_group_segment_fixed_size 256
		.amdhsa_private_segment_fixed_size 0
		.amdhsa_kernarg_size 352
		.amdhsa_user_sgpr_count 13
		.amdhsa_user_sgpr_dispatch_ptr 0
		.amdhsa_user_sgpr_queue_ptr 0
		.amdhsa_user_sgpr_kernarg_segment_ptr 1
		.amdhsa_user_sgpr_dispatch_id 0
		.amdhsa_user_sgpr_private_segment_size 0
		.amdhsa_wavefront_size32 1
		.amdhsa_uses_dynamic_stack 0
		.amdhsa_enable_private_segment 0
		.amdhsa_system_sgpr_workgroup_id_x 1
		.amdhsa_system_sgpr_workgroup_id_y 1
		.amdhsa_system_sgpr_workgroup_id_z 1
		.amdhsa_system_sgpr_workgroup_info 0
		.amdhsa_system_vgpr_workitem_id 2
		.amdhsa_next_free_vgpr 120
		.amdhsa_next_free_sgpr 73
		.amdhsa_reserve_vcc 1
		.amdhsa_float_round_mode_32 0
		.amdhsa_float_round_mode_16_64 0
		.amdhsa_float_denorm_mode_32 3
		.amdhsa_float_denorm_mode_16_64 3
		.amdhsa_dx10_clamp 1
		.amdhsa_ieee_mode 1
		.amdhsa_fp16_overflow 0
		.amdhsa_workgroup_processor_mode 1
		.amdhsa_memory_ordered 1
		.amdhsa_forward_progress 0
		.amdhsa_shared_vgpr_count 0
		.amdhsa_exception_fp_ieee_invalid_op 0
		.amdhsa_exception_fp_denorm_src 0
		.amdhsa_exception_fp_ieee_div_zero 0
		.amdhsa_exception_fp_ieee_overflow 0
		.amdhsa_exception_fp_ieee_underflow 0
		.amdhsa_exception_fp_ieee_inexact 0
		.amdhsa_exception_int_div_zero 0
	.end_amdhsa_kernel
	.section	.text._ZL9mul_mat_fI15__hip_bfloat162Li32ELi11ELi8ELb1EEvPKT_PKfPKiPfiiiiiiiiiiiiiiii,"axG",@progbits,_ZL9mul_mat_fI15__hip_bfloat162Li32ELi11ELi8ELb1EEvPKT_PKfPKiPfiiiiiiiiiiiiiiii,comdat
.Lfunc_end73:
	.size	_ZL9mul_mat_fI15__hip_bfloat162Li32ELi11ELi8ELb1EEvPKT_PKfPKiPfiiiiiiiiiiiiiiii, .Lfunc_end73-_ZL9mul_mat_fI15__hip_bfloat162Li32ELi11ELi8ELb1EEvPKT_PKfPKiPfiiiiiiiiiiiiiiii
                                        ; -- End function
	.section	.AMDGPU.csdata,"",@progbits
; Kernel info:
; codeLenInByte = 8176
; NumSgprs: 75
; NumVgprs: 120
; ScratchSize: 0
; MemoryBound: 0
; FloatMode: 240
; IeeeMode: 1
; LDSByteSize: 256 bytes/workgroup (compile time only)
; SGPRBlocks: 9
; VGPRBlocks: 14
; NumSGPRsForWavesPerEU: 75
; NumVGPRsForWavesPerEU: 120
; Occupancy: 12
; WaveLimiterHint : 0
; COMPUTE_PGM_RSRC2:SCRATCH_EN: 0
; COMPUTE_PGM_RSRC2:USER_SGPR: 13
; COMPUTE_PGM_RSRC2:TRAP_HANDLER: 0
; COMPUTE_PGM_RSRC2:TGID_X_EN: 1
; COMPUTE_PGM_RSRC2:TGID_Y_EN: 1
; COMPUTE_PGM_RSRC2:TGID_Z_EN: 1
; COMPUTE_PGM_RSRC2:TIDIG_COMP_CNT: 2
	.section	.text._ZL9mul_mat_fI15__hip_bfloat162Li32ELi11ELi8ELb0EEvPKT_PKfPKiPfiiiiiiiiiiiiiiii,"axG",@progbits,_ZL9mul_mat_fI15__hip_bfloat162Li32ELi11ELi8ELb0EEvPKT_PKfPKiPfiiiiiiiiiiiiiiii,comdat
	.globl	_ZL9mul_mat_fI15__hip_bfloat162Li32ELi11ELi8ELb0EEvPKT_PKfPKiPfiiiiiiiiiiiiiiii ; -- Begin function _ZL9mul_mat_fI15__hip_bfloat162Li32ELi11ELi8ELb0EEvPKT_PKfPKiPfiiiiiiiiiiiiiiii
	.p2align	8
	.type	_ZL9mul_mat_fI15__hip_bfloat162Li32ELi11ELi8ELb0EEvPKT_PKfPKiPfiiiiiiiiiiiiiiii,@function
_ZL9mul_mat_fI15__hip_bfloat162Li32ELi11ELi8ELb0EEvPKT_PKfPKiPfiiiiiiiiiiiiiiii: ; @_ZL9mul_mat_fI15__hip_bfloat162Li32ELi11ELi8ELb0EEvPKT_PKfPKiPfiiiiiiiiiiiiiiii
; %bb.0:
	s_clause 0x2
	s_load_b256 s[4:11], s[0:1], 0x40
	s_load_b32 s22, s[0:1], 0x20
	s_load_b128 s[16:19], s[0:1], 0x2c
	v_bfe_u32 v86, v0, 10, 10
	v_and_b32_e32 v87, 0x3ff, v0
	s_mov_b32 s12, 0
	s_ashr_i32 s24, s15, 31
	s_waitcnt lgkmcnt(0)
	s_mov_b32 s19, exec_lo
	v_lshlrev_b32_e32 v88, 5, v86
	v_and_b32_e32 v89, 15, v87
	s_delay_alu instid0(VALU_DEP_2) | instskip(SKIP_4) | instid1(VALU_DEP_2)
	v_add_nc_u32_e32 v90, v88, v87
	s_abs_i32 s2, s4
	s_abs_i32 s23, s8
	v_cvt_f32_u32_e32 v1, s2
	v_cvt_f32_u32_e32 v2, s23
	v_rcp_iflag_f32_e32 v1, v1
	s_delay_alu instid0(VALU_DEP_1) | instskip(SKIP_2) | instid1(VALU_DEP_1)
	v_rcp_iflag_f32_e32 v2, v2
	s_waitcnt_depctr 0xfff
	v_dual_mul_f32 v0, 0x4f7ffffe, v1 :: v_dual_mul_f32 v1, 0x4f7ffffe, v2
	v_cvt_u32_f32_e32 v0, v0
	s_delay_alu instid0(VALU_DEP_2) | instskip(NEXT) | instid1(VALU_DEP_2)
	v_cvt_u32_f32_e32 v1, v1
	v_readfirstlane_b32 s25, v0
	s_delay_alu instid0(VALU_DEP_2)
	v_readfirstlane_b32 s3, v1
	v_cmpx_le_i32_e64 s22, v90
	s_xor_b32 s19, exec_lo, s19
; %bb.1:
	v_and_b32_e32 v89, 15, v87
                                        ; implicit-def: $vgpr90
; %bb.2:
	s_or_saveexec_b32 s19, s19
	s_load_b64 s[20:21], s[0:1], 0x18
	v_dual_mov_b32 v15, s12 :: v_dual_mov_b32 v14, s12
	v_dual_mov_b32 v13, s12 :: v_dual_mov_b32 v12, s12
	;; [unrolled: 1-line block ×8, first 2 shown]
	s_lshl_b32 s12, s13, 5
	s_xor_b32 exec_lo, exec_lo, s19
	s_cbranch_execz .LBB74_94
; %bb.3:
	s_sub_i32 s13, 0, s2
	s_sub_i32 s26, 0, s23
	s_mul_i32 s13, s13, s25
	s_mul_i32 s26, s26, s3
	s_mul_hi_u32 s13, s25, s13
	s_mul_hi_u32 s26, s3, s26
	s_abs_i32 s27, s14
	s_add_i32 s25, s25, s13
	s_add_i32 s26, s3, s26
	s_mul_hi_u32 s3, s27, s25
	s_ashr_i32 s25, s14, 31
	s_ashr_i32 s4, s4, 31
	s_mul_i32 s28, s3, s2
	s_xor_b32 s4, s25, s4
	s_sub_i32 s25, s27, s28
	s_abs_i32 s13, s15
	s_ashr_i32 s8, s8, 31
	s_add_i32 s27, s3, 1
	s_sub_i32 s28, s25, s2
	s_cmp_ge_u32 s25, s2
	s_mul_hi_u32 s26, s13, s26
	s_cselect_b32 s3, s27, s3
	s_cselect_b32 s25, s28, s25
	s_add_i32 s27, s3, 1
	s_cmp_ge_u32 s25, s2
	s_mul_i32 s28, s14, s6
	s_cselect_b32 s25, s27, s3
	s_load_b128 s[0:3], s[0:1], 0x0
	s_xor_b32 s25, s25, s4
	s_xor_b32 s8, s24, s8
	s_sub_i32 s4, s25, s4
	s_mul_i32 s25, s26, s23
	s_add_i32 s24, s26, 1
	s_sub_i32 s13, s13, s25
	s_mul_i32 s4, s4, s5
	s_sub_i32 s25, s13, s23
	s_cmp_ge_u32 s13, s23
	s_mul_hi_i32 s27, s10, s15
	s_cselect_b32 s24, s24, s26
	s_cselect_b32 s13, s25, s13
	s_add_i32 s25, s24, 1
	s_cmp_ge_u32 s13, s23
	s_mul_i32 s26, s10, s15
	s_cselect_b32 s13, s25, s24
	s_ashr_i32 s5, s4, 31
	s_xor_b32 s13, s13, s8
	v_mad_u32_u24 v0, 0x900, v86, 0
	s_sub_i32 s8, s13, s8
	v_dual_mov_b32 v92, 0 :: v_dual_lshlrev_b32 v1, 2, v87
	s_mul_hi_i32 s25, s8, s9
	s_mul_i32 s24, s8, s9
	s_mul_i32 s8, s12, s16
	s_lshl_b64 s[24:25], s[24:25], 2
	v_mul_u32_u24_e32 v2, 0x90, v89
	s_waitcnt lgkmcnt(0)
	s_add_u32 s13, s0, s24
	s_addc_u32 s23, s1, s25
	s_ashr_i32 s9, s8, 31
	s_lshl_b64 s[4:5], s[4:5], 2
	s_lshl_b64 s[8:9], s[8:9], 2
	v_lshlrev_b32_e32 v3, 7, v86
	s_add_u32 s30, s4, s8
	s_addc_u32 s31, s5, s9
	s_add_u32 s6, s30, s13
	s_addc_u32 s8, s31, s23
	s_ashr_i32 s29, s28, 31
	s_lshl_b64 s[4:5], s[26:27], 2
	s_lshl_b64 s[26:27], s[28:29], 2
	v_dual_mov_b32 v8, 0 :: v_dual_add_nc_u32 v93, v0, v2
	s_add_u32 s13, s2, s26
	s_addc_u32 s23, s3, s27
	s_add_u32 s9, s13, s4
	s_addc_u32 s10, s23, s5
	s_ashr_i32 s3, s16, 31
	s_mov_b32 s2, s16
	s_ashr_i32 s27, s17, 31
	s_lshl_b64 s[2:3], s[2:3], 2
	s_add_u32 s24, s30, s24
	s_addc_u32 s25, s31, s25
	v_mov_b32_e32 v2, v92
	v_add_co_u32 v3, s24, s24, v3
	s_delay_alu instid0(VALU_DEP_1) | instskip(SKIP_2) | instid1(VALU_DEP_4)
	v_add_co_ci_u32_e64 v4, null, s25, 0, s24
	v_lshlrev_b32_e32 v5, 8, v86
	v_dual_mov_b32 v0, 0 :: v_dual_add_nc_u32 v91, v0, v1
	v_add_co_u32 v1, vcc_lo, v3, v1
	s_delay_alu instid0(VALU_DEP_4) | instskip(NEXT) | instid1(VALU_DEP_4)
	v_add_co_ci_u32_e32 v3, vcc_lo, 0, v4, vcc_lo
	v_add_co_u32 v4, s4, s4, v5
	v_lshlrev_b32_e32 v6, 3, v87
	v_add_co_ci_u32_e64 v5, null, s5, 0, s4
	v_add_co_u32 v80, vcc_lo, s0, v1
	v_add_co_ci_u32_e32 v81, vcc_lo, s1, v3, vcc_lo
	s_delay_alu instid0(VALU_DEP_4) | instskip(NEXT) | instid1(VALU_DEP_4)
	v_add_co_u32 v1, vcc_lo, v4, v6
	v_add_co_ci_u32_e32 v3, vcc_lo, 0, v5, vcc_lo
	v_mov_b32_e32 v4, v92
	s_delay_alu instid0(VALU_DEP_3) | instskip(SKIP_1) | instid1(VALU_DEP_4)
	v_add_co_u32 v82, vcc_lo, s13, v1
	v_mov_b32_e32 v1, v92
	v_add_co_ci_u32_e32 v83, vcc_lo, s23, v3, vcc_lo
	v_mov_b32_e32 v3, v92
	v_mov_b32_e32 v5, v92
	;; [unrolled: 1-line block ×11, first 2 shown]
	s_mov_b32 s26, s17
	s_mul_i32 s1, s16, 31
	s_lshl_b64 s[4:5], s[26:27], 3
	s_lshl_b32 s13, s17, 1
	s_mul_i32 s23, s17, 3
	s_lshl_b32 s24, s17, 2
	s_mul_i32 s25, s17, 5
	s_mul_i32 s26, s17, 6
	;; [unrolled: 1-line block ×3, first 2 shown]
	s_lshl_b32 s28, s17, 3
	s_mul_i32 s29, s17, 9
	s_mul_i32 s17, s17, 10
	s_lshl_b32 s30, s16, 1
	s_mul_i32 s31, s16, 3
	s_lshl_b32 s33, s16, 2
	s_mul_i32 s34, s16, 5
	s_mul_i32 s35, s16, 6
	;; [unrolled: 1-line block ×3, first 2 shown]
	s_lshl_b32 s37, s16, 3
	s_mul_i32 s38, s16, 9
	s_mul_i32 s39, s16, 10
	;; [unrolled: 1-line block ×7, first 2 shown]
	s_lshl_b32 s45, s16, 4
	s_mul_i32 s46, s16, 17
	s_mul_i32 s47, s16, 18
	;; [unrolled: 1-line block ×14, first 2 shown]
	s_mov_b32 s16, 0
	s_branch .LBB74_5
.LBB74_4:                               ;   in Loop: Header=BB74_5 Depth=1
	s_or_b32 exec_lo, exec_lo, s0
	s_delay_alu instid0(VALU_DEP_1)
	v_perm_b32 v84, v95, v94, 0x7060302
	v_add_nc_u32_e32 v85, 0x400, v91
	v_add_nc_u32_e32 v94, 0x600, v91
	;; [unrolled: 1-line block ×3, first 2 shown]
	v_add_co_u32 v80, vcc_lo, 0x400, v80
	ds_store_2addr_b32 v85, v84, v92 offset0:104 offset1:140
	ds_store_2addr_b32 v85, v92, v92 offset0:176 offset1:212
	;; [unrolled: 1-line block ×3, first 2 shown]
	ds_load_b128 v[94:97], v93
	ds_load_b128 v[98:101], v93 offset:16
	ds_load_b128 v[102:105], v93 offset:32
	;; [unrolled: 1-line block ×5, first 2 shown]
	v_add_co_ci_u32_e32 v81, vcc_lo, 0, v81, vcc_lo
	v_cmp_le_i32_e32 vcc_lo, s22, v90
	v_add_co_u32 v82, s0, 0x800, v82
	s_delay_alu instid0(VALU_DEP_1)
	v_add_co_ci_u32_e64 v83, s0, 0, v83, s0
	s_or_b32 s16, vcc_lo, s16
	s_waitcnt lgkmcnt(4)
	v_wmma_f32_16x16x16_bf16 v[8:15], v[72:79], v[94:101], v[8:15]
	ds_load_b128 v[72:75], v93 offset:96
	ds_load_b128 v[76:79], v93 offset:112
	v_wmma_f32_16x16x16_bf16 v[0:7], v[64:71], v[94:101], v[0:7]
	s_waitcnt lgkmcnt(4)
	v_wmma_f32_16x16x16_bf16 v[8:15], v[48:55], v[102:109], v[8:15]
	s_delay_alu instid0(VALU_DEP_2) | instskip(SKIP_1) | instid1(VALU_DEP_2)
	v_wmma_f32_16x16x16_bf16 v[0:7], v[56:63], v[102:109], v[0:7]
	s_waitcnt lgkmcnt(2)
	v_wmma_f32_16x16x16_bf16 v[8:15], v[24:31], v[110:117], v[8:15]
	s_delay_alu instid0(VALU_DEP_2) | instskip(SKIP_1) | instid1(VALU_DEP_2)
	v_wmma_f32_16x16x16_bf16 v[0:7], v[40:47], v[110:117], v[0:7]
	s_waitcnt lgkmcnt(0)
	v_wmma_f32_16x16x16_bf16 v[8:15], v[16:23], v[72:79], v[8:15]
	s_delay_alu instid0(VALU_DEP_2)
	v_wmma_f32_16x16x16_bf16 v[0:7], v[32:39], v[72:79], v[0:7]
	s_and_not1_b32 exec_lo, exec_lo, s16
	s_cbranch_execz .LBB74_93
.LBB74_5:                               ; =>This Inner Loop Header: Depth=1
	v_add_nc_u32_e32 v16, s30, v90
	v_add_nc_u32_e32 v22, s33, v90
	;; [unrolled: 1-line block ×3, first 2 shown]
	v_add_co_u32 v20, vcc_lo, v80, s2
	s_delay_alu instid0(VALU_DEP_4)
	v_ashrrev_i32_e32 v17, 31, v16
	v_add_co_ci_u32_e32 v21, vcc_lo, s3, v81, vcc_lo
	v_ashrrev_i32_e32 v23, 31, v22
	v_ashrrev_i32_e32 v19, 31, v18
	v_add_nc_u32_e32 v24, s34, v90
	v_lshlrev_b64 v[16:17], 2, v[16:17]
	s_clause 0x1
	global_load_b32 v38, v[80:81], off
	global_load_b32 v39, v[20:21], off
	v_lshlrev_b64 v[20:21], 2, v[22:23]
	v_add_nc_u32_e32 v22, s35, v90
	v_lshlrev_b64 v[18:19], 2, v[18:19]
	v_ashrrev_i32_e32 v25, 31, v24
	v_add_nc_u32_e32 v26, s36, v90
	v_add_co_u32 v16, vcc_lo, s6, v16
	v_ashrrev_i32_e32 v23, 31, v22
	v_add_co_ci_u32_e32 v17, vcc_lo, s8, v17, vcc_lo
	v_add_nc_u32_e32 v28, s37, v90
	v_add_co_u32 v18, vcc_lo, s6, v18
	v_lshlrev_b64 v[24:25], 2, v[24:25]
	v_ashrrev_i32_e32 v27, 31, v26
	v_add_co_ci_u32_e32 v19, vcc_lo, s8, v19, vcc_lo
	v_add_nc_u32_e32 v30, s38, v90
	v_add_co_u32 v20, vcc_lo, s6, v20
	v_lshlrev_b64 v[22:23], 2, v[22:23]
	v_ashrrev_i32_e32 v29, 31, v28
	v_add_co_ci_u32_e32 v21, vcc_lo, s8, v21, vcc_lo
	v_add_co_u32 v24, vcc_lo, s6, v24
	v_lshlrev_b64 v[26:27], 2, v[26:27]
	v_ashrrev_i32_e32 v31, 31, v30
	v_add_co_ci_u32_e32 v25, vcc_lo, s8, v25, vcc_lo
	v_add_co_u32 v22, vcc_lo, s6, v22
	v_lshlrev_b64 v[28:29], 2, v[28:29]
	v_add_co_ci_u32_e32 v23, vcc_lo, s8, v23, vcc_lo
	v_add_nc_u32_e32 v32, s39, v90
	v_add_co_u32 v26, vcc_lo, s6, v26
	v_lshlrev_b64 v[30:31], 2, v[30:31]
	v_add_co_ci_u32_e32 v27, vcc_lo, s8, v27, vcc_lo
	v_add_nc_u32_e32 v34, s40, v90
	v_add_co_u32 v28, vcc_lo, s6, v28
	v_ashrrev_i32_e32 v33, 31, v32
	v_add_co_ci_u32_e32 v29, vcc_lo, s8, v29, vcc_lo
	v_add_nc_u32_e32 v36, s41, v90
	v_add_co_u32 v30, vcc_lo, s6, v30
	v_ashrrev_i32_e32 v35, 31, v34
	v_add_co_ci_u32_e32 v31, vcc_lo, s8, v31, vcc_lo
	s_clause 0x7
	global_load_b32 v40, v[16:17], off
	global_load_b32 v41, v[18:19], off
	global_load_b32 v42, v[20:21], off
	global_load_b32 v43, v[24:25], off
	global_load_b32 v44, v[22:23], off
	global_load_b32 v45, v[26:27], off
	global_load_b32 v46, v[28:29], off
	global_load_b32 v47, v[30:31], off
	v_add_nc_u32_e32 v18, s42, v90
	v_lshlrev_b64 v[32:33], 2, v[32:33]
	v_ashrrev_i32_e32 v37, 31, v36
	v_add_nc_u32_e32 v24, s43, v90
	v_lshlrev_b64 v[16:17], 2, v[34:35]
	v_ashrrev_i32_e32 v19, 31, v18
	v_add_nc_u32_e32 v26, s44, v90
	v_add_co_u32 v20, vcc_lo, s6, v32
	v_lshlrev_b64 v[22:23], 2, v[36:37]
	v_ashrrev_i32_e32 v25, 31, v24
	v_add_co_ci_u32_e32 v21, vcc_lo, s8, v33, vcc_lo
	v_add_nc_u32_e32 v28, s45, v90
	v_add_co_u32 v16, vcc_lo, s6, v16
	v_lshlrev_b64 v[18:19], 2, v[18:19]
	v_ashrrev_i32_e32 v27, 31, v26
	v_add_co_ci_u32_e32 v17, vcc_lo, s8, v17, vcc_lo
	v_add_nc_u32_e32 v30, s46, v90
	v_add_co_u32 v22, vcc_lo, s6, v22
	v_lshlrev_b64 v[24:25], 2, v[24:25]
	v_ashrrev_i32_e32 v29, 31, v28
	v_add_co_ci_u32_e32 v23, vcc_lo, s8, v23, vcc_lo
	v_add_co_u32 v18, vcc_lo, s6, v18
	v_lshlrev_b64 v[26:27], 2, v[26:27]
	v_ashrrev_i32_e32 v31, 31, v30
	v_add_co_ci_u32_e32 v19, vcc_lo, s8, v19, vcc_lo
	v_add_co_u32 v24, vcc_lo, s6, v24
	v_lshlrev_b64 v[28:29], 2, v[28:29]
	v_add_co_ci_u32_e32 v25, vcc_lo, s8, v25, vcc_lo
	v_add_nc_u32_e32 v32, s47, v90
	v_add_co_u32 v26, vcc_lo, s6, v26
	v_lshlrev_b64 v[30:31], 2, v[30:31]
	v_add_co_ci_u32_e32 v27, vcc_lo, s8, v27, vcc_lo
	v_add_nc_u32_e32 v34, s48, v90
	v_add_co_u32 v28, vcc_lo, s6, v28
	v_ashrrev_i32_e32 v33, 31, v32
	v_add_co_ci_u32_e32 v29, vcc_lo, s8, v29, vcc_lo
	v_add_nc_u32_e32 v36, s49, v90
	v_add_co_u32 v30, vcc_lo, s6, v30
	v_ashrrev_i32_e32 v35, 31, v34
	v_add_co_ci_u32_e32 v31, vcc_lo, s8, v31, vcc_lo
	s_clause 0x7
	global_load_b32 v48, v[20:21], off
	global_load_b32 v49, v[16:17], off
	global_load_b32 v50, v[22:23], off
	global_load_b32 v51, v[18:19], off
	global_load_b32 v52, v[24:25], off
	global_load_b32 v53, v[26:27], off
	global_load_b32 v56, v[28:29], off
	global_load_b32 v57, v[30:31], off
	v_add_nc_u32_e32 v18, s50, v90
	v_lshlrev_b64 v[32:33], 2, v[32:33]
	v_ashrrev_i32_e32 v37, 31, v36
	v_add_nc_u32_e32 v24, s51, v90
	v_lshlrev_b64 v[16:17], 2, v[34:35]
	v_ashrrev_i32_e32 v19, 31, v18
	v_add_nc_u32_e32 v26, s52, v90
	v_add_co_u32 v20, vcc_lo, s6, v32
	v_lshlrev_b64 v[22:23], 2, v[36:37]
	;; [unrolled: 49-line block ×3, first 2 shown]
	v_ashrrev_i32_e32 v25, 31, v24
	v_add_co_ci_u32_e32 v21, vcc_lo, s8, v33, vcc_lo
	v_add_co_u32 v16, vcc_lo, s6, v16
	v_lshlrev_b64 v[18:19], 2, v[18:19]
	v_ashrrev_i32_e32 v27, 31, v26
	v_add_co_ci_u32_e32 v17, vcc_lo, s8, v17, vcc_lo
	v_add_co_u32 v22, vcc_lo, s6, v22
	v_lshlrev_b64 v[24:25], 2, v[24:25]
	v_add_co_ci_u32_e32 v23, vcc_lo, s8, v23, vcc_lo
	v_add_co_u32 v18, vcc_lo, s6, v18
	v_lshlrev_b64 v[26:27], 2, v[26:27]
	v_add_co_ci_u32_e32 v19, vcc_lo, s8, v19, vcc_lo
	v_add_co_u32 v24, vcc_lo, s6, v24
	v_add_co_ci_u32_e32 v25, vcc_lo, s8, v25, vcc_lo
	s_delay_alu instid0(VALU_DEP_4)
	v_add_co_u32 v26, vcc_lo, s6, v26
	v_add_co_ci_u32_e32 v27, vcc_lo, s8, v27, vcc_lo
	s_clause 0x5
	global_load_b32 v32, v[20:21], off
	global_load_b32 v33, v[16:17], off
	;; [unrolled: 1-line block ×6, first 2 shown]
	global_load_b64 v[84:85], v[82:83], off
	s_waitcnt vmcnt(32)
	ds_store_b32 v91, v38
	s_waitcnt vmcnt(31)
	ds_store_b32 v91, v39 offset:144
	s_waitcnt vmcnt(30)
	ds_store_b32 v91, v40 offset:288
	;; [unrolled: 2-line block ×15, first 2 shown]
	ds_load_b128 v[72:75], v93
	ds_load_b128 v[76:79], v93 offset:16
	ds_load_b128 v[48:51], v93 offset:32
	;; [unrolled: 1-line block ×7, first 2 shown]
	s_waitcnt vmcnt(16)
	ds_store_b32 v91, v56
	s_waitcnt vmcnt(15)
	ds_store_b32 v91, v57 offset:144
	s_waitcnt vmcnt(14)
	ds_store_b32 v91, v58 offset:288
	;; [unrolled: 2-line block ×15, first 2 shown]
	ds_load_b128 v[64:67], v93
	ds_load_b128 v[68:71], v93 offset:16
	ds_load_b128 v[56:59], v93 offset:32
	;; [unrolled: 1-line block ×7, first 2 shown]
	s_waitcnt vmcnt(0)
	v_and_b32_e32 v94, 0x7f800000, v84
	s_delay_alu instid0(VALU_DEP_1) | instskip(SKIP_1) | instid1(SALU_CYCLE_1)
	v_cmp_ne_u32_e32 vcc_lo, 0x7f800000, v94
                                        ; implicit-def: $vgpr94
	s_and_saveexec_b32 s0, vcc_lo
	s_xor_b32 s0, exec_lo, s0
; %bb.6:                                ;   in Loop: Header=BB74_5 Depth=1
	v_bfe_u32 v94, v84, 16, 1
	s_delay_alu instid0(VALU_DEP_1)
	v_add3_u32 v94, v84, v94, 0x7fff
; %bb.7:                                ;   in Loop: Header=BB74_5 Depth=1
	s_and_not1_saveexec_b32 s0, s0
; %bb.8:                                ;   in Loop: Header=BB74_5 Depth=1
	v_and_b32_e32 v94, 0xffff, v84
	v_or_b32_e32 v95, 0x10000, v84
	s_delay_alu instid0(VALU_DEP_2) | instskip(NEXT) | instid1(VALU_DEP_2)
	v_cmp_eq_u32_e32 vcc_lo, 0, v94
	v_cndmask_b32_e32 v94, v95, v84, vcc_lo
; %bb.9:                                ;   in Loop: Header=BB74_5 Depth=1
	s_or_b32 exec_lo, exec_lo, s0
	v_and_b32_e32 v84, 0x7f800000, v85
	s_mov_b32 s0, exec_lo
                                        ; implicit-def: $vgpr95
	s_delay_alu instid0(VALU_DEP_1)
	v_cmpx_ne_u32_e32 0x7f800000, v84
	s_xor_b32 s0, exec_lo, s0
; %bb.10:                               ;   in Loop: Header=BB74_5 Depth=1
	v_bfe_u32 v84, v85, 16, 1
	s_delay_alu instid0(VALU_DEP_1)
	v_add3_u32 v95, v85, v84, 0x7fff
                                        ; implicit-def: $vgpr84_vgpr85
; %bb.11:                               ;   in Loop: Header=BB74_5 Depth=1
	s_and_not1_saveexec_b32 s0, s0
; %bb.12:                               ;   in Loop: Header=BB74_5 Depth=1
	v_and_b32_e32 v84, 0xffff, v85
	v_or_b32_e32 v95, 0x10000, v85
	s_delay_alu instid0(VALU_DEP_2) | instskip(NEXT) | instid1(VALU_DEP_2)
	v_cmp_eq_u32_e32 vcc_lo, 0, v84
	v_cndmask_b32_e32 v95, v95, v85, vcc_lo
; %bb.13:                               ;   in Loop: Header=BB74_5 Depth=1
	s_or_b32 exec_lo, exec_lo, s0
	s_delay_alu instid0(VALU_DEP_1)
	v_perm_b32 v84, v95, v94, 0x7060302
	ds_store_b32 v91, v84
	v_add_co_u32 v84, vcc_lo, v82, s4
	v_add_co_ci_u32_e32 v85, vcc_lo, s5, v83, vcc_lo
	global_load_b64 v[84:85], v[84:85], off
	s_waitcnt vmcnt(0)
	v_and_b32_e32 v94, 0x7f800000, v84
	s_delay_alu instid0(VALU_DEP_1) | instskip(SKIP_1) | instid1(SALU_CYCLE_1)
	v_cmp_ne_u32_e32 vcc_lo, 0x7f800000, v94
                                        ; implicit-def: $vgpr94
	s_and_saveexec_b32 s0, vcc_lo
	s_xor_b32 s0, exec_lo, s0
; %bb.14:                               ;   in Loop: Header=BB74_5 Depth=1
	v_bfe_u32 v94, v84, 16, 1
	s_delay_alu instid0(VALU_DEP_1)
	v_add3_u32 v94, v84, v94, 0x7fff
; %bb.15:                               ;   in Loop: Header=BB74_5 Depth=1
	s_and_not1_saveexec_b32 s0, s0
; %bb.16:                               ;   in Loop: Header=BB74_5 Depth=1
	v_and_b32_e32 v94, 0xffff, v84
	v_or_b32_e32 v95, 0x10000, v84
	s_delay_alu instid0(VALU_DEP_2) | instskip(NEXT) | instid1(VALU_DEP_2)
	v_cmp_eq_u32_e32 vcc_lo, 0, v94
	v_cndmask_b32_e32 v94, v95, v84, vcc_lo
; %bb.17:                               ;   in Loop: Header=BB74_5 Depth=1
	s_or_b32 exec_lo, exec_lo, s0
	v_and_b32_e32 v84, 0x7f800000, v85
	s_mov_b32 s0, exec_lo
                                        ; implicit-def: $vgpr95
	s_delay_alu instid0(VALU_DEP_1)
	v_cmpx_ne_u32_e32 0x7f800000, v84
	s_xor_b32 s0, exec_lo, s0
; %bb.18:                               ;   in Loop: Header=BB74_5 Depth=1
	v_bfe_u32 v84, v85, 16, 1
	s_delay_alu instid0(VALU_DEP_1)
	v_add3_u32 v95, v85, v84, 0x7fff
                                        ; implicit-def: $vgpr84_vgpr85
; %bb.19:                               ;   in Loop: Header=BB74_5 Depth=1
	s_and_not1_saveexec_b32 s0, s0
; %bb.20:                               ;   in Loop: Header=BB74_5 Depth=1
	v_and_b32_e32 v84, 0xffff, v85
	v_or_b32_e32 v95, 0x10000, v85
	s_delay_alu instid0(VALU_DEP_2) | instskip(NEXT) | instid1(VALU_DEP_2)
	v_cmp_eq_u32_e32 vcc_lo, 0, v84
	v_cndmask_b32_e32 v95, v95, v85, vcc_lo
; %bb.21:                               ;   in Loop: Header=BB74_5 Depth=1
	s_or_b32 exec_lo, exec_lo, s0
	s_delay_alu instid0(VALU_DEP_1) | instskip(SKIP_2) | instid1(VALU_DEP_1)
	v_perm_b32 v84, v95, v94, 0x7060302
	ds_store_b32 v91, v84 offset:144
	v_add_nc_u32_e32 v84, s13, v90
	v_ashrrev_i32_e32 v85, 31, v84
	s_delay_alu instid0(VALU_DEP_1) | instskip(NEXT) | instid1(VALU_DEP_1)
	v_lshlrev_b64 v[84:85], 3, v[84:85]
	v_add_co_u32 v84, vcc_lo, s9, v84
	s_delay_alu instid0(VALU_DEP_2) | instskip(SKIP_3) | instid1(VALU_DEP_1)
	v_add_co_ci_u32_e32 v85, vcc_lo, s10, v85, vcc_lo
	global_load_b64 v[84:85], v[84:85], off
	s_waitcnt vmcnt(0)
	v_and_b32_e32 v94, 0x7f800000, v84
	v_cmp_ne_u32_e32 vcc_lo, 0x7f800000, v94
                                        ; implicit-def: $vgpr94
	s_and_saveexec_b32 s0, vcc_lo
	s_delay_alu instid0(SALU_CYCLE_1)
	s_xor_b32 s0, exec_lo, s0
; %bb.22:                               ;   in Loop: Header=BB74_5 Depth=1
	v_bfe_u32 v94, v84, 16, 1
	s_delay_alu instid0(VALU_DEP_1)
	v_add3_u32 v94, v84, v94, 0x7fff
; %bb.23:                               ;   in Loop: Header=BB74_5 Depth=1
	s_and_not1_saveexec_b32 s0, s0
; %bb.24:                               ;   in Loop: Header=BB74_5 Depth=1
	v_and_b32_e32 v94, 0xffff, v84
	v_or_b32_e32 v95, 0x10000, v84
	s_delay_alu instid0(VALU_DEP_2) | instskip(NEXT) | instid1(VALU_DEP_2)
	v_cmp_eq_u32_e32 vcc_lo, 0, v94
	v_cndmask_b32_e32 v94, v95, v84, vcc_lo
; %bb.25:                               ;   in Loop: Header=BB74_5 Depth=1
	s_or_b32 exec_lo, exec_lo, s0
	v_and_b32_e32 v84, 0x7f800000, v85
	s_mov_b32 s0, exec_lo
                                        ; implicit-def: $vgpr95
	s_delay_alu instid0(VALU_DEP_1)
	v_cmpx_ne_u32_e32 0x7f800000, v84
	s_xor_b32 s0, exec_lo, s0
; %bb.26:                               ;   in Loop: Header=BB74_5 Depth=1
	v_bfe_u32 v84, v85, 16, 1
	s_delay_alu instid0(VALU_DEP_1)
	v_add3_u32 v95, v85, v84, 0x7fff
                                        ; implicit-def: $vgpr84_vgpr85
; %bb.27:                               ;   in Loop: Header=BB74_5 Depth=1
	s_and_not1_saveexec_b32 s0, s0
; %bb.28:                               ;   in Loop: Header=BB74_5 Depth=1
	v_and_b32_e32 v84, 0xffff, v85
	v_or_b32_e32 v95, 0x10000, v85
	s_delay_alu instid0(VALU_DEP_2) | instskip(NEXT) | instid1(VALU_DEP_2)
	v_cmp_eq_u32_e32 vcc_lo, 0, v84
	v_cndmask_b32_e32 v95, v95, v85, vcc_lo
; %bb.29:                               ;   in Loop: Header=BB74_5 Depth=1
	s_or_b32 exec_lo, exec_lo, s0
	s_delay_alu instid0(VALU_DEP_1) | instskip(SKIP_2) | instid1(VALU_DEP_1)
	v_perm_b32 v84, v95, v94, 0x7060302
	ds_store_b32 v91, v84 offset:288
	v_add_nc_u32_e32 v84, s23, v90
	v_ashrrev_i32_e32 v85, 31, v84
	s_delay_alu instid0(VALU_DEP_1) | instskip(NEXT) | instid1(VALU_DEP_1)
	v_lshlrev_b64 v[84:85], 3, v[84:85]
	v_add_co_u32 v84, vcc_lo, s9, v84
	s_delay_alu instid0(VALU_DEP_2) | instskip(SKIP_3) | instid1(VALU_DEP_1)
	v_add_co_ci_u32_e32 v85, vcc_lo, s10, v85, vcc_lo
	global_load_b64 v[84:85], v[84:85], off
	s_waitcnt vmcnt(0)
	v_and_b32_e32 v94, 0x7f800000, v84
	v_cmp_ne_u32_e32 vcc_lo, 0x7f800000, v94
                                        ; implicit-def: $vgpr94
	s_and_saveexec_b32 s0, vcc_lo
	s_delay_alu instid0(SALU_CYCLE_1)
	s_xor_b32 s0, exec_lo, s0
; %bb.30:                               ;   in Loop: Header=BB74_5 Depth=1
	v_bfe_u32 v94, v84, 16, 1
	s_delay_alu instid0(VALU_DEP_1)
	v_add3_u32 v94, v84, v94, 0x7fff
; %bb.31:                               ;   in Loop: Header=BB74_5 Depth=1
	s_and_not1_saveexec_b32 s0, s0
; %bb.32:                               ;   in Loop: Header=BB74_5 Depth=1
	v_and_b32_e32 v94, 0xffff, v84
	v_or_b32_e32 v95, 0x10000, v84
	s_delay_alu instid0(VALU_DEP_2) | instskip(NEXT) | instid1(VALU_DEP_2)
	v_cmp_eq_u32_e32 vcc_lo, 0, v94
	v_cndmask_b32_e32 v94, v95, v84, vcc_lo
; %bb.33:                               ;   in Loop: Header=BB74_5 Depth=1
	s_or_b32 exec_lo, exec_lo, s0
	v_and_b32_e32 v84, 0x7f800000, v85
	s_mov_b32 s0, exec_lo
                                        ; implicit-def: $vgpr95
	s_delay_alu instid0(VALU_DEP_1)
	v_cmpx_ne_u32_e32 0x7f800000, v84
	s_xor_b32 s0, exec_lo, s0
; %bb.34:                               ;   in Loop: Header=BB74_5 Depth=1
	v_bfe_u32 v84, v85, 16, 1
	s_delay_alu instid0(VALU_DEP_1)
	v_add3_u32 v95, v85, v84, 0x7fff
                                        ; implicit-def: $vgpr84_vgpr85
; %bb.35:                               ;   in Loop: Header=BB74_5 Depth=1
	s_and_not1_saveexec_b32 s0, s0
; %bb.36:                               ;   in Loop: Header=BB74_5 Depth=1
	v_and_b32_e32 v84, 0xffff, v85
	v_or_b32_e32 v95, 0x10000, v85
	s_delay_alu instid0(VALU_DEP_2) | instskip(NEXT) | instid1(VALU_DEP_2)
	v_cmp_eq_u32_e32 vcc_lo, 0, v84
	v_cndmask_b32_e32 v95, v95, v85, vcc_lo
; %bb.37:                               ;   in Loop: Header=BB74_5 Depth=1
	s_or_b32 exec_lo, exec_lo, s0
	s_delay_alu instid0(VALU_DEP_1) | instskip(SKIP_2) | instid1(VALU_DEP_1)
	v_perm_b32 v84, v95, v94, 0x7060302
	ds_store_b32 v91, v84 offset:432
	v_add_nc_u32_e32 v84, s24, v90
	v_ashrrev_i32_e32 v85, 31, v84
	s_delay_alu instid0(VALU_DEP_1) | instskip(NEXT) | instid1(VALU_DEP_1)
	v_lshlrev_b64 v[84:85], 3, v[84:85]
	v_add_co_u32 v84, vcc_lo, s9, v84
	s_delay_alu instid0(VALU_DEP_2) | instskip(SKIP_3) | instid1(VALU_DEP_1)
	v_add_co_ci_u32_e32 v85, vcc_lo, s10, v85, vcc_lo
	global_load_b64 v[84:85], v[84:85], off
	s_waitcnt vmcnt(0)
	v_and_b32_e32 v94, 0x7f800000, v84
	v_cmp_ne_u32_e32 vcc_lo, 0x7f800000, v94
                                        ; implicit-def: $vgpr94
	s_and_saveexec_b32 s0, vcc_lo
	s_delay_alu instid0(SALU_CYCLE_1)
	s_xor_b32 s0, exec_lo, s0
; %bb.38:                               ;   in Loop: Header=BB74_5 Depth=1
	v_bfe_u32 v94, v84, 16, 1
	s_delay_alu instid0(VALU_DEP_1)
	v_add3_u32 v94, v84, v94, 0x7fff
; %bb.39:                               ;   in Loop: Header=BB74_5 Depth=1
	s_and_not1_saveexec_b32 s0, s0
; %bb.40:                               ;   in Loop: Header=BB74_5 Depth=1
	v_and_b32_e32 v94, 0xffff, v84
	v_or_b32_e32 v95, 0x10000, v84
	s_delay_alu instid0(VALU_DEP_2) | instskip(NEXT) | instid1(VALU_DEP_2)
	v_cmp_eq_u32_e32 vcc_lo, 0, v94
	v_cndmask_b32_e32 v94, v95, v84, vcc_lo
; %bb.41:                               ;   in Loop: Header=BB74_5 Depth=1
	s_or_b32 exec_lo, exec_lo, s0
	v_and_b32_e32 v84, 0x7f800000, v85
	s_mov_b32 s0, exec_lo
                                        ; implicit-def: $vgpr95
	s_delay_alu instid0(VALU_DEP_1)
	v_cmpx_ne_u32_e32 0x7f800000, v84
	s_xor_b32 s0, exec_lo, s0
; %bb.42:                               ;   in Loop: Header=BB74_5 Depth=1
	v_bfe_u32 v84, v85, 16, 1
	s_delay_alu instid0(VALU_DEP_1)
	v_add3_u32 v95, v85, v84, 0x7fff
                                        ; implicit-def: $vgpr84_vgpr85
; %bb.43:                               ;   in Loop: Header=BB74_5 Depth=1
	s_and_not1_saveexec_b32 s0, s0
; %bb.44:                               ;   in Loop: Header=BB74_5 Depth=1
	v_and_b32_e32 v84, 0xffff, v85
	v_or_b32_e32 v95, 0x10000, v85
	s_delay_alu instid0(VALU_DEP_2) | instskip(NEXT) | instid1(VALU_DEP_2)
	v_cmp_eq_u32_e32 vcc_lo, 0, v84
	v_cndmask_b32_e32 v95, v95, v85, vcc_lo
; %bb.45:                               ;   in Loop: Header=BB74_5 Depth=1
	s_or_b32 exec_lo, exec_lo, s0
	s_delay_alu instid0(VALU_DEP_1) | instskip(SKIP_2) | instid1(VALU_DEP_1)
	v_perm_b32 v84, v95, v94, 0x7060302
	ds_store_b32 v91, v84 offset:576
	v_add_nc_u32_e32 v84, s25, v90
	v_ashrrev_i32_e32 v85, 31, v84
	s_delay_alu instid0(VALU_DEP_1) | instskip(NEXT) | instid1(VALU_DEP_1)
	v_lshlrev_b64 v[84:85], 3, v[84:85]
	v_add_co_u32 v84, vcc_lo, s9, v84
	s_delay_alu instid0(VALU_DEP_2) | instskip(SKIP_3) | instid1(VALU_DEP_1)
	v_add_co_ci_u32_e32 v85, vcc_lo, s10, v85, vcc_lo
	global_load_b64 v[84:85], v[84:85], off
	s_waitcnt vmcnt(0)
	v_and_b32_e32 v94, 0x7f800000, v84
	v_cmp_ne_u32_e32 vcc_lo, 0x7f800000, v94
                                        ; implicit-def: $vgpr94
	s_and_saveexec_b32 s0, vcc_lo
	s_delay_alu instid0(SALU_CYCLE_1)
	s_xor_b32 s0, exec_lo, s0
; %bb.46:                               ;   in Loop: Header=BB74_5 Depth=1
	v_bfe_u32 v94, v84, 16, 1
	s_delay_alu instid0(VALU_DEP_1)
	v_add3_u32 v94, v84, v94, 0x7fff
; %bb.47:                               ;   in Loop: Header=BB74_5 Depth=1
	s_and_not1_saveexec_b32 s0, s0
; %bb.48:                               ;   in Loop: Header=BB74_5 Depth=1
	v_and_b32_e32 v94, 0xffff, v84
	v_or_b32_e32 v95, 0x10000, v84
	s_delay_alu instid0(VALU_DEP_2) | instskip(NEXT) | instid1(VALU_DEP_2)
	v_cmp_eq_u32_e32 vcc_lo, 0, v94
	v_cndmask_b32_e32 v94, v95, v84, vcc_lo
; %bb.49:                               ;   in Loop: Header=BB74_5 Depth=1
	s_or_b32 exec_lo, exec_lo, s0
	v_and_b32_e32 v84, 0x7f800000, v85
	s_mov_b32 s0, exec_lo
                                        ; implicit-def: $vgpr95
	s_delay_alu instid0(VALU_DEP_1)
	v_cmpx_ne_u32_e32 0x7f800000, v84
	s_xor_b32 s0, exec_lo, s0
; %bb.50:                               ;   in Loop: Header=BB74_5 Depth=1
	v_bfe_u32 v84, v85, 16, 1
	s_delay_alu instid0(VALU_DEP_1)
	v_add3_u32 v95, v85, v84, 0x7fff
                                        ; implicit-def: $vgpr84_vgpr85
; %bb.51:                               ;   in Loop: Header=BB74_5 Depth=1
	s_and_not1_saveexec_b32 s0, s0
; %bb.52:                               ;   in Loop: Header=BB74_5 Depth=1
	v_and_b32_e32 v84, 0xffff, v85
	v_or_b32_e32 v95, 0x10000, v85
	s_delay_alu instid0(VALU_DEP_2) | instskip(NEXT) | instid1(VALU_DEP_2)
	v_cmp_eq_u32_e32 vcc_lo, 0, v84
	v_cndmask_b32_e32 v95, v95, v85, vcc_lo
; %bb.53:                               ;   in Loop: Header=BB74_5 Depth=1
	s_or_b32 exec_lo, exec_lo, s0
	s_delay_alu instid0(VALU_DEP_1) | instskip(SKIP_2) | instid1(VALU_DEP_1)
	v_perm_b32 v84, v95, v94, 0x7060302
	ds_store_b32 v91, v84 offset:720
	v_add_nc_u32_e32 v84, s26, v90
	v_ashrrev_i32_e32 v85, 31, v84
	s_delay_alu instid0(VALU_DEP_1) | instskip(NEXT) | instid1(VALU_DEP_1)
	v_lshlrev_b64 v[84:85], 3, v[84:85]
	v_add_co_u32 v84, vcc_lo, s9, v84
	s_delay_alu instid0(VALU_DEP_2) | instskip(SKIP_3) | instid1(VALU_DEP_1)
	v_add_co_ci_u32_e32 v85, vcc_lo, s10, v85, vcc_lo
	global_load_b64 v[84:85], v[84:85], off
	s_waitcnt vmcnt(0)
	v_and_b32_e32 v94, 0x7f800000, v84
	v_cmp_ne_u32_e32 vcc_lo, 0x7f800000, v94
                                        ; implicit-def: $vgpr94
	s_and_saveexec_b32 s0, vcc_lo
	s_delay_alu instid0(SALU_CYCLE_1)
	s_xor_b32 s0, exec_lo, s0
; %bb.54:                               ;   in Loop: Header=BB74_5 Depth=1
	v_bfe_u32 v94, v84, 16, 1
	s_delay_alu instid0(VALU_DEP_1)
	v_add3_u32 v94, v84, v94, 0x7fff
; %bb.55:                               ;   in Loop: Header=BB74_5 Depth=1
	s_and_not1_saveexec_b32 s0, s0
; %bb.56:                               ;   in Loop: Header=BB74_5 Depth=1
	v_and_b32_e32 v94, 0xffff, v84
	v_or_b32_e32 v95, 0x10000, v84
	s_delay_alu instid0(VALU_DEP_2) | instskip(NEXT) | instid1(VALU_DEP_2)
	v_cmp_eq_u32_e32 vcc_lo, 0, v94
	v_cndmask_b32_e32 v94, v95, v84, vcc_lo
; %bb.57:                               ;   in Loop: Header=BB74_5 Depth=1
	s_or_b32 exec_lo, exec_lo, s0
	v_and_b32_e32 v84, 0x7f800000, v85
	s_mov_b32 s0, exec_lo
                                        ; implicit-def: $vgpr95
	s_delay_alu instid0(VALU_DEP_1)
	v_cmpx_ne_u32_e32 0x7f800000, v84
	s_xor_b32 s0, exec_lo, s0
; %bb.58:                               ;   in Loop: Header=BB74_5 Depth=1
	v_bfe_u32 v84, v85, 16, 1
	s_delay_alu instid0(VALU_DEP_1)
	v_add3_u32 v95, v85, v84, 0x7fff
                                        ; implicit-def: $vgpr84_vgpr85
; %bb.59:                               ;   in Loop: Header=BB74_5 Depth=1
	s_and_not1_saveexec_b32 s0, s0
; %bb.60:                               ;   in Loop: Header=BB74_5 Depth=1
	v_and_b32_e32 v84, 0xffff, v85
	v_or_b32_e32 v95, 0x10000, v85
	s_delay_alu instid0(VALU_DEP_2) | instskip(NEXT) | instid1(VALU_DEP_2)
	v_cmp_eq_u32_e32 vcc_lo, 0, v84
	v_cndmask_b32_e32 v95, v95, v85, vcc_lo
; %bb.61:                               ;   in Loop: Header=BB74_5 Depth=1
	s_or_b32 exec_lo, exec_lo, s0
	s_delay_alu instid0(VALU_DEP_1) | instskip(SKIP_2) | instid1(VALU_DEP_1)
	v_perm_b32 v84, v95, v94, 0x7060302
	ds_store_b32 v91, v84 offset:864
	v_add_nc_u32_e32 v84, s27, v90
	v_ashrrev_i32_e32 v85, 31, v84
	s_delay_alu instid0(VALU_DEP_1) | instskip(NEXT) | instid1(VALU_DEP_1)
	v_lshlrev_b64 v[84:85], 3, v[84:85]
	v_add_co_u32 v84, vcc_lo, s9, v84
	s_delay_alu instid0(VALU_DEP_2) | instskip(SKIP_3) | instid1(VALU_DEP_1)
	v_add_co_ci_u32_e32 v85, vcc_lo, s10, v85, vcc_lo
	global_load_b64 v[84:85], v[84:85], off
	s_waitcnt vmcnt(0)
	v_and_b32_e32 v94, 0x7f800000, v84
	v_cmp_ne_u32_e32 vcc_lo, 0x7f800000, v94
                                        ; implicit-def: $vgpr94
	s_and_saveexec_b32 s0, vcc_lo
	s_delay_alu instid0(SALU_CYCLE_1)
	s_xor_b32 s0, exec_lo, s0
; %bb.62:                               ;   in Loop: Header=BB74_5 Depth=1
	v_bfe_u32 v94, v84, 16, 1
	s_delay_alu instid0(VALU_DEP_1)
	v_add3_u32 v94, v84, v94, 0x7fff
; %bb.63:                               ;   in Loop: Header=BB74_5 Depth=1
	s_and_not1_saveexec_b32 s0, s0
; %bb.64:                               ;   in Loop: Header=BB74_5 Depth=1
	v_and_b32_e32 v94, 0xffff, v84
	v_or_b32_e32 v95, 0x10000, v84
	s_delay_alu instid0(VALU_DEP_2) | instskip(NEXT) | instid1(VALU_DEP_2)
	v_cmp_eq_u32_e32 vcc_lo, 0, v94
	v_cndmask_b32_e32 v94, v95, v84, vcc_lo
; %bb.65:                               ;   in Loop: Header=BB74_5 Depth=1
	s_or_b32 exec_lo, exec_lo, s0
	v_and_b32_e32 v84, 0x7f800000, v85
	s_mov_b32 s0, exec_lo
                                        ; implicit-def: $vgpr95
	s_delay_alu instid0(VALU_DEP_1)
	v_cmpx_ne_u32_e32 0x7f800000, v84
	s_xor_b32 s0, exec_lo, s0
; %bb.66:                               ;   in Loop: Header=BB74_5 Depth=1
	v_bfe_u32 v84, v85, 16, 1
	s_delay_alu instid0(VALU_DEP_1)
	v_add3_u32 v95, v85, v84, 0x7fff
                                        ; implicit-def: $vgpr84_vgpr85
; %bb.67:                               ;   in Loop: Header=BB74_5 Depth=1
	s_and_not1_saveexec_b32 s0, s0
; %bb.68:                               ;   in Loop: Header=BB74_5 Depth=1
	v_and_b32_e32 v84, 0xffff, v85
	v_or_b32_e32 v95, 0x10000, v85
	s_delay_alu instid0(VALU_DEP_2) | instskip(NEXT) | instid1(VALU_DEP_2)
	v_cmp_eq_u32_e32 vcc_lo, 0, v84
	v_cndmask_b32_e32 v95, v95, v85, vcc_lo
; %bb.69:                               ;   in Loop: Header=BB74_5 Depth=1
	s_or_b32 exec_lo, exec_lo, s0
	s_delay_alu instid0(VALU_DEP_1) | instskip(SKIP_2) | instid1(VALU_DEP_1)
	v_perm_b32 v84, v95, v94, 0x7060302
	ds_store_b32 v91, v84 offset:1008
	v_add_nc_u32_e32 v84, s28, v90
	v_ashrrev_i32_e32 v85, 31, v84
	s_delay_alu instid0(VALU_DEP_1) | instskip(NEXT) | instid1(VALU_DEP_1)
	v_lshlrev_b64 v[84:85], 3, v[84:85]
	v_add_co_u32 v84, vcc_lo, s9, v84
	s_delay_alu instid0(VALU_DEP_2) | instskip(SKIP_3) | instid1(VALU_DEP_1)
	v_add_co_ci_u32_e32 v85, vcc_lo, s10, v85, vcc_lo
	global_load_b64 v[84:85], v[84:85], off
	s_waitcnt vmcnt(0)
	v_and_b32_e32 v94, 0x7f800000, v84
	v_cmp_ne_u32_e32 vcc_lo, 0x7f800000, v94
                                        ; implicit-def: $vgpr94
	s_and_saveexec_b32 s0, vcc_lo
	s_delay_alu instid0(SALU_CYCLE_1)
	s_xor_b32 s0, exec_lo, s0
; %bb.70:                               ;   in Loop: Header=BB74_5 Depth=1
	v_bfe_u32 v94, v84, 16, 1
	s_delay_alu instid0(VALU_DEP_1)
	v_add3_u32 v94, v84, v94, 0x7fff
; %bb.71:                               ;   in Loop: Header=BB74_5 Depth=1
	s_and_not1_saveexec_b32 s0, s0
; %bb.72:                               ;   in Loop: Header=BB74_5 Depth=1
	v_and_b32_e32 v94, 0xffff, v84
	v_or_b32_e32 v95, 0x10000, v84
	s_delay_alu instid0(VALU_DEP_2) | instskip(NEXT) | instid1(VALU_DEP_2)
	v_cmp_eq_u32_e32 vcc_lo, 0, v94
	v_cndmask_b32_e32 v94, v95, v84, vcc_lo
; %bb.73:                               ;   in Loop: Header=BB74_5 Depth=1
	s_or_b32 exec_lo, exec_lo, s0
	v_and_b32_e32 v84, 0x7f800000, v85
	s_mov_b32 s0, exec_lo
                                        ; implicit-def: $vgpr95
	s_delay_alu instid0(VALU_DEP_1)
	v_cmpx_ne_u32_e32 0x7f800000, v84
	s_xor_b32 s0, exec_lo, s0
; %bb.74:                               ;   in Loop: Header=BB74_5 Depth=1
	v_bfe_u32 v84, v85, 16, 1
	s_delay_alu instid0(VALU_DEP_1)
	v_add3_u32 v95, v85, v84, 0x7fff
                                        ; implicit-def: $vgpr84_vgpr85
; %bb.75:                               ;   in Loop: Header=BB74_5 Depth=1
	s_and_not1_saveexec_b32 s0, s0
; %bb.76:                               ;   in Loop: Header=BB74_5 Depth=1
	v_and_b32_e32 v84, 0xffff, v85
	v_or_b32_e32 v95, 0x10000, v85
	s_delay_alu instid0(VALU_DEP_2) | instskip(NEXT) | instid1(VALU_DEP_2)
	v_cmp_eq_u32_e32 vcc_lo, 0, v84
	v_cndmask_b32_e32 v95, v95, v85, vcc_lo
; %bb.77:                               ;   in Loop: Header=BB74_5 Depth=1
	s_or_b32 exec_lo, exec_lo, s0
	s_delay_alu instid0(VALU_DEP_1) | instskip(SKIP_2) | instid1(VALU_DEP_1)
	v_perm_b32 v84, v95, v94, 0x7060302
	ds_store_b32 v91, v84 offset:1152
	v_add_nc_u32_e32 v84, s29, v90
	v_ashrrev_i32_e32 v85, 31, v84
	s_delay_alu instid0(VALU_DEP_1) | instskip(NEXT) | instid1(VALU_DEP_1)
	v_lshlrev_b64 v[84:85], 3, v[84:85]
	v_add_co_u32 v84, vcc_lo, s9, v84
	s_delay_alu instid0(VALU_DEP_2) | instskip(SKIP_3) | instid1(VALU_DEP_1)
	v_add_co_ci_u32_e32 v85, vcc_lo, s10, v85, vcc_lo
	global_load_b64 v[84:85], v[84:85], off
	s_waitcnt vmcnt(0)
	v_and_b32_e32 v94, 0x7f800000, v84
	v_cmp_ne_u32_e32 vcc_lo, 0x7f800000, v94
                                        ; implicit-def: $vgpr94
	s_and_saveexec_b32 s0, vcc_lo
	s_delay_alu instid0(SALU_CYCLE_1)
	s_xor_b32 s0, exec_lo, s0
; %bb.78:                               ;   in Loop: Header=BB74_5 Depth=1
	v_bfe_u32 v94, v84, 16, 1
	s_delay_alu instid0(VALU_DEP_1)
	v_add3_u32 v94, v84, v94, 0x7fff
; %bb.79:                               ;   in Loop: Header=BB74_5 Depth=1
	s_and_not1_saveexec_b32 s0, s0
; %bb.80:                               ;   in Loop: Header=BB74_5 Depth=1
	v_and_b32_e32 v94, 0xffff, v84
	v_or_b32_e32 v95, 0x10000, v84
	s_delay_alu instid0(VALU_DEP_2) | instskip(NEXT) | instid1(VALU_DEP_2)
	v_cmp_eq_u32_e32 vcc_lo, 0, v94
	v_cndmask_b32_e32 v94, v95, v84, vcc_lo
; %bb.81:                               ;   in Loop: Header=BB74_5 Depth=1
	s_or_b32 exec_lo, exec_lo, s0
	v_and_b32_e32 v84, 0x7f800000, v85
	s_mov_b32 s0, exec_lo
                                        ; implicit-def: $vgpr95
	s_delay_alu instid0(VALU_DEP_1)
	v_cmpx_ne_u32_e32 0x7f800000, v84
	s_xor_b32 s0, exec_lo, s0
; %bb.82:                               ;   in Loop: Header=BB74_5 Depth=1
	v_bfe_u32 v84, v85, 16, 1
	s_delay_alu instid0(VALU_DEP_1)
	v_add3_u32 v95, v85, v84, 0x7fff
                                        ; implicit-def: $vgpr84_vgpr85
; %bb.83:                               ;   in Loop: Header=BB74_5 Depth=1
	s_and_not1_saveexec_b32 s0, s0
; %bb.84:                               ;   in Loop: Header=BB74_5 Depth=1
	v_and_b32_e32 v84, 0xffff, v85
	v_or_b32_e32 v95, 0x10000, v85
	s_delay_alu instid0(VALU_DEP_2) | instskip(NEXT) | instid1(VALU_DEP_2)
	v_cmp_eq_u32_e32 vcc_lo, 0, v84
	v_cndmask_b32_e32 v95, v95, v85, vcc_lo
; %bb.85:                               ;   in Loop: Header=BB74_5 Depth=1
	s_or_b32 exec_lo, exec_lo, s0
	s_delay_alu instid0(VALU_DEP_1) | instskip(SKIP_2) | instid1(VALU_DEP_1)
	v_perm_b32 v84, v95, v94, 0x7060302
	ds_store_b32 v91, v84 offset:1296
	v_add_nc_u32_e32 v84, s17, v90
	v_ashrrev_i32_e32 v85, 31, v84
	s_delay_alu instid0(VALU_DEP_1) | instskip(NEXT) | instid1(VALU_DEP_1)
	v_lshlrev_b64 v[84:85], 3, v[84:85]
	v_add_co_u32 v84, vcc_lo, s9, v84
	s_delay_alu instid0(VALU_DEP_2) | instskip(SKIP_3) | instid1(VALU_DEP_1)
	v_add_co_ci_u32_e32 v85, vcc_lo, s10, v85, vcc_lo
	global_load_b64 v[84:85], v[84:85], off
	s_waitcnt vmcnt(0)
	v_and_b32_e32 v94, 0x7f800000, v84
	v_cmp_ne_u32_e32 vcc_lo, 0x7f800000, v94
                                        ; implicit-def: $vgpr94
	s_and_saveexec_b32 s0, vcc_lo
	s_delay_alu instid0(SALU_CYCLE_1)
	s_xor_b32 s0, exec_lo, s0
; %bb.86:                               ;   in Loop: Header=BB74_5 Depth=1
	v_bfe_u32 v94, v84, 16, 1
	s_delay_alu instid0(VALU_DEP_1)
	v_add3_u32 v94, v84, v94, 0x7fff
; %bb.87:                               ;   in Loop: Header=BB74_5 Depth=1
	s_and_not1_saveexec_b32 s0, s0
; %bb.88:                               ;   in Loop: Header=BB74_5 Depth=1
	v_and_b32_e32 v94, 0xffff, v84
	v_or_b32_e32 v95, 0x10000, v84
	s_delay_alu instid0(VALU_DEP_2) | instskip(NEXT) | instid1(VALU_DEP_2)
	v_cmp_eq_u32_e32 vcc_lo, 0, v94
	v_cndmask_b32_e32 v94, v95, v84, vcc_lo
; %bb.89:                               ;   in Loop: Header=BB74_5 Depth=1
	s_or_b32 exec_lo, exec_lo, s0
	v_and_b32_e32 v84, 0x7f800000, v85
	s_mov_b32 s0, exec_lo
                                        ; implicit-def: $vgpr95
	s_delay_alu instid0(VALU_DEP_1)
	v_cmpx_ne_u32_e32 0x7f800000, v84
	s_xor_b32 s0, exec_lo, s0
; %bb.90:                               ;   in Loop: Header=BB74_5 Depth=1
	v_bfe_u32 v84, v85, 16, 1
	s_delay_alu instid0(VALU_DEP_1)
	v_add3_u32 v95, v85, v84, 0x7fff
                                        ; implicit-def: $vgpr84_vgpr85
; %bb.91:                               ;   in Loop: Header=BB74_5 Depth=1
	s_and_not1_saveexec_b32 s0, s0
	s_cbranch_execz .LBB74_4
; %bb.92:                               ;   in Loop: Header=BB74_5 Depth=1
	v_and_b32_e32 v84, 0xffff, v85
	v_or_b32_e32 v95, 0x10000, v85
	s_delay_alu instid0(VALU_DEP_2) | instskip(NEXT) | instid1(VALU_DEP_2)
	v_cmp_eq_u32_e32 vcc_lo, 0, v84
	v_cndmask_b32_e32 v95, v95, v85, vcc_lo
	s_branch .LBB74_4
.LBB74_93:
	s_or_b32 exec_lo, exec_lo, s16
.LBB74_94:
	s_delay_alu instid0(SALU_CYCLE_1)
	s_or_b32 exec_lo, exec_lo, s19
	v_lshrrev_b32_e32 v16, 2, v87
	v_mad_u32_u24 v17, 0x410, v89, 0
	v_lshlrev_b32_e32 v18, 2, v88
	s_waitcnt lgkmcnt(0)
	s_barrier
	v_and_b32_e32 v16, 0xfc, v16
	buffer_gl0_inv
	s_mul_hi_i32 s1, s11, s15
	s_mul_i32 s0, s11, s15
	s_mul_i32 s2, s14, s7
	v_add3_u32 v17, v17, v16, v18
	v_lshl_add_u32 v16, v87, 2, 0
	s_lshl_b64 s[0:1], s[0:1], 2
	ds_store_2addr_b32 v17, v8, v9 offset1:2
	ds_store_2addr_b32 v17, v10, v11 offset0:4 offset1:6
	ds_store_2addr_b32 v17, v12, v13 offset0:8 offset1:10
	;; [unrolled: 1-line block ×6, first 2 shown]
	v_mad_u32_u24 v8, 0x410, v86, v16
	ds_store_2addr_b32 v17, v6, v7 offset0:28 offset1:30
	s_waitcnt lgkmcnt(0)
	s_barrier
	buffer_gl0_inv
	ds_load_2addr_b32 v[0:1], v8 offset1:32
	ds_load_2addr_b32 v[2:3], v8 offset0:64 offset1:96
	ds_load_2addr_b32 v[4:5], v8 offset0:128 offset1:160
	;; [unrolled: 1-line block ×3, first 2 shown]
	s_add_u32 s4, s20, s0
	s_addc_u32 s5, s21, s1
	s_ashr_i32 s3, s2, 31
	s_delay_alu instid0(SALU_CYCLE_1)
	s_lshl_b64 s[0:1], s[2:3], 2
	s_mov_b32 s2, exec_lo
	s_add_u32 s0, s4, s0
	s_addc_u32 s1, s5, s1
	s_waitcnt lgkmcnt(3)
	v_add_f32_e32 v0, 0, v0
	s_delay_alu instid0(VALU_DEP_1) | instskip(SKIP_1) | instid1(VALU_DEP_1)
	v_add_f32_e32 v0, v0, v1
	s_waitcnt lgkmcnt(2)
	v_add_f32_e32 v0, v0, v2
	s_delay_alu instid0(VALU_DEP_1) | instskip(SKIP_1) | instid1(VALU_DEP_1)
	v_add_f32_e32 v1, v0, v3
	s_waitcnt lgkmcnt(1)
	v_dual_add_f32 v3, v1, v4 :: v_dual_add_nc_u32 v0, s12, v87
	s_delay_alu instid0(VALU_DEP_1) | instskip(NEXT) | instid1(VALU_DEP_2)
	v_mad_u64_u32 v[1:2], null, v86, s18, v[0:1]
	v_dual_mov_b32 v2, 0 :: v_dual_add_f32 v3, v3, v5
	s_waitcnt lgkmcnt(0)
	s_delay_alu instid0(VALU_DEP_1) | instskip(NEXT) | instid1(VALU_DEP_2)
	v_add_f32_e32 v5, v3, v6
	v_lshlrev_b64 v[3:4], 2, v[1:2]
	s_delay_alu instid0(VALU_DEP_2) | instskip(NEXT) | instid1(VALU_DEP_2)
	v_add_f32_e32 v1, v5, v7
	v_add_co_u32 v3, vcc_lo, s0, v3
	s_delay_alu instid0(VALU_DEP_3)
	v_add_co_ci_u32_e32 v4, vcc_lo, s1, v4, vcc_lo
	global_store_b32 v[3:4], v1, off
	v_cmpx_gt_u32_e32 3, v86
	s_cbranch_execz .LBB74_96
; %bb.95:
	v_or_b32_e32 v1, 8, v86
	s_delay_alu instid0(VALU_DEP_1)
	v_mad_u32_u24 v9, 0x410, v1, v16
	ds_load_2addr_b32 v[3:4], v9 offset1:32
	ds_load_2addr_b32 v[5:6], v9 offset0:64 offset1:96
	ds_load_2addr_b32 v[7:8], v9 offset0:128 offset1:160
	s_waitcnt lgkmcnt(2)
	v_add_f32_e32 v3, 0, v3
	s_delay_alu instid0(VALU_DEP_1) | instskip(SKIP_3) | instid1(VALU_DEP_1)
	v_add_f32_e32 v10, v3, v4
	ds_load_2addr_b32 v[3:4], v9 offset0:192 offset1:224
	s_waitcnt lgkmcnt(2)
	v_add_f32_e32 v5, v10, v5
	v_add_f32_e32 v5, v5, v6
	s_waitcnt lgkmcnt(1)
	s_delay_alu instid0(VALU_DEP_1) | instskip(SKIP_2) | instid1(VALU_DEP_3)
	v_add_f32_e32 v7, v5, v7
	v_mad_u64_u32 v[5:6], null, v1, s18, v[0:1]
	v_mov_b32_e32 v6, v2
	v_add_f32_e32 v0, v7, v8
	s_waitcnt lgkmcnt(0)
	s_delay_alu instid0(VALU_DEP_1) | instskip(NEXT) | instid1(VALU_DEP_3)
	v_add_f32_e32 v2, v0, v3
	v_lshlrev_b64 v[0:1], 2, v[5:6]
	s_delay_alu instid0(VALU_DEP_2) | instskip(NEXT) | instid1(VALU_DEP_2)
	v_add_f32_e32 v2, v2, v4
	v_add_co_u32 v0, vcc_lo, s0, v0
	s_delay_alu instid0(VALU_DEP_3)
	v_add_co_ci_u32_e32 v1, vcc_lo, s1, v1, vcc_lo
	global_store_b32 v[0:1], v2, off
.LBB74_96:
	s_nop 0
	s_sendmsg sendmsg(MSG_DEALLOC_VGPRS)
	s_endpgm
	.section	.rodata,"a",@progbits
	.p2align	6, 0x0
	.amdhsa_kernel _ZL9mul_mat_fI15__hip_bfloat162Li32ELi11ELi8ELb0EEvPKT_PKfPKiPfiiiiiiiiiiiiiiii
		.amdhsa_group_segment_fixed_size 0
		.amdhsa_private_segment_fixed_size 0
		.amdhsa_kernarg_size 96
		.amdhsa_user_sgpr_count 13
		.amdhsa_user_sgpr_dispatch_ptr 0
		.amdhsa_user_sgpr_queue_ptr 0
		.amdhsa_user_sgpr_kernarg_segment_ptr 1
		.amdhsa_user_sgpr_dispatch_id 0
		.amdhsa_user_sgpr_private_segment_size 0
		.amdhsa_wavefront_size32 1
		.amdhsa_uses_dynamic_stack 0
		.amdhsa_enable_private_segment 0
		.amdhsa_system_sgpr_workgroup_id_x 1
		.amdhsa_system_sgpr_workgroup_id_y 1
		.amdhsa_system_sgpr_workgroup_id_z 1
		.amdhsa_system_sgpr_workgroup_info 0
		.amdhsa_system_vgpr_workitem_id 1
		.amdhsa_next_free_vgpr 118
		.amdhsa_next_free_sgpr 60
		.amdhsa_reserve_vcc 1
		.amdhsa_float_round_mode_32 0
		.amdhsa_float_round_mode_16_64 0
		.amdhsa_float_denorm_mode_32 3
		.amdhsa_float_denorm_mode_16_64 3
		.amdhsa_dx10_clamp 1
		.amdhsa_ieee_mode 1
		.amdhsa_fp16_overflow 0
		.amdhsa_workgroup_processor_mode 1
		.amdhsa_memory_ordered 1
		.amdhsa_forward_progress 0
		.amdhsa_shared_vgpr_count 0
		.amdhsa_exception_fp_ieee_invalid_op 0
		.amdhsa_exception_fp_denorm_src 0
		.amdhsa_exception_fp_ieee_div_zero 0
		.amdhsa_exception_fp_ieee_overflow 0
		.amdhsa_exception_fp_ieee_underflow 0
		.amdhsa_exception_fp_ieee_inexact 0
		.amdhsa_exception_int_div_zero 0
	.end_amdhsa_kernel
	.section	.text._ZL9mul_mat_fI15__hip_bfloat162Li32ELi11ELi8ELb0EEvPKT_PKfPKiPfiiiiiiiiiiiiiiii,"axG",@progbits,_ZL9mul_mat_fI15__hip_bfloat162Li32ELi11ELi8ELb0EEvPKT_PKfPKiPfiiiiiiiiiiiiiiii,comdat
.Lfunc_end74:
	.size	_ZL9mul_mat_fI15__hip_bfloat162Li32ELi11ELi8ELb0EEvPKT_PKfPKiPfiiiiiiiiiiiiiiii, .Lfunc_end74-_ZL9mul_mat_fI15__hip_bfloat162Li32ELi11ELi8ELb0EEvPKT_PKfPKiPfiiiiiiiiiiiiiiii
                                        ; -- End function
	.section	.AMDGPU.csdata,"",@progbits
; Kernel info:
; codeLenInByte = 6044
; NumSgprs: 62
; NumVgprs: 118
; ScratchSize: 0
; MemoryBound: 0
; FloatMode: 240
; IeeeMode: 1
; LDSByteSize: 0 bytes/workgroup (compile time only)
; SGPRBlocks: 7
; VGPRBlocks: 14
; NumSGPRsForWavesPerEU: 62
; NumVGPRsForWavesPerEU: 118
; Occupancy: 12
; WaveLimiterHint : 0
; COMPUTE_PGM_RSRC2:SCRATCH_EN: 0
; COMPUTE_PGM_RSRC2:USER_SGPR: 13
; COMPUTE_PGM_RSRC2:TRAP_HANDLER: 0
; COMPUTE_PGM_RSRC2:TGID_X_EN: 1
; COMPUTE_PGM_RSRC2:TGID_Y_EN: 1
; COMPUTE_PGM_RSRC2:TGID_Z_EN: 1
; COMPUTE_PGM_RSRC2:TIDIG_COMP_CNT: 1
	.section	.text._ZL13mul_mat_f_idsIfLi64ELi11ELi1EEvPKT_PKfPKiS6_S6_Pfiiiiiiiiiiiiii15HIP_vector_typeIjLj3EES9_,"axG",@progbits,_ZL13mul_mat_f_idsIfLi64ELi11ELi1EEvPKT_PKfPKiS6_S6_Pfiiiiiiiiiiiiii15HIP_vector_typeIjLj3EES9_,comdat
	.globl	_ZL13mul_mat_f_idsIfLi64ELi11ELi1EEvPKT_PKfPKiS6_S6_Pfiiiiiiiiiiiiii15HIP_vector_typeIjLj3EES9_ ; -- Begin function _ZL13mul_mat_f_idsIfLi64ELi11ELi1EEvPKT_PKfPKiS6_S6_Pfiiiiiiiiiiiiii15HIP_vector_typeIjLj3EES9_
	.p2align	8
	.type	_ZL13mul_mat_f_idsIfLi64ELi11ELi1EEvPKT_PKfPKiS6_S6_Pfiiiiiiiiiiiiii15HIP_vector_typeIjLj3EES9_,@function
_ZL13mul_mat_f_idsIfLi64ELi11ELi1EEvPKT_PKfPKiS6_S6_Pfiiiiiiiiiiiiii15HIP_vector_typeIjLj3EES9_: ; @_ZL13mul_mat_f_idsIfLi64ELi11ELi1EEvPKT_PKfPKiS6_S6_Pfiiiiiiiiiiiiii15HIP_vector_typeIjLj3EES9_
; %bb.0:
	s_add_u32 s8, s0, 0x80
	s_addc_u32 s9, s1, 0
	s_getpc_b64 s[0:1]
	s_add_u32 s0, s0, __FUNCTION__._ZL13mul_mat_f_idsIfLi32ELi11ELi1EEvPKT_PKfPKiS6_S6_Pfiiiiiiiiiiiiii15HIP_vector_typeIjLj3EES9_@rel32@lo+4
	s_addc_u32 s1, s1, __FUNCTION__._ZL13mul_mat_f_idsIfLi32ELi11ELi1EEvPKT_PKfPKiS6_S6_Pfiiiiiiiiiiiiii15HIP_vector_typeIjLj3EES9_@rel32@hi+12
	v_dual_mov_b32 v0, 0x136 :: v_dual_mov_b32 v1, s0
	v_mov_b32_e32 v2, s1
	s_mov_b32 s32, 0
	s_getpc_b64 s[2:3]
	s_add_u32 s2, s2, _ZL14no_device_codePKciS0_iS0_@rel32@lo+4
	s_addc_u32 s3, s3, _ZL14no_device_codePKciS0_iS0_@rel32@hi+12
	s_delay_alu instid0(SALU_CYCLE_1)
	s_swappc_b64 s[30:31], s[2:3]
	.section	.rodata,"a",@progbits
	.p2align	6, 0x0
	.amdhsa_kernel _ZL13mul_mat_f_idsIfLi64ELi11ELi1EEvPKT_PKfPKiS6_S6_Pfiiiiiiiiiiiiii15HIP_vector_typeIjLj3EES9_
		.amdhsa_group_segment_fixed_size 0
		.amdhsa_private_segment_fixed_size 16
		.amdhsa_kernarg_size 384
		.amdhsa_user_sgpr_count 15
		.amdhsa_user_sgpr_dispatch_ptr 0
		.amdhsa_user_sgpr_queue_ptr 0
		.amdhsa_user_sgpr_kernarg_segment_ptr 1
		.amdhsa_user_sgpr_dispatch_id 0
		.amdhsa_user_sgpr_private_segment_size 0
		.amdhsa_wavefront_size32 1
		.amdhsa_uses_dynamic_stack 0
		.amdhsa_enable_private_segment 1
		.amdhsa_system_sgpr_workgroup_id_x 1
		.amdhsa_system_sgpr_workgroup_id_y 0
		.amdhsa_system_sgpr_workgroup_id_z 0
		.amdhsa_system_sgpr_workgroup_info 0
		.amdhsa_system_vgpr_workitem_id 0
		.amdhsa_next_free_vgpr 38
		.amdhsa_next_free_sgpr 34
		.amdhsa_reserve_vcc 1
		.amdhsa_float_round_mode_32 0
		.amdhsa_float_round_mode_16_64 0
		.amdhsa_float_denorm_mode_32 3
		.amdhsa_float_denorm_mode_16_64 3
		.amdhsa_dx10_clamp 1
		.amdhsa_ieee_mode 1
		.amdhsa_fp16_overflow 0
		.amdhsa_workgroup_processor_mode 1
		.amdhsa_memory_ordered 1
		.amdhsa_forward_progress 0
		.amdhsa_shared_vgpr_count 0
		.amdhsa_exception_fp_ieee_invalid_op 0
		.amdhsa_exception_fp_denorm_src 0
		.amdhsa_exception_fp_ieee_div_zero 0
		.amdhsa_exception_fp_ieee_overflow 0
		.amdhsa_exception_fp_ieee_underflow 0
		.amdhsa_exception_fp_ieee_inexact 0
		.amdhsa_exception_int_div_zero 0
	.end_amdhsa_kernel
	.section	.text._ZL13mul_mat_f_idsIfLi64ELi11ELi1EEvPKT_PKfPKiS6_S6_Pfiiiiiiiiiiiiii15HIP_vector_typeIjLj3EES9_,"axG",@progbits,_ZL13mul_mat_f_idsIfLi64ELi11ELi1EEvPKT_PKfPKiS6_S6_Pfiiiiiiiiiiiiii15HIP_vector_typeIjLj3EES9_,comdat
.Lfunc_end75:
	.size	_ZL13mul_mat_f_idsIfLi64ELi11ELi1EEvPKT_PKfPKiS6_S6_Pfiiiiiiiiiiiiii15HIP_vector_typeIjLj3EES9_, .Lfunc_end75-_ZL13mul_mat_f_idsIfLi64ELi11ELi1EEvPKT_PKfPKiS6_S6_Pfiiiiiiiiiiiiii15HIP_vector_typeIjLj3EES9_
                                        ; -- End function
	.section	.AMDGPU.csdata,"",@progbits
; Kernel info:
; codeLenInByte = 80
; NumSgprs: 36
; NumVgprs: 38
; ScratchSize: 16
; MemoryBound: 0
; FloatMode: 240
; IeeeMode: 1
; LDSByteSize: 0 bytes/workgroup (compile time only)
; SGPRBlocks: 4
; VGPRBlocks: 4
; NumSGPRsForWavesPerEU: 36
; NumVGPRsForWavesPerEU: 38
; Occupancy: 16
; WaveLimiterHint : 1
; COMPUTE_PGM_RSRC2:SCRATCH_EN: 1
; COMPUTE_PGM_RSRC2:USER_SGPR: 15
; COMPUTE_PGM_RSRC2:TRAP_HANDLER: 0
; COMPUTE_PGM_RSRC2:TGID_X_EN: 1
; COMPUTE_PGM_RSRC2:TGID_Y_EN: 0
; COMPUTE_PGM_RSRC2:TGID_Z_EN: 0
; COMPUTE_PGM_RSRC2:TIDIG_COMP_CNT: 0
	.section	.text._ZL9mul_mat_fIfLi64ELi11ELi1ELb1EEvPKT_PKfPKiPfiiiiiiiiiiiiiiii,"axG",@progbits,_ZL9mul_mat_fIfLi64ELi11ELi1ELb1EEvPKT_PKfPKiPfiiiiiiiiiiiiiiii,comdat
	.globl	_ZL9mul_mat_fIfLi64ELi11ELi1ELb1EEvPKT_PKfPKiPfiiiiiiiiiiiiiiii ; -- Begin function _ZL9mul_mat_fIfLi64ELi11ELi1ELb1EEvPKT_PKfPKiPfiiiiiiiiiiiiiiii
	.p2align	8
	.type	_ZL9mul_mat_fIfLi64ELi11ELi1ELb1EEvPKT_PKfPKiPfiiiiiiiiiiiiiiii,@function
_ZL9mul_mat_fIfLi64ELi11ELi1ELb1EEvPKT_PKfPKiPfiiiiiiiiiiiiiiii: ; @_ZL9mul_mat_fIfLi64ELi11ELi1ELb1EEvPKT_PKfPKiPfiiiiiiiiiiiiiiii
; %bb.0:
	s_add_u32 s8, s0, 0x60
	s_addc_u32 s9, s1, 0
	s_getpc_b64 s[0:1]
	s_add_u32 s0, s0, __FUNCTION__._ZL9mul_mat_fIfLi32ELi11ELi1ELb1EEvPKT_PKfPKiPfiiiiiiiiiiiiiiii@rel32@lo+4
	s_addc_u32 s1, s1, __FUNCTION__._ZL9mul_mat_fIfLi32ELi11ELi1ELb1EEvPKT_PKfPKiPfiiiiiiiiiiiiiiii@rel32@hi+12
	v_dual_mov_b32 v0, 59 :: v_dual_mov_b32 v1, s0
	v_mov_b32_e32 v2, s1
	s_mov_b32 s32, 0
	s_getpc_b64 s[2:3]
	s_add_u32 s2, s2, _ZL14no_device_codePKciS0_iS0_@rel32@lo+4
	s_addc_u32 s3, s3, _ZL14no_device_codePKciS0_iS0_@rel32@hi+12
	s_delay_alu instid0(SALU_CYCLE_1)
	s_swappc_b64 s[30:31], s[2:3]
	.section	.rodata,"a",@progbits
	.p2align	6, 0x0
	.amdhsa_kernel _ZL9mul_mat_fIfLi64ELi11ELi1ELb1EEvPKT_PKfPKiPfiiiiiiiiiiiiiiii
		.amdhsa_group_segment_fixed_size 0
		.amdhsa_private_segment_fixed_size 16
		.amdhsa_kernarg_size 352
		.amdhsa_user_sgpr_count 15
		.amdhsa_user_sgpr_dispatch_ptr 0
		.amdhsa_user_sgpr_queue_ptr 0
		.amdhsa_user_sgpr_kernarg_segment_ptr 1
		.amdhsa_user_sgpr_dispatch_id 0
		.amdhsa_user_sgpr_private_segment_size 0
		.amdhsa_wavefront_size32 1
		.amdhsa_uses_dynamic_stack 0
		.amdhsa_enable_private_segment 1
		.amdhsa_system_sgpr_workgroup_id_x 1
		.amdhsa_system_sgpr_workgroup_id_y 0
		.amdhsa_system_sgpr_workgroup_id_z 0
		.amdhsa_system_sgpr_workgroup_info 0
		.amdhsa_system_vgpr_workitem_id 0
		.amdhsa_next_free_vgpr 38
		.amdhsa_next_free_sgpr 34
		.amdhsa_reserve_vcc 1
		.amdhsa_float_round_mode_32 0
		.amdhsa_float_round_mode_16_64 0
		.amdhsa_float_denorm_mode_32 3
		.amdhsa_float_denorm_mode_16_64 3
		.amdhsa_dx10_clamp 1
		.amdhsa_ieee_mode 1
		.amdhsa_fp16_overflow 0
		.amdhsa_workgroup_processor_mode 1
		.amdhsa_memory_ordered 1
		.amdhsa_forward_progress 0
		.amdhsa_shared_vgpr_count 0
		.amdhsa_exception_fp_ieee_invalid_op 0
		.amdhsa_exception_fp_denorm_src 0
		.amdhsa_exception_fp_ieee_div_zero 0
		.amdhsa_exception_fp_ieee_overflow 0
		.amdhsa_exception_fp_ieee_underflow 0
		.amdhsa_exception_fp_ieee_inexact 0
		.amdhsa_exception_int_div_zero 0
	.end_amdhsa_kernel
	.section	.text._ZL9mul_mat_fIfLi64ELi11ELi1ELb1EEvPKT_PKfPKiPfiiiiiiiiiiiiiiii,"axG",@progbits,_ZL9mul_mat_fIfLi64ELi11ELi1ELb1EEvPKT_PKfPKiPfiiiiiiiiiiiiiiii,comdat
.Lfunc_end76:
	.size	_ZL9mul_mat_fIfLi64ELi11ELi1ELb1EEvPKT_PKfPKiPfiiiiiiiiiiiiiiii, .Lfunc_end76-_ZL9mul_mat_fIfLi64ELi11ELi1ELb1EEvPKT_PKfPKiPfiiiiiiiiiiiiiiii
                                        ; -- End function
	.section	.AMDGPU.csdata,"",@progbits
; Kernel info:
; codeLenInByte = 76
; NumSgprs: 36
; NumVgprs: 38
; ScratchSize: 16
; MemoryBound: 0
; FloatMode: 240
; IeeeMode: 1
; LDSByteSize: 0 bytes/workgroup (compile time only)
; SGPRBlocks: 4
; VGPRBlocks: 4
; NumSGPRsForWavesPerEU: 36
; NumVGPRsForWavesPerEU: 38
; Occupancy: 16
; WaveLimiterHint : 1
; COMPUTE_PGM_RSRC2:SCRATCH_EN: 1
; COMPUTE_PGM_RSRC2:USER_SGPR: 15
; COMPUTE_PGM_RSRC2:TRAP_HANDLER: 0
; COMPUTE_PGM_RSRC2:TGID_X_EN: 1
; COMPUTE_PGM_RSRC2:TGID_Y_EN: 0
; COMPUTE_PGM_RSRC2:TGID_Z_EN: 0
; COMPUTE_PGM_RSRC2:TIDIG_COMP_CNT: 0
	.section	.text._ZL9mul_mat_fIfLi64ELi11ELi1ELb0EEvPKT_PKfPKiPfiiiiiiiiiiiiiiii,"axG",@progbits,_ZL9mul_mat_fIfLi64ELi11ELi1ELb0EEvPKT_PKfPKiPfiiiiiiiiiiiiiiii,comdat
	.globl	_ZL9mul_mat_fIfLi64ELi11ELi1ELb0EEvPKT_PKfPKiPfiiiiiiiiiiiiiiii ; -- Begin function _ZL9mul_mat_fIfLi64ELi11ELi1ELb0EEvPKT_PKfPKiPfiiiiiiiiiiiiiiii
	.p2align	8
	.type	_ZL9mul_mat_fIfLi64ELi11ELi1ELb0EEvPKT_PKfPKiPfiiiiiiiiiiiiiiii,@function
_ZL9mul_mat_fIfLi64ELi11ELi1ELb0EEvPKT_PKfPKiPfiiiiiiiiiiiiiiii: ; @_ZL9mul_mat_fIfLi64ELi11ELi1ELb0EEvPKT_PKfPKiPfiiiiiiiiiiiiiiii
; %bb.0:
	s_add_u32 s8, s0, 0x60
	s_addc_u32 s9, s1, 0
	s_getpc_b64 s[0:1]
	s_add_u32 s0, s0, __FUNCTION__._ZL9mul_mat_fIfLi32ELi11ELi1ELb1EEvPKT_PKfPKiPfiiiiiiiiiiiiiiii@rel32@lo+4
	s_addc_u32 s1, s1, __FUNCTION__._ZL9mul_mat_fIfLi32ELi11ELi1ELb1EEvPKT_PKfPKiPfiiiiiiiiiiiiiiii@rel32@hi+12
	v_dual_mov_b32 v0, 59 :: v_dual_mov_b32 v1, s0
	v_mov_b32_e32 v2, s1
	s_mov_b32 s32, 0
	s_getpc_b64 s[2:3]
	s_add_u32 s2, s2, _ZL14no_device_codePKciS0_iS0_@rel32@lo+4
	s_addc_u32 s3, s3, _ZL14no_device_codePKciS0_iS0_@rel32@hi+12
	s_delay_alu instid0(SALU_CYCLE_1)
	s_swappc_b64 s[30:31], s[2:3]
	.section	.rodata,"a",@progbits
	.p2align	6, 0x0
	.amdhsa_kernel _ZL9mul_mat_fIfLi64ELi11ELi1ELb0EEvPKT_PKfPKiPfiiiiiiiiiiiiiiii
		.amdhsa_group_segment_fixed_size 0
		.amdhsa_private_segment_fixed_size 16
		.amdhsa_kernarg_size 352
		.amdhsa_user_sgpr_count 15
		.amdhsa_user_sgpr_dispatch_ptr 0
		.amdhsa_user_sgpr_queue_ptr 0
		.amdhsa_user_sgpr_kernarg_segment_ptr 1
		.amdhsa_user_sgpr_dispatch_id 0
		.amdhsa_user_sgpr_private_segment_size 0
		.amdhsa_wavefront_size32 1
		.amdhsa_uses_dynamic_stack 0
		.amdhsa_enable_private_segment 1
		.amdhsa_system_sgpr_workgroup_id_x 1
		.amdhsa_system_sgpr_workgroup_id_y 0
		.amdhsa_system_sgpr_workgroup_id_z 0
		.amdhsa_system_sgpr_workgroup_info 0
		.amdhsa_system_vgpr_workitem_id 0
		.amdhsa_next_free_vgpr 38
		.amdhsa_next_free_sgpr 34
		.amdhsa_reserve_vcc 1
		.amdhsa_float_round_mode_32 0
		.amdhsa_float_round_mode_16_64 0
		.amdhsa_float_denorm_mode_32 3
		.amdhsa_float_denorm_mode_16_64 3
		.amdhsa_dx10_clamp 1
		.amdhsa_ieee_mode 1
		.amdhsa_fp16_overflow 0
		.amdhsa_workgroup_processor_mode 1
		.amdhsa_memory_ordered 1
		.amdhsa_forward_progress 0
		.amdhsa_shared_vgpr_count 0
		.amdhsa_exception_fp_ieee_invalid_op 0
		.amdhsa_exception_fp_denorm_src 0
		.amdhsa_exception_fp_ieee_div_zero 0
		.amdhsa_exception_fp_ieee_overflow 0
		.amdhsa_exception_fp_ieee_underflow 0
		.amdhsa_exception_fp_ieee_inexact 0
		.amdhsa_exception_int_div_zero 0
	.end_amdhsa_kernel
	.section	.text._ZL9mul_mat_fIfLi64ELi11ELi1ELb0EEvPKT_PKfPKiPfiiiiiiiiiiiiiiii,"axG",@progbits,_ZL9mul_mat_fIfLi64ELi11ELi1ELb0EEvPKT_PKfPKiPfiiiiiiiiiiiiiiii,comdat
.Lfunc_end77:
	.size	_ZL9mul_mat_fIfLi64ELi11ELi1ELb0EEvPKT_PKfPKiPfiiiiiiiiiiiiiiii, .Lfunc_end77-_ZL9mul_mat_fIfLi64ELi11ELi1ELb0EEvPKT_PKfPKiPfiiiiiiiiiiiiiiii
                                        ; -- End function
	.section	.AMDGPU.csdata,"",@progbits
; Kernel info:
; codeLenInByte = 76
; NumSgprs: 36
; NumVgprs: 38
; ScratchSize: 16
; MemoryBound: 0
; FloatMode: 240
; IeeeMode: 1
; LDSByteSize: 0 bytes/workgroup (compile time only)
; SGPRBlocks: 4
; VGPRBlocks: 4
; NumSGPRsForWavesPerEU: 36
; NumVGPRsForWavesPerEU: 38
; Occupancy: 16
; WaveLimiterHint : 1
; COMPUTE_PGM_RSRC2:SCRATCH_EN: 1
; COMPUTE_PGM_RSRC2:USER_SGPR: 15
; COMPUTE_PGM_RSRC2:TRAP_HANDLER: 0
; COMPUTE_PGM_RSRC2:TGID_X_EN: 1
; COMPUTE_PGM_RSRC2:TGID_Y_EN: 0
; COMPUTE_PGM_RSRC2:TGID_Z_EN: 0
; COMPUTE_PGM_RSRC2:TIDIG_COMP_CNT: 0
	.section	.text._ZL13mul_mat_f_idsIfLi64ELi11ELi2EEvPKT_PKfPKiS6_S6_Pfiiiiiiiiiiiiii15HIP_vector_typeIjLj3EES9_,"axG",@progbits,_ZL13mul_mat_f_idsIfLi64ELi11ELi2EEvPKT_PKfPKiS6_S6_Pfiiiiiiiiiiiiii15HIP_vector_typeIjLj3EES9_,comdat
	.globl	_ZL13mul_mat_f_idsIfLi64ELi11ELi2EEvPKT_PKfPKiS6_S6_Pfiiiiiiiiiiiiii15HIP_vector_typeIjLj3EES9_ ; -- Begin function _ZL13mul_mat_f_idsIfLi64ELi11ELi2EEvPKT_PKfPKiS6_S6_Pfiiiiiiiiiiiiii15HIP_vector_typeIjLj3EES9_
	.p2align	8
	.type	_ZL13mul_mat_f_idsIfLi64ELi11ELi2EEvPKT_PKfPKiS6_S6_Pfiiiiiiiiiiiiii15HIP_vector_typeIjLj3EES9_,@function
_ZL13mul_mat_f_idsIfLi64ELi11ELi2EEvPKT_PKfPKiS6_S6_Pfiiiiiiiiiiiiii15HIP_vector_typeIjLj3EES9_: ; @_ZL13mul_mat_f_idsIfLi64ELi11ELi2EEvPKT_PKfPKiS6_S6_Pfiiiiiiiiiiiiii15HIP_vector_typeIjLj3EES9_
; %bb.0:
	s_add_u32 s8, s0, 0x80
	s_addc_u32 s9, s1, 0
	s_getpc_b64 s[0:1]
	s_add_u32 s0, s0, __FUNCTION__._ZL13mul_mat_f_idsIfLi32ELi11ELi1EEvPKT_PKfPKiS6_S6_Pfiiiiiiiiiiiiii15HIP_vector_typeIjLj3EES9_@rel32@lo+4
	s_addc_u32 s1, s1, __FUNCTION__._ZL13mul_mat_f_idsIfLi32ELi11ELi1EEvPKT_PKfPKiS6_S6_Pfiiiiiiiiiiiiii15HIP_vector_typeIjLj3EES9_@rel32@hi+12
	v_dual_mov_b32 v0, 0x136 :: v_dual_mov_b32 v1, s0
	v_mov_b32_e32 v2, s1
	s_mov_b32 s32, 0
	s_getpc_b64 s[2:3]
	s_add_u32 s2, s2, _ZL14no_device_codePKciS0_iS0_@rel32@lo+4
	s_addc_u32 s3, s3, _ZL14no_device_codePKciS0_iS0_@rel32@hi+12
	s_delay_alu instid0(SALU_CYCLE_1)
	s_swappc_b64 s[30:31], s[2:3]
	.section	.rodata,"a",@progbits
	.p2align	6, 0x0
	.amdhsa_kernel _ZL13mul_mat_f_idsIfLi64ELi11ELi2EEvPKT_PKfPKiS6_S6_Pfiiiiiiiiiiiiii15HIP_vector_typeIjLj3EES9_
		.amdhsa_group_segment_fixed_size 0
		.amdhsa_private_segment_fixed_size 16
		.amdhsa_kernarg_size 384
		.amdhsa_user_sgpr_count 15
		.amdhsa_user_sgpr_dispatch_ptr 0
		.amdhsa_user_sgpr_queue_ptr 0
		.amdhsa_user_sgpr_kernarg_segment_ptr 1
		.amdhsa_user_sgpr_dispatch_id 0
		.amdhsa_user_sgpr_private_segment_size 0
		.amdhsa_wavefront_size32 1
		.amdhsa_uses_dynamic_stack 0
		.amdhsa_enable_private_segment 1
		.amdhsa_system_sgpr_workgroup_id_x 1
		.amdhsa_system_sgpr_workgroup_id_y 0
		.amdhsa_system_sgpr_workgroup_id_z 0
		.amdhsa_system_sgpr_workgroup_info 0
		.amdhsa_system_vgpr_workitem_id 0
		.amdhsa_next_free_vgpr 38
		.amdhsa_next_free_sgpr 34
		.amdhsa_reserve_vcc 1
		.amdhsa_float_round_mode_32 0
		.amdhsa_float_round_mode_16_64 0
		.amdhsa_float_denorm_mode_32 3
		.amdhsa_float_denorm_mode_16_64 3
		.amdhsa_dx10_clamp 1
		.amdhsa_ieee_mode 1
		.amdhsa_fp16_overflow 0
		.amdhsa_workgroup_processor_mode 1
		.amdhsa_memory_ordered 1
		.amdhsa_forward_progress 0
		.amdhsa_shared_vgpr_count 0
		.amdhsa_exception_fp_ieee_invalid_op 0
		.amdhsa_exception_fp_denorm_src 0
		.amdhsa_exception_fp_ieee_div_zero 0
		.amdhsa_exception_fp_ieee_overflow 0
		.amdhsa_exception_fp_ieee_underflow 0
		.amdhsa_exception_fp_ieee_inexact 0
		.amdhsa_exception_int_div_zero 0
	.end_amdhsa_kernel
	.section	.text._ZL13mul_mat_f_idsIfLi64ELi11ELi2EEvPKT_PKfPKiS6_S6_Pfiiiiiiiiiiiiii15HIP_vector_typeIjLj3EES9_,"axG",@progbits,_ZL13mul_mat_f_idsIfLi64ELi11ELi2EEvPKT_PKfPKiS6_S6_Pfiiiiiiiiiiiiii15HIP_vector_typeIjLj3EES9_,comdat
.Lfunc_end78:
	.size	_ZL13mul_mat_f_idsIfLi64ELi11ELi2EEvPKT_PKfPKiS6_S6_Pfiiiiiiiiiiiiii15HIP_vector_typeIjLj3EES9_, .Lfunc_end78-_ZL13mul_mat_f_idsIfLi64ELi11ELi2EEvPKT_PKfPKiS6_S6_Pfiiiiiiiiiiiiii15HIP_vector_typeIjLj3EES9_
                                        ; -- End function
	.section	.AMDGPU.csdata,"",@progbits
; Kernel info:
; codeLenInByte = 80
; NumSgprs: 36
; NumVgprs: 38
; ScratchSize: 16
; MemoryBound: 0
; FloatMode: 240
; IeeeMode: 1
; LDSByteSize: 0 bytes/workgroup (compile time only)
; SGPRBlocks: 4
; VGPRBlocks: 4
; NumSGPRsForWavesPerEU: 36
; NumVGPRsForWavesPerEU: 38
; Occupancy: 16
; WaveLimiterHint : 1
; COMPUTE_PGM_RSRC2:SCRATCH_EN: 1
; COMPUTE_PGM_RSRC2:USER_SGPR: 15
; COMPUTE_PGM_RSRC2:TRAP_HANDLER: 0
; COMPUTE_PGM_RSRC2:TGID_X_EN: 1
; COMPUTE_PGM_RSRC2:TGID_Y_EN: 0
; COMPUTE_PGM_RSRC2:TGID_Z_EN: 0
; COMPUTE_PGM_RSRC2:TIDIG_COMP_CNT: 0
	.section	.text._ZL9mul_mat_fIfLi64ELi11ELi2ELb1EEvPKT_PKfPKiPfiiiiiiiiiiiiiiii,"axG",@progbits,_ZL9mul_mat_fIfLi64ELi11ELi2ELb1EEvPKT_PKfPKiPfiiiiiiiiiiiiiiii,comdat
	.globl	_ZL9mul_mat_fIfLi64ELi11ELi2ELb1EEvPKT_PKfPKiPfiiiiiiiiiiiiiiii ; -- Begin function _ZL9mul_mat_fIfLi64ELi11ELi2ELb1EEvPKT_PKfPKiPfiiiiiiiiiiiiiiii
	.p2align	8
	.type	_ZL9mul_mat_fIfLi64ELi11ELi2ELb1EEvPKT_PKfPKiPfiiiiiiiiiiiiiiii,@function
_ZL9mul_mat_fIfLi64ELi11ELi2ELb1EEvPKT_PKfPKiPfiiiiiiiiiiiiiiii: ; @_ZL9mul_mat_fIfLi64ELi11ELi2ELb1EEvPKT_PKfPKiPfiiiiiiiiiiiiiiii
; %bb.0:
	s_add_u32 s8, s0, 0x60
	s_addc_u32 s9, s1, 0
	s_getpc_b64 s[0:1]
	s_add_u32 s0, s0, __FUNCTION__._ZL9mul_mat_fIfLi32ELi11ELi1ELb1EEvPKT_PKfPKiPfiiiiiiiiiiiiiiii@rel32@lo+4
	s_addc_u32 s1, s1, __FUNCTION__._ZL9mul_mat_fIfLi32ELi11ELi1ELb1EEvPKT_PKfPKiPfiiiiiiiiiiiiiiii@rel32@hi+12
	v_dual_mov_b32 v0, 59 :: v_dual_mov_b32 v1, s0
	v_mov_b32_e32 v2, s1
	s_mov_b32 s32, 0
	s_getpc_b64 s[2:3]
	s_add_u32 s2, s2, _ZL14no_device_codePKciS0_iS0_@rel32@lo+4
	s_addc_u32 s3, s3, _ZL14no_device_codePKciS0_iS0_@rel32@hi+12
	s_delay_alu instid0(SALU_CYCLE_1)
	s_swappc_b64 s[30:31], s[2:3]
	.section	.rodata,"a",@progbits
	.p2align	6, 0x0
	.amdhsa_kernel _ZL9mul_mat_fIfLi64ELi11ELi2ELb1EEvPKT_PKfPKiPfiiiiiiiiiiiiiiii
		.amdhsa_group_segment_fixed_size 0
		.amdhsa_private_segment_fixed_size 16
		.amdhsa_kernarg_size 352
		.amdhsa_user_sgpr_count 15
		.amdhsa_user_sgpr_dispatch_ptr 0
		.amdhsa_user_sgpr_queue_ptr 0
		.amdhsa_user_sgpr_kernarg_segment_ptr 1
		.amdhsa_user_sgpr_dispatch_id 0
		.amdhsa_user_sgpr_private_segment_size 0
		.amdhsa_wavefront_size32 1
		.amdhsa_uses_dynamic_stack 0
		.amdhsa_enable_private_segment 1
		.amdhsa_system_sgpr_workgroup_id_x 1
		.amdhsa_system_sgpr_workgroup_id_y 0
		.amdhsa_system_sgpr_workgroup_id_z 0
		.amdhsa_system_sgpr_workgroup_info 0
		.amdhsa_system_vgpr_workitem_id 0
		.amdhsa_next_free_vgpr 38
		.amdhsa_next_free_sgpr 34
		.amdhsa_reserve_vcc 1
		.amdhsa_float_round_mode_32 0
		.amdhsa_float_round_mode_16_64 0
		.amdhsa_float_denorm_mode_32 3
		.amdhsa_float_denorm_mode_16_64 3
		.amdhsa_dx10_clamp 1
		.amdhsa_ieee_mode 1
		.amdhsa_fp16_overflow 0
		.amdhsa_workgroup_processor_mode 1
		.amdhsa_memory_ordered 1
		.amdhsa_forward_progress 0
		.amdhsa_shared_vgpr_count 0
		.amdhsa_exception_fp_ieee_invalid_op 0
		.amdhsa_exception_fp_denorm_src 0
		.amdhsa_exception_fp_ieee_div_zero 0
		.amdhsa_exception_fp_ieee_overflow 0
		.amdhsa_exception_fp_ieee_underflow 0
		.amdhsa_exception_fp_ieee_inexact 0
		.amdhsa_exception_int_div_zero 0
	.end_amdhsa_kernel
	.section	.text._ZL9mul_mat_fIfLi64ELi11ELi2ELb1EEvPKT_PKfPKiPfiiiiiiiiiiiiiiii,"axG",@progbits,_ZL9mul_mat_fIfLi64ELi11ELi2ELb1EEvPKT_PKfPKiPfiiiiiiiiiiiiiiii,comdat
.Lfunc_end79:
	.size	_ZL9mul_mat_fIfLi64ELi11ELi2ELb1EEvPKT_PKfPKiPfiiiiiiiiiiiiiiii, .Lfunc_end79-_ZL9mul_mat_fIfLi64ELi11ELi2ELb1EEvPKT_PKfPKiPfiiiiiiiiiiiiiiii
                                        ; -- End function
	.section	.AMDGPU.csdata,"",@progbits
; Kernel info:
; codeLenInByte = 76
; NumSgprs: 36
; NumVgprs: 38
; ScratchSize: 16
; MemoryBound: 0
; FloatMode: 240
; IeeeMode: 1
; LDSByteSize: 0 bytes/workgroup (compile time only)
; SGPRBlocks: 4
; VGPRBlocks: 4
; NumSGPRsForWavesPerEU: 36
; NumVGPRsForWavesPerEU: 38
; Occupancy: 16
; WaveLimiterHint : 1
; COMPUTE_PGM_RSRC2:SCRATCH_EN: 1
; COMPUTE_PGM_RSRC2:USER_SGPR: 15
; COMPUTE_PGM_RSRC2:TRAP_HANDLER: 0
; COMPUTE_PGM_RSRC2:TGID_X_EN: 1
; COMPUTE_PGM_RSRC2:TGID_Y_EN: 0
; COMPUTE_PGM_RSRC2:TGID_Z_EN: 0
; COMPUTE_PGM_RSRC2:TIDIG_COMP_CNT: 0
	.section	.text._ZL9mul_mat_fIfLi64ELi11ELi2ELb0EEvPKT_PKfPKiPfiiiiiiiiiiiiiiii,"axG",@progbits,_ZL9mul_mat_fIfLi64ELi11ELi2ELb0EEvPKT_PKfPKiPfiiiiiiiiiiiiiiii,comdat
	.globl	_ZL9mul_mat_fIfLi64ELi11ELi2ELb0EEvPKT_PKfPKiPfiiiiiiiiiiiiiiii ; -- Begin function _ZL9mul_mat_fIfLi64ELi11ELi2ELb0EEvPKT_PKfPKiPfiiiiiiiiiiiiiiii
	.p2align	8
	.type	_ZL9mul_mat_fIfLi64ELi11ELi2ELb0EEvPKT_PKfPKiPfiiiiiiiiiiiiiiii,@function
_ZL9mul_mat_fIfLi64ELi11ELi2ELb0EEvPKT_PKfPKiPfiiiiiiiiiiiiiiii: ; @_ZL9mul_mat_fIfLi64ELi11ELi2ELb0EEvPKT_PKfPKiPfiiiiiiiiiiiiiiii
; %bb.0:
	s_add_u32 s8, s0, 0x60
	s_addc_u32 s9, s1, 0
	s_getpc_b64 s[0:1]
	s_add_u32 s0, s0, __FUNCTION__._ZL9mul_mat_fIfLi32ELi11ELi1ELb1EEvPKT_PKfPKiPfiiiiiiiiiiiiiiii@rel32@lo+4
	s_addc_u32 s1, s1, __FUNCTION__._ZL9mul_mat_fIfLi32ELi11ELi1ELb1EEvPKT_PKfPKiPfiiiiiiiiiiiiiiii@rel32@hi+12
	v_dual_mov_b32 v0, 59 :: v_dual_mov_b32 v1, s0
	v_mov_b32_e32 v2, s1
	s_mov_b32 s32, 0
	s_getpc_b64 s[2:3]
	s_add_u32 s2, s2, _ZL14no_device_codePKciS0_iS0_@rel32@lo+4
	s_addc_u32 s3, s3, _ZL14no_device_codePKciS0_iS0_@rel32@hi+12
	s_delay_alu instid0(SALU_CYCLE_1)
	s_swappc_b64 s[30:31], s[2:3]
	.section	.rodata,"a",@progbits
	.p2align	6, 0x0
	.amdhsa_kernel _ZL9mul_mat_fIfLi64ELi11ELi2ELb0EEvPKT_PKfPKiPfiiiiiiiiiiiiiiii
		.amdhsa_group_segment_fixed_size 0
		.amdhsa_private_segment_fixed_size 16
		.amdhsa_kernarg_size 352
		.amdhsa_user_sgpr_count 15
		.amdhsa_user_sgpr_dispatch_ptr 0
		.amdhsa_user_sgpr_queue_ptr 0
		.amdhsa_user_sgpr_kernarg_segment_ptr 1
		.amdhsa_user_sgpr_dispatch_id 0
		.amdhsa_user_sgpr_private_segment_size 0
		.amdhsa_wavefront_size32 1
		.amdhsa_uses_dynamic_stack 0
		.amdhsa_enable_private_segment 1
		.amdhsa_system_sgpr_workgroup_id_x 1
		.amdhsa_system_sgpr_workgroup_id_y 0
		.amdhsa_system_sgpr_workgroup_id_z 0
		.amdhsa_system_sgpr_workgroup_info 0
		.amdhsa_system_vgpr_workitem_id 0
		.amdhsa_next_free_vgpr 38
		.amdhsa_next_free_sgpr 34
		.amdhsa_reserve_vcc 1
		.amdhsa_float_round_mode_32 0
		.amdhsa_float_round_mode_16_64 0
		.amdhsa_float_denorm_mode_32 3
		.amdhsa_float_denorm_mode_16_64 3
		.amdhsa_dx10_clamp 1
		.amdhsa_ieee_mode 1
		.amdhsa_fp16_overflow 0
		.amdhsa_workgroup_processor_mode 1
		.amdhsa_memory_ordered 1
		.amdhsa_forward_progress 0
		.amdhsa_shared_vgpr_count 0
		.amdhsa_exception_fp_ieee_invalid_op 0
		.amdhsa_exception_fp_denorm_src 0
		.amdhsa_exception_fp_ieee_div_zero 0
		.amdhsa_exception_fp_ieee_overflow 0
		.amdhsa_exception_fp_ieee_underflow 0
		.amdhsa_exception_fp_ieee_inexact 0
		.amdhsa_exception_int_div_zero 0
	.end_amdhsa_kernel
	.section	.text._ZL9mul_mat_fIfLi64ELi11ELi2ELb0EEvPKT_PKfPKiPfiiiiiiiiiiiiiiii,"axG",@progbits,_ZL9mul_mat_fIfLi64ELi11ELi2ELb0EEvPKT_PKfPKiPfiiiiiiiiiiiiiiii,comdat
.Lfunc_end80:
	.size	_ZL9mul_mat_fIfLi64ELi11ELi2ELb0EEvPKT_PKfPKiPfiiiiiiiiiiiiiiii, .Lfunc_end80-_ZL9mul_mat_fIfLi64ELi11ELi2ELb0EEvPKT_PKfPKiPfiiiiiiiiiiiiiiii
                                        ; -- End function
	.section	.AMDGPU.csdata,"",@progbits
; Kernel info:
; codeLenInByte = 76
; NumSgprs: 36
; NumVgprs: 38
; ScratchSize: 16
; MemoryBound: 0
; FloatMode: 240
; IeeeMode: 1
; LDSByteSize: 0 bytes/workgroup (compile time only)
; SGPRBlocks: 4
; VGPRBlocks: 4
; NumSGPRsForWavesPerEU: 36
; NumVGPRsForWavesPerEU: 38
; Occupancy: 16
; WaveLimiterHint : 1
; COMPUTE_PGM_RSRC2:SCRATCH_EN: 1
; COMPUTE_PGM_RSRC2:USER_SGPR: 15
; COMPUTE_PGM_RSRC2:TRAP_HANDLER: 0
; COMPUTE_PGM_RSRC2:TGID_X_EN: 1
; COMPUTE_PGM_RSRC2:TGID_Y_EN: 0
; COMPUTE_PGM_RSRC2:TGID_Z_EN: 0
; COMPUTE_PGM_RSRC2:TIDIG_COMP_CNT: 0
	.section	.text._ZL13mul_mat_f_idsIfLi64ELi11ELi3EEvPKT_PKfPKiS6_S6_Pfiiiiiiiiiiiiii15HIP_vector_typeIjLj3EES9_,"axG",@progbits,_ZL13mul_mat_f_idsIfLi64ELi11ELi3EEvPKT_PKfPKiS6_S6_Pfiiiiiiiiiiiiii15HIP_vector_typeIjLj3EES9_,comdat
	.globl	_ZL13mul_mat_f_idsIfLi64ELi11ELi3EEvPKT_PKfPKiS6_S6_Pfiiiiiiiiiiiiii15HIP_vector_typeIjLj3EES9_ ; -- Begin function _ZL13mul_mat_f_idsIfLi64ELi11ELi3EEvPKT_PKfPKiS6_S6_Pfiiiiiiiiiiiiii15HIP_vector_typeIjLj3EES9_
	.p2align	8
	.type	_ZL13mul_mat_f_idsIfLi64ELi11ELi3EEvPKT_PKfPKiS6_S6_Pfiiiiiiiiiiiiii15HIP_vector_typeIjLj3EES9_,@function
_ZL13mul_mat_f_idsIfLi64ELi11ELi3EEvPKT_PKfPKiS6_S6_Pfiiiiiiiiiiiiii15HIP_vector_typeIjLj3EES9_: ; @_ZL13mul_mat_f_idsIfLi64ELi11ELi3EEvPKT_PKfPKiS6_S6_Pfiiiiiiiiiiiiii15HIP_vector_typeIjLj3EES9_
; %bb.0:
	s_add_u32 s8, s0, 0x80
	s_addc_u32 s9, s1, 0
	s_getpc_b64 s[0:1]
	s_add_u32 s0, s0, __FUNCTION__._ZL13mul_mat_f_idsIfLi32ELi11ELi1EEvPKT_PKfPKiS6_S6_Pfiiiiiiiiiiiiii15HIP_vector_typeIjLj3EES9_@rel32@lo+4
	s_addc_u32 s1, s1, __FUNCTION__._ZL13mul_mat_f_idsIfLi32ELi11ELi1EEvPKT_PKfPKiS6_S6_Pfiiiiiiiiiiiiii15HIP_vector_typeIjLj3EES9_@rel32@hi+12
	v_dual_mov_b32 v0, 0x136 :: v_dual_mov_b32 v1, s0
	v_mov_b32_e32 v2, s1
	s_mov_b32 s32, 0
	s_getpc_b64 s[2:3]
	s_add_u32 s2, s2, _ZL14no_device_codePKciS0_iS0_@rel32@lo+4
	s_addc_u32 s3, s3, _ZL14no_device_codePKciS0_iS0_@rel32@hi+12
	s_delay_alu instid0(SALU_CYCLE_1)
	s_swappc_b64 s[30:31], s[2:3]
	.section	.rodata,"a",@progbits
	.p2align	6, 0x0
	.amdhsa_kernel _ZL13mul_mat_f_idsIfLi64ELi11ELi3EEvPKT_PKfPKiS6_S6_Pfiiiiiiiiiiiiii15HIP_vector_typeIjLj3EES9_
		.amdhsa_group_segment_fixed_size 0
		.amdhsa_private_segment_fixed_size 16
		.amdhsa_kernarg_size 384
		.amdhsa_user_sgpr_count 15
		.amdhsa_user_sgpr_dispatch_ptr 0
		.amdhsa_user_sgpr_queue_ptr 0
		.amdhsa_user_sgpr_kernarg_segment_ptr 1
		.amdhsa_user_sgpr_dispatch_id 0
		.amdhsa_user_sgpr_private_segment_size 0
		.amdhsa_wavefront_size32 1
		.amdhsa_uses_dynamic_stack 0
		.amdhsa_enable_private_segment 1
		.amdhsa_system_sgpr_workgroup_id_x 1
		.amdhsa_system_sgpr_workgroup_id_y 0
		.amdhsa_system_sgpr_workgroup_id_z 0
		.amdhsa_system_sgpr_workgroup_info 0
		.amdhsa_system_vgpr_workitem_id 0
		.amdhsa_next_free_vgpr 38
		.amdhsa_next_free_sgpr 34
		.amdhsa_reserve_vcc 1
		.amdhsa_float_round_mode_32 0
		.amdhsa_float_round_mode_16_64 0
		.amdhsa_float_denorm_mode_32 3
		.amdhsa_float_denorm_mode_16_64 3
		.amdhsa_dx10_clamp 1
		.amdhsa_ieee_mode 1
		.amdhsa_fp16_overflow 0
		.amdhsa_workgroup_processor_mode 1
		.amdhsa_memory_ordered 1
		.amdhsa_forward_progress 0
		.amdhsa_shared_vgpr_count 0
		.amdhsa_exception_fp_ieee_invalid_op 0
		.amdhsa_exception_fp_denorm_src 0
		.amdhsa_exception_fp_ieee_div_zero 0
		.amdhsa_exception_fp_ieee_overflow 0
		.amdhsa_exception_fp_ieee_underflow 0
		.amdhsa_exception_fp_ieee_inexact 0
		.amdhsa_exception_int_div_zero 0
	.end_amdhsa_kernel
	.section	.text._ZL13mul_mat_f_idsIfLi64ELi11ELi3EEvPKT_PKfPKiS6_S6_Pfiiiiiiiiiiiiii15HIP_vector_typeIjLj3EES9_,"axG",@progbits,_ZL13mul_mat_f_idsIfLi64ELi11ELi3EEvPKT_PKfPKiS6_S6_Pfiiiiiiiiiiiiii15HIP_vector_typeIjLj3EES9_,comdat
.Lfunc_end81:
	.size	_ZL13mul_mat_f_idsIfLi64ELi11ELi3EEvPKT_PKfPKiS6_S6_Pfiiiiiiiiiiiiii15HIP_vector_typeIjLj3EES9_, .Lfunc_end81-_ZL13mul_mat_f_idsIfLi64ELi11ELi3EEvPKT_PKfPKiS6_S6_Pfiiiiiiiiiiiiii15HIP_vector_typeIjLj3EES9_
                                        ; -- End function
	.section	.AMDGPU.csdata,"",@progbits
; Kernel info:
; codeLenInByte = 80
; NumSgprs: 36
; NumVgprs: 38
; ScratchSize: 16
; MemoryBound: 0
; FloatMode: 240
; IeeeMode: 1
; LDSByteSize: 0 bytes/workgroup (compile time only)
; SGPRBlocks: 4
; VGPRBlocks: 4
; NumSGPRsForWavesPerEU: 36
; NumVGPRsForWavesPerEU: 38
; Occupancy: 16
; WaveLimiterHint : 1
; COMPUTE_PGM_RSRC2:SCRATCH_EN: 1
; COMPUTE_PGM_RSRC2:USER_SGPR: 15
; COMPUTE_PGM_RSRC2:TRAP_HANDLER: 0
; COMPUTE_PGM_RSRC2:TGID_X_EN: 1
; COMPUTE_PGM_RSRC2:TGID_Y_EN: 0
; COMPUTE_PGM_RSRC2:TGID_Z_EN: 0
; COMPUTE_PGM_RSRC2:TIDIG_COMP_CNT: 0
	.section	.text._ZL9mul_mat_fIfLi64ELi11ELi3ELb1EEvPKT_PKfPKiPfiiiiiiiiiiiiiiii,"axG",@progbits,_ZL9mul_mat_fIfLi64ELi11ELi3ELb1EEvPKT_PKfPKiPfiiiiiiiiiiiiiiii,comdat
	.globl	_ZL9mul_mat_fIfLi64ELi11ELi3ELb1EEvPKT_PKfPKiPfiiiiiiiiiiiiiiii ; -- Begin function _ZL9mul_mat_fIfLi64ELi11ELi3ELb1EEvPKT_PKfPKiPfiiiiiiiiiiiiiiii
	.p2align	8
	.type	_ZL9mul_mat_fIfLi64ELi11ELi3ELb1EEvPKT_PKfPKiPfiiiiiiiiiiiiiiii,@function
_ZL9mul_mat_fIfLi64ELi11ELi3ELb1EEvPKT_PKfPKiPfiiiiiiiiiiiiiiii: ; @_ZL9mul_mat_fIfLi64ELi11ELi3ELb1EEvPKT_PKfPKiPfiiiiiiiiiiiiiiii
; %bb.0:
	s_add_u32 s8, s0, 0x60
	s_addc_u32 s9, s1, 0
	s_getpc_b64 s[0:1]
	s_add_u32 s0, s0, __FUNCTION__._ZL9mul_mat_fIfLi32ELi11ELi1ELb1EEvPKT_PKfPKiPfiiiiiiiiiiiiiiii@rel32@lo+4
	s_addc_u32 s1, s1, __FUNCTION__._ZL9mul_mat_fIfLi32ELi11ELi1ELb1EEvPKT_PKfPKiPfiiiiiiiiiiiiiiii@rel32@hi+12
	v_dual_mov_b32 v0, 59 :: v_dual_mov_b32 v1, s0
	v_mov_b32_e32 v2, s1
	s_mov_b32 s32, 0
	s_getpc_b64 s[2:3]
	s_add_u32 s2, s2, _ZL14no_device_codePKciS0_iS0_@rel32@lo+4
	s_addc_u32 s3, s3, _ZL14no_device_codePKciS0_iS0_@rel32@hi+12
	s_delay_alu instid0(SALU_CYCLE_1)
	s_swappc_b64 s[30:31], s[2:3]
	.section	.rodata,"a",@progbits
	.p2align	6, 0x0
	.amdhsa_kernel _ZL9mul_mat_fIfLi64ELi11ELi3ELb1EEvPKT_PKfPKiPfiiiiiiiiiiiiiiii
		.amdhsa_group_segment_fixed_size 0
		.amdhsa_private_segment_fixed_size 16
		.amdhsa_kernarg_size 352
		.amdhsa_user_sgpr_count 15
		.amdhsa_user_sgpr_dispatch_ptr 0
		.amdhsa_user_sgpr_queue_ptr 0
		.amdhsa_user_sgpr_kernarg_segment_ptr 1
		.amdhsa_user_sgpr_dispatch_id 0
		.amdhsa_user_sgpr_private_segment_size 0
		.amdhsa_wavefront_size32 1
		.amdhsa_uses_dynamic_stack 0
		.amdhsa_enable_private_segment 1
		.amdhsa_system_sgpr_workgroup_id_x 1
		.amdhsa_system_sgpr_workgroup_id_y 0
		.amdhsa_system_sgpr_workgroup_id_z 0
		.amdhsa_system_sgpr_workgroup_info 0
		.amdhsa_system_vgpr_workitem_id 0
		.amdhsa_next_free_vgpr 38
		.amdhsa_next_free_sgpr 34
		.amdhsa_reserve_vcc 1
		.amdhsa_float_round_mode_32 0
		.amdhsa_float_round_mode_16_64 0
		.amdhsa_float_denorm_mode_32 3
		.amdhsa_float_denorm_mode_16_64 3
		.amdhsa_dx10_clamp 1
		.amdhsa_ieee_mode 1
		.amdhsa_fp16_overflow 0
		.amdhsa_workgroup_processor_mode 1
		.amdhsa_memory_ordered 1
		.amdhsa_forward_progress 0
		.amdhsa_shared_vgpr_count 0
		.amdhsa_exception_fp_ieee_invalid_op 0
		.amdhsa_exception_fp_denorm_src 0
		.amdhsa_exception_fp_ieee_div_zero 0
		.amdhsa_exception_fp_ieee_overflow 0
		.amdhsa_exception_fp_ieee_underflow 0
		.amdhsa_exception_fp_ieee_inexact 0
		.amdhsa_exception_int_div_zero 0
	.end_amdhsa_kernel
	.section	.text._ZL9mul_mat_fIfLi64ELi11ELi3ELb1EEvPKT_PKfPKiPfiiiiiiiiiiiiiiii,"axG",@progbits,_ZL9mul_mat_fIfLi64ELi11ELi3ELb1EEvPKT_PKfPKiPfiiiiiiiiiiiiiiii,comdat
.Lfunc_end82:
	.size	_ZL9mul_mat_fIfLi64ELi11ELi3ELb1EEvPKT_PKfPKiPfiiiiiiiiiiiiiiii, .Lfunc_end82-_ZL9mul_mat_fIfLi64ELi11ELi3ELb1EEvPKT_PKfPKiPfiiiiiiiiiiiiiiii
                                        ; -- End function
	.section	.AMDGPU.csdata,"",@progbits
; Kernel info:
; codeLenInByte = 76
; NumSgprs: 36
; NumVgprs: 38
; ScratchSize: 16
; MemoryBound: 0
; FloatMode: 240
; IeeeMode: 1
; LDSByteSize: 0 bytes/workgroup (compile time only)
; SGPRBlocks: 4
; VGPRBlocks: 4
; NumSGPRsForWavesPerEU: 36
; NumVGPRsForWavesPerEU: 38
; Occupancy: 16
; WaveLimiterHint : 1
; COMPUTE_PGM_RSRC2:SCRATCH_EN: 1
; COMPUTE_PGM_RSRC2:USER_SGPR: 15
; COMPUTE_PGM_RSRC2:TRAP_HANDLER: 0
; COMPUTE_PGM_RSRC2:TGID_X_EN: 1
; COMPUTE_PGM_RSRC2:TGID_Y_EN: 0
; COMPUTE_PGM_RSRC2:TGID_Z_EN: 0
; COMPUTE_PGM_RSRC2:TIDIG_COMP_CNT: 0
	.section	.text._ZL9mul_mat_fIfLi64ELi11ELi3ELb0EEvPKT_PKfPKiPfiiiiiiiiiiiiiiii,"axG",@progbits,_ZL9mul_mat_fIfLi64ELi11ELi3ELb0EEvPKT_PKfPKiPfiiiiiiiiiiiiiiii,comdat
	.globl	_ZL9mul_mat_fIfLi64ELi11ELi3ELb0EEvPKT_PKfPKiPfiiiiiiiiiiiiiiii ; -- Begin function _ZL9mul_mat_fIfLi64ELi11ELi3ELb0EEvPKT_PKfPKiPfiiiiiiiiiiiiiiii
	.p2align	8
	.type	_ZL9mul_mat_fIfLi64ELi11ELi3ELb0EEvPKT_PKfPKiPfiiiiiiiiiiiiiiii,@function
_ZL9mul_mat_fIfLi64ELi11ELi3ELb0EEvPKT_PKfPKiPfiiiiiiiiiiiiiiii: ; @_ZL9mul_mat_fIfLi64ELi11ELi3ELb0EEvPKT_PKfPKiPfiiiiiiiiiiiiiiii
; %bb.0:
	s_add_u32 s8, s0, 0x60
	s_addc_u32 s9, s1, 0
	s_getpc_b64 s[0:1]
	s_add_u32 s0, s0, __FUNCTION__._ZL9mul_mat_fIfLi32ELi11ELi1ELb1EEvPKT_PKfPKiPfiiiiiiiiiiiiiiii@rel32@lo+4
	s_addc_u32 s1, s1, __FUNCTION__._ZL9mul_mat_fIfLi32ELi11ELi1ELb1EEvPKT_PKfPKiPfiiiiiiiiiiiiiiii@rel32@hi+12
	v_dual_mov_b32 v0, 59 :: v_dual_mov_b32 v1, s0
	v_mov_b32_e32 v2, s1
	s_mov_b32 s32, 0
	s_getpc_b64 s[2:3]
	s_add_u32 s2, s2, _ZL14no_device_codePKciS0_iS0_@rel32@lo+4
	s_addc_u32 s3, s3, _ZL14no_device_codePKciS0_iS0_@rel32@hi+12
	s_delay_alu instid0(SALU_CYCLE_1)
	s_swappc_b64 s[30:31], s[2:3]
	.section	.rodata,"a",@progbits
	.p2align	6, 0x0
	.amdhsa_kernel _ZL9mul_mat_fIfLi64ELi11ELi3ELb0EEvPKT_PKfPKiPfiiiiiiiiiiiiiiii
		.amdhsa_group_segment_fixed_size 0
		.amdhsa_private_segment_fixed_size 16
		.amdhsa_kernarg_size 352
		.amdhsa_user_sgpr_count 15
		.amdhsa_user_sgpr_dispatch_ptr 0
		.amdhsa_user_sgpr_queue_ptr 0
		.amdhsa_user_sgpr_kernarg_segment_ptr 1
		.amdhsa_user_sgpr_dispatch_id 0
		.amdhsa_user_sgpr_private_segment_size 0
		.amdhsa_wavefront_size32 1
		.amdhsa_uses_dynamic_stack 0
		.amdhsa_enable_private_segment 1
		.amdhsa_system_sgpr_workgroup_id_x 1
		.amdhsa_system_sgpr_workgroup_id_y 0
		.amdhsa_system_sgpr_workgroup_id_z 0
		.amdhsa_system_sgpr_workgroup_info 0
		.amdhsa_system_vgpr_workitem_id 0
		.amdhsa_next_free_vgpr 38
		.amdhsa_next_free_sgpr 34
		.amdhsa_reserve_vcc 1
		.amdhsa_float_round_mode_32 0
		.amdhsa_float_round_mode_16_64 0
		.amdhsa_float_denorm_mode_32 3
		.amdhsa_float_denorm_mode_16_64 3
		.amdhsa_dx10_clamp 1
		.amdhsa_ieee_mode 1
		.amdhsa_fp16_overflow 0
		.amdhsa_workgroup_processor_mode 1
		.amdhsa_memory_ordered 1
		.amdhsa_forward_progress 0
		.amdhsa_shared_vgpr_count 0
		.amdhsa_exception_fp_ieee_invalid_op 0
		.amdhsa_exception_fp_denorm_src 0
		.amdhsa_exception_fp_ieee_div_zero 0
		.amdhsa_exception_fp_ieee_overflow 0
		.amdhsa_exception_fp_ieee_underflow 0
		.amdhsa_exception_fp_ieee_inexact 0
		.amdhsa_exception_int_div_zero 0
	.end_amdhsa_kernel
	.section	.text._ZL9mul_mat_fIfLi64ELi11ELi3ELb0EEvPKT_PKfPKiPfiiiiiiiiiiiiiiii,"axG",@progbits,_ZL9mul_mat_fIfLi64ELi11ELi3ELb0EEvPKT_PKfPKiPfiiiiiiiiiiiiiiii,comdat
.Lfunc_end83:
	.size	_ZL9mul_mat_fIfLi64ELi11ELi3ELb0EEvPKT_PKfPKiPfiiiiiiiiiiiiiiii, .Lfunc_end83-_ZL9mul_mat_fIfLi64ELi11ELi3ELb0EEvPKT_PKfPKiPfiiiiiiiiiiiiiiii
                                        ; -- End function
	.section	.AMDGPU.csdata,"",@progbits
; Kernel info:
; codeLenInByte = 76
; NumSgprs: 36
; NumVgprs: 38
; ScratchSize: 16
; MemoryBound: 0
; FloatMode: 240
; IeeeMode: 1
; LDSByteSize: 0 bytes/workgroup (compile time only)
; SGPRBlocks: 4
; VGPRBlocks: 4
; NumSGPRsForWavesPerEU: 36
; NumVGPRsForWavesPerEU: 38
; Occupancy: 16
; WaveLimiterHint : 1
; COMPUTE_PGM_RSRC2:SCRATCH_EN: 1
; COMPUTE_PGM_RSRC2:USER_SGPR: 15
; COMPUTE_PGM_RSRC2:TRAP_HANDLER: 0
; COMPUTE_PGM_RSRC2:TGID_X_EN: 1
; COMPUTE_PGM_RSRC2:TGID_Y_EN: 0
; COMPUTE_PGM_RSRC2:TGID_Z_EN: 0
; COMPUTE_PGM_RSRC2:TIDIG_COMP_CNT: 0
	.section	.text._ZL13mul_mat_f_idsIfLi64ELi11ELi4EEvPKT_PKfPKiS6_S6_Pfiiiiiiiiiiiiii15HIP_vector_typeIjLj3EES9_,"axG",@progbits,_ZL13mul_mat_f_idsIfLi64ELi11ELi4EEvPKT_PKfPKiS6_S6_Pfiiiiiiiiiiiiii15HIP_vector_typeIjLj3EES9_,comdat
	.globl	_ZL13mul_mat_f_idsIfLi64ELi11ELi4EEvPKT_PKfPKiS6_S6_Pfiiiiiiiiiiiiii15HIP_vector_typeIjLj3EES9_ ; -- Begin function _ZL13mul_mat_f_idsIfLi64ELi11ELi4EEvPKT_PKfPKiS6_S6_Pfiiiiiiiiiiiiii15HIP_vector_typeIjLj3EES9_
	.p2align	8
	.type	_ZL13mul_mat_f_idsIfLi64ELi11ELi4EEvPKT_PKfPKiS6_S6_Pfiiiiiiiiiiiiii15HIP_vector_typeIjLj3EES9_,@function
_ZL13mul_mat_f_idsIfLi64ELi11ELi4EEvPKT_PKfPKiS6_S6_Pfiiiiiiiiiiiiii15HIP_vector_typeIjLj3EES9_: ; @_ZL13mul_mat_f_idsIfLi64ELi11ELi4EEvPKT_PKfPKiS6_S6_Pfiiiiiiiiiiiiii15HIP_vector_typeIjLj3EES9_
; %bb.0:
	s_add_u32 s8, s0, 0x80
	s_addc_u32 s9, s1, 0
	s_getpc_b64 s[0:1]
	s_add_u32 s0, s0, __FUNCTION__._ZL13mul_mat_f_idsIfLi32ELi11ELi1EEvPKT_PKfPKiS6_S6_Pfiiiiiiiiiiiiii15HIP_vector_typeIjLj3EES9_@rel32@lo+4
	s_addc_u32 s1, s1, __FUNCTION__._ZL13mul_mat_f_idsIfLi32ELi11ELi1EEvPKT_PKfPKiS6_S6_Pfiiiiiiiiiiiiii15HIP_vector_typeIjLj3EES9_@rel32@hi+12
	v_dual_mov_b32 v0, 0x136 :: v_dual_mov_b32 v1, s0
	v_mov_b32_e32 v2, s1
	s_mov_b32 s32, 0
	s_getpc_b64 s[2:3]
	s_add_u32 s2, s2, _ZL14no_device_codePKciS0_iS0_@rel32@lo+4
	s_addc_u32 s3, s3, _ZL14no_device_codePKciS0_iS0_@rel32@hi+12
	s_delay_alu instid0(SALU_CYCLE_1)
	s_swappc_b64 s[30:31], s[2:3]
	.section	.rodata,"a",@progbits
	.p2align	6, 0x0
	.amdhsa_kernel _ZL13mul_mat_f_idsIfLi64ELi11ELi4EEvPKT_PKfPKiS6_S6_Pfiiiiiiiiiiiiii15HIP_vector_typeIjLj3EES9_
		.amdhsa_group_segment_fixed_size 0
		.amdhsa_private_segment_fixed_size 16
		.amdhsa_kernarg_size 384
		.amdhsa_user_sgpr_count 15
		.amdhsa_user_sgpr_dispatch_ptr 0
		.amdhsa_user_sgpr_queue_ptr 0
		.amdhsa_user_sgpr_kernarg_segment_ptr 1
		.amdhsa_user_sgpr_dispatch_id 0
		.amdhsa_user_sgpr_private_segment_size 0
		.amdhsa_wavefront_size32 1
		.amdhsa_uses_dynamic_stack 0
		.amdhsa_enable_private_segment 1
		.amdhsa_system_sgpr_workgroup_id_x 1
		.amdhsa_system_sgpr_workgroup_id_y 0
		.amdhsa_system_sgpr_workgroup_id_z 0
		.amdhsa_system_sgpr_workgroup_info 0
		.amdhsa_system_vgpr_workitem_id 0
		.amdhsa_next_free_vgpr 38
		.amdhsa_next_free_sgpr 34
		.amdhsa_reserve_vcc 1
		.amdhsa_float_round_mode_32 0
		.amdhsa_float_round_mode_16_64 0
		.amdhsa_float_denorm_mode_32 3
		.amdhsa_float_denorm_mode_16_64 3
		.amdhsa_dx10_clamp 1
		.amdhsa_ieee_mode 1
		.amdhsa_fp16_overflow 0
		.amdhsa_workgroup_processor_mode 1
		.amdhsa_memory_ordered 1
		.amdhsa_forward_progress 0
		.amdhsa_shared_vgpr_count 0
		.amdhsa_exception_fp_ieee_invalid_op 0
		.amdhsa_exception_fp_denorm_src 0
		.amdhsa_exception_fp_ieee_div_zero 0
		.amdhsa_exception_fp_ieee_overflow 0
		.amdhsa_exception_fp_ieee_underflow 0
		.amdhsa_exception_fp_ieee_inexact 0
		.amdhsa_exception_int_div_zero 0
	.end_amdhsa_kernel
	.section	.text._ZL13mul_mat_f_idsIfLi64ELi11ELi4EEvPKT_PKfPKiS6_S6_Pfiiiiiiiiiiiiii15HIP_vector_typeIjLj3EES9_,"axG",@progbits,_ZL13mul_mat_f_idsIfLi64ELi11ELi4EEvPKT_PKfPKiS6_S6_Pfiiiiiiiiiiiiii15HIP_vector_typeIjLj3EES9_,comdat
.Lfunc_end84:
	.size	_ZL13mul_mat_f_idsIfLi64ELi11ELi4EEvPKT_PKfPKiS6_S6_Pfiiiiiiiiiiiiii15HIP_vector_typeIjLj3EES9_, .Lfunc_end84-_ZL13mul_mat_f_idsIfLi64ELi11ELi4EEvPKT_PKfPKiS6_S6_Pfiiiiiiiiiiiiii15HIP_vector_typeIjLj3EES9_
                                        ; -- End function
	.section	.AMDGPU.csdata,"",@progbits
; Kernel info:
; codeLenInByte = 80
; NumSgprs: 36
; NumVgprs: 38
; ScratchSize: 16
; MemoryBound: 0
; FloatMode: 240
; IeeeMode: 1
; LDSByteSize: 0 bytes/workgroup (compile time only)
; SGPRBlocks: 4
; VGPRBlocks: 4
; NumSGPRsForWavesPerEU: 36
; NumVGPRsForWavesPerEU: 38
; Occupancy: 16
; WaveLimiterHint : 1
; COMPUTE_PGM_RSRC2:SCRATCH_EN: 1
; COMPUTE_PGM_RSRC2:USER_SGPR: 15
; COMPUTE_PGM_RSRC2:TRAP_HANDLER: 0
; COMPUTE_PGM_RSRC2:TGID_X_EN: 1
; COMPUTE_PGM_RSRC2:TGID_Y_EN: 0
; COMPUTE_PGM_RSRC2:TGID_Z_EN: 0
; COMPUTE_PGM_RSRC2:TIDIG_COMP_CNT: 0
	.section	.text._ZL9mul_mat_fIfLi64ELi11ELi4ELb1EEvPKT_PKfPKiPfiiiiiiiiiiiiiiii,"axG",@progbits,_ZL9mul_mat_fIfLi64ELi11ELi4ELb1EEvPKT_PKfPKiPfiiiiiiiiiiiiiiii,comdat
	.globl	_ZL9mul_mat_fIfLi64ELi11ELi4ELb1EEvPKT_PKfPKiPfiiiiiiiiiiiiiiii ; -- Begin function _ZL9mul_mat_fIfLi64ELi11ELi4ELb1EEvPKT_PKfPKiPfiiiiiiiiiiiiiiii
	.p2align	8
	.type	_ZL9mul_mat_fIfLi64ELi11ELi4ELb1EEvPKT_PKfPKiPfiiiiiiiiiiiiiiii,@function
_ZL9mul_mat_fIfLi64ELi11ELi4ELb1EEvPKT_PKfPKiPfiiiiiiiiiiiiiiii: ; @_ZL9mul_mat_fIfLi64ELi11ELi4ELb1EEvPKT_PKfPKiPfiiiiiiiiiiiiiiii
; %bb.0:
	s_add_u32 s8, s0, 0x60
	s_addc_u32 s9, s1, 0
	s_getpc_b64 s[0:1]
	s_add_u32 s0, s0, __FUNCTION__._ZL9mul_mat_fIfLi32ELi11ELi1ELb1EEvPKT_PKfPKiPfiiiiiiiiiiiiiiii@rel32@lo+4
	s_addc_u32 s1, s1, __FUNCTION__._ZL9mul_mat_fIfLi32ELi11ELi1ELb1EEvPKT_PKfPKiPfiiiiiiiiiiiiiiii@rel32@hi+12
	v_dual_mov_b32 v0, 59 :: v_dual_mov_b32 v1, s0
	v_mov_b32_e32 v2, s1
	s_mov_b32 s32, 0
	s_getpc_b64 s[2:3]
	s_add_u32 s2, s2, _ZL14no_device_codePKciS0_iS0_@rel32@lo+4
	s_addc_u32 s3, s3, _ZL14no_device_codePKciS0_iS0_@rel32@hi+12
	s_delay_alu instid0(SALU_CYCLE_1)
	s_swappc_b64 s[30:31], s[2:3]
	.section	.rodata,"a",@progbits
	.p2align	6, 0x0
	.amdhsa_kernel _ZL9mul_mat_fIfLi64ELi11ELi4ELb1EEvPKT_PKfPKiPfiiiiiiiiiiiiiiii
		.amdhsa_group_segment_fixed_size 0
		.amdhsa_private_segment_fixed_size 16
		.amdhsa_kernarg_size 352
		.amdhsa_user_sgpr_count 15
		.amdhsa_user_sgpr_dispatch_ptr 0
		.amdhsa_user_sgpr_queue_ptr 0
		.amdhsa_user_sgpr_kernarg_segment_ptr 1
		.amdhsa_user_sgpr_dispatch_id 0
		.amdhsa_user_sgpr_private_segment_size 0
		.amdhsa_wavefront_size32 1
		.amdhsa_uses_dynamic_stack 0
		.amdhsa_enable_private_segment 1
		.amdhsa_system_sgpr_workgroup_id_x 1
		.amdhsa_system_sgpr_workgroup_id_y 0
		.amdhsa_system_sgpr_workgroup_id_z 0
		.amdhsa_system_sgpr_workgroup_info 0
		.amdhsa_system_vgpr_workitem_id 0
		.amdhsa_next_free_vgpr 38
		.amdhsa_next_free_sgpr 34
		.amdhsa_reserve_vcc 1
		.amdhsa_float_round_mode_32 0
		.amdhsa_float_round_mode_16_64 0
		.amdhsa_float_denorm_mode_32 3
		.amdhsa_float_denorm_mode_16_64 3
		.amdhsa_dx10_clamp 1
		.amdhsa_ieee_mode 1
		.amdhsa_fp16_overflow 0
		.amdhsa_workgroup_processor_mode 1
		.amdhsa_memory_ordered 1
		.amdhsa_forward_progress 0
		.amdhsa_shared_vgpr_count 0
		.amdhsa_exception_fp_ieee_invalid_op 0
		.amdhsa_exception_fp_denorm_src 0
		.amdhsa_exception_fp_ieee_div_zero 0
		.amdhsa_exception_fp_ieee_overflow 0
		.amdhsa_exception_fp_ieee_underflow 0
		.amdhsa_exception_fp_ieee_inexact 0
		.amdhsa_exception_int_div_zero 0
	.end_amdhsa_kernel
	.section	.text._ZL9mul_mat_fIfLi64ELi11ELi4ELb1EEvPKT_PKfPKiPfiiiiiiiiiiiiiiii,"axG",@progbits,_ZL9mul_mat_fIfLi64ELi11ELi4ELb1EEvPKT_PKfPKiPfiiiiiiiiiiiiiiii,comdat
.Lfunc_end85:
	.size	_ZL9mul_mat_fIfLi64ELi11ELi4ELb1EEvPKT_PKfPKiPfiiiiiiiiiiiiiiii, .Lfunc_end85-_ZL9mul_mat_fIfLi64ELi11ELi4ELb1EEvPKT_PKfPKiPfiiiiiiiiiiiiiiii
                                        ; -- End function
	.section	.AMDGPU.csdata,"",@progbits
; Kernel info:
; codeLenInByte = 76
; NumSgprs: 36
; NumVgprs: 38
; ScratchSize: 16
; MemoryBound: 0
; FloatMode: 240
; IeeeMode: 1
; LDSByteSize: 0 bytes/workgroup (compile time only)
; SGPRBlocks: 4
; VGPRBlocks: 4
; NumSGPRsForWavesPerEU: 36
; NumVGPRsForWavesPerEU: 38
; Occupancy: 16
; WaveLimiterHint : 1
; COMPUTE_PGM_RSRC2:SCRATCH_EN: 1
; COMPUTE_PGM_RSRC2:USER_SGPR: 15
; COMPUTE_PGM_RSRC2:TRAP_HANDLER: 0
; COMPUTE_PGM_RSRC2:TGID_X_EN: 1
; COMPUTE_PGM_RSRC2:TGID_Y_EN: 0
; COMPUTE_PGM_RSRC2:TGID_Z_EN: 0
; COMPUTE_PGM_RSRC2:TIDIG_COMP_CNT: 0
	.section	.text._ZL9mul_mat_fIfLi64ELi11ELi4ELb0EEvPKT_PKfPKiPfiiiiiiiiiiiiiiii,"axG",@progbits,_ZL9mul_mat_fIfLi64ELi11ELi4ELb0EEvPKT_PKfPKiPfiiiiiiiiiiiiiiii,comdat
	.globl	_ZL9mul_mat_fIfLi64ELi11ELi4ELb0EEvPKT_PKfPKiPfiiiiiiiiiiiiiiii ; -- Begin function _ZL9mul_mat_fIfLi64ELi11ELi4ELb0EEvPKT_PKfPKiPfiiiiiiiiiiiiiiii
	.p2align	8
	.type	_ZL9mul_mat_fIfLi64ELi11ELi4ELb0EEvPKT_PKfPKiPfiiiiiiiiiiiiiiii,@function
_ZL9mul_mat_fIfLi64ELi11ELi4ELb0EEvPKT_PKfPKiPfiiiiiiiiiiiiiiii: ; @_ZL9mul_mat_fIfLi64ELi11ELi4ELb0EEvPKT_PKfPKiPfiiiiiiiiiiiiiiii
; %bb.0:
	s_add_u32 s8, s0, 0x60
	s_addc_u32 s9, s1, 0
	s_getpc_b64 s[0:1]
	s_add_u32 s0, s0, __FUNCTION__._ZL9mul_mat_fIfLi32ELi11ELi1ELb1EEvPKT_PKfPKiPfiiiiiiiiiiiiiiii@rel32@lo+4
	s_addc_u32 s1, s1, __FUNCTION__._ZL9mul_mat_fIfLi32ELi11ELi1ELb1EEvPKT_PKfPKiPfiiiiiiiiiiiiiiii@rel32@hi+12
	v_dual_mov_b32 v0, 59 :: v_dual_mov_b32 v1, s0
	v_mov_b32_e32 v2, s1
	s_mov_b32 s32, 0
	s_getpc_b64 s[2:3]
	s_add_u32 s2, s2, _ZL14no_device_codePKciS0_iS0_@rel32@lo+4
	s_addc_u32 s3, s3, _ZL14no_device_codePKciS0_iS0_@rel32@hi+12
	s_delay_alu instid0(SALU_CYCLE_1)
	s_swappc_b64 s[30:31], s[2:3]
	.section	.rodata,"a",@progbits
	.p2align	6, 0x0
	.amdhsa_kernel _ZL9mul_mat_fIfLi64ELi11ELi4ELb0EEvPKT_PKfPKiPfiiiiiiiiiiiiiiii
		.amdhsa_group_segment_fixed_size 0
		.amdhsa_private_segment_fixed_size 16
		.amdhsa_kernarg_size 352
		.amdhsa_user_sgpr_count 15
		.amdhsa_user_sgpr_dispatch_ptr 0
		.amdhsa_user_sgpr_queue_ptr 0
		.amdhsa_user_sgpr_kernarg_segment_ptr 1
		.amdhsa_user_sgpr_dispatch_id 0
		.amdhsa_user_sgpr_private_segment_size 0
		.amdhsa_wavefront_size32 1
		.amdhsa_uses_dynamic_stack 0
		.amdhsa_enable_private_segment 1
		.amdhsa_system_sgpr_workgroup_id_x 1
		.amdhsa_system_sgpr_workgroup_id_y 0
		.amdhsa_system_sgpr_workgroup_id_z 0
		.amdhsa_system_sgpr_workgroup_info 0
		.amdhsa_system_vgpr_workitem_id 0
		.amdhsa_next_free_vgpr 38
		.amdhsa_next_free_sgpr 34
		.amdhsa_reserve_vcc 1
		.amdhsa_float_round_mode_32 0
		.amdhsa_float_round_mode_16_64 0
		.amdhsa_float_denorm_mode_32 3
		.amdhsa_float_denorm_mode_16_64 3
		.amdhsa_dx10_clamp 1
		.amdhsa_ieee_mode 1
		.amdhsa_fp16_overflow 0
		.amdhsa_workgroup_processor_mode 1
		.amdhsa_memory_ordered 1
		.amdhsa_forward_progress 0
		.amdhsa_shared_vgpr_count 0
		.amdhsa_exception_fp_ieee_invalid_op 0
		.amdhsa_exception_fp_denorm_src 0
		.amdhsa_exception_fp_ieee_div_zero 0
		.amdhsa_exception_fp_ieee_overflow 0
		.amdhsa_exception_fp_ieee_underflow 0
		.amdhsa_exception_fp_ieee_inexact 0
		.amdhsa_exception_int_div_zero 0
	.end_amdhsa_kernel
	.section	.text._ZL9mul_mat_fIfLi64ELi11ELi4ELb0EEvPKT_PKfPKiPfiiiiiiiiiiiiiiii,"axG",@progbits,_ZL9mul_mat_fIfLi64ELi11ELi4ELb0EEvPKT_PKfPKiPfiiiiiiiiiiiiiiii,comdat
.Lfunc_end86:
	.size	_ZL9mul_mat_fIfLi64ELi11ELi4ELb0EEvPKT_PKfPKiPfiiiiiiiiiiiiiiii, .Lfunc_end86-_ZL9mul_mat_fIfLi64ELi11ELi4ELb0EEvPKT_PKfPKiPfiiiiiiiiiiiiiiii
                                        ; -- End function
	.section	.AMDGPU.csdata,"",@progbits
; Kernel info:
; codeLenInByte = 76
; NumSgprs: 36
; NumVgprs: 38
; ScratchSize: 16
; MemoryBound: 0
; FloatMode: 240
; IeeeMode: 1
; LDSByteSize: 0 bytes/workgroup (compile time only)
; SGPRBlocks: 4
; VGPRBlocks: 4
; NumSGPRsForWavesPerEU: 36
; NumVGPRsForWavesPerEU: 38
; Occupancy: 16
; WaveLimiterHint : 1
; COMPUTE_PGM_RSRC2:SCRATCH_EN: 1
; COMPUTE_PGM_RSRC2:USER_SGPR: 15
; COMPUTE_PGM_RSRC2:TRAP_HANDLER: 0
; COMPUTE_PGM_RSRC2:TGID_X_EN: 1
; COMPUTE_PGM_RSRC2:TGID_Y_EN: 0
; COMPUTE_PGM_RSRC2:TGID_Z_EN: 0
; COMPUTE_PGM_RSRC2:TIDIG_COMP_CNT: 0
	.section	.text._ZL13mul_mat_f_idsIfLi64ELi11ELi5EEvPKT_PKfPKiS6_S6_Pfiiiiiiiiiiiiii15HIP_vector_typeIjLj3EES9_,"axG",@progbits,_ZL13mul_mat_f_idsIfLi64ELi11ELi5EEvPKT_PKfPKiS6_S6_Pfiiiiiiiiiiiiii15HIP_vector_typeIjLj3EES9_,comdat
	.globl	_ZL13mul_mat_f_idsIfLi64ELi11ELi5EEvPKT_PKfPKiS6_S6_Pfiiiiiiiiiiiiii15HIP_vector_typeIjLj3EES9_ ; -- Begin function _ZL13mul_mat_f_idsIfLi64ELi11ELi5EEvPKT_PKfPKiS6_S6_Pfiiiiiiiiiiiiii15HIP_vector_typeIjLj3EES9_
	.p2align	8
	.type	_ZL13mul_mat_f_idsIfLi64ELi11ELi5EEvPKT_PKfPKiS6_S6_Pfiiiiiiiiiiiiii15HIP_vector_typeIjLj3EES9_,@function
_ZL13mul_mat_f_idsIfLi64ELi11ELi5EEvPKT_PKfPKiS6_S6_Pfiiiiiiiiiiiiii15HIP_vector_typeIjLj3EES9_: ; @_ZL13mul_mat_f_idsIfLi64ELi11ELi5EEvPKT_PKfPKiS6_S6_Pfiiiiiiiiiiiiii15HIP_vector_typeIjLj3EES9_
; %bb.0:
	s_add_u32 s8, s0, 0x80
	s_addc_u32 s9, s1, 0
	s_getpc_b64 s[0:1]
	s_add_u32 s0, s0, __FUNCTION__._ZL13mul_mat_f_idsIfLi32ELi11ELi1EEvPKT_PKfPKiS6_S6_Pfiiiiiiiiiiiiii15HIP_vector_typeIjLj3EES9_@rel32@lo+4
	s_addc_u32 s1, s1, __FUNCTION__._ZL13mul_mat_f_idsIfLi32ELi11ELi1EEvPKT_PKfPKiS6_S6_Pfiiiiiiiiiiiiii15HIP_vector_typeIjLj3EES9_@rel32@hi+12
	v_dual_mov_b32 v0, 0x136 :: v_dual_mov_b32 v1, s0
	v_mov_b32_e32 v2, s1
	s_mov_b32 s32, 0
	s_getpc_b64 s[2:3]
	s_add_u32 s2, s2, _ZL14no_device_codePKciS0_iS0_@rel32@lo+4
	s_addc_u32 s3, s3, _ZL14no_device_codePKciS0_iS0_@rel32@hi+12
	s_delay_alu instid0(SALU_CYCLE_1)
	s_swappc_b64 s[30:31], s[2:3]
	.section	.rodata,"a",@progbits
	.p2align	6, 0x0
	.amdhsa_kernel _ZL13mul_mat_f_idsIfLi64ELi11ELi5EEvPKT_PKfPKiS6_S6_Pfiiiiiiiiiiiiii15HIP_vector_typeIjLj3EES9_
		.amdhsa_group_segment_fixed_size 0
		.amdhsa_private_segment_fixed_size 16
		.amdhsa_kernarg_size 384
		.amdhsa_user_sgpr_count 15
		.amdhsa_user_sgpr_dispatch_ptr 0
		.amdhsa_user_sgpr_queue_ptr 0
		.amdhsa_user_sgpr_kernarg_segment_ptr 1
		.amdhsa_user_sgpr_dispatch_id 0
		.amdhsa_user_sgpr_private_segment_size 0
		.amdhsa_wavefront_size32 1
		.amdhsa_uses_dynamic_stack 0
		.amdhsa_enable_private_segment 1
		.amdhsa_system_sgpr_workgroup_id_x 1
		.amdhsa_system_sgpr_workgroup_id_y 0
		.amdhsa_system_sgpr_workgroup_id_z 0
		.amdhsa_system_sgpr_workgroup_info 0
		.amdhsa_system_vgpr_workitem_id 0
		.amdhsa_next_free_vgpr 38
		.amdhsa_next_free_sgpr 34
		.amdhsa_reserve_vcc 1
		.amdhsa_float_round_mode_32 0
		.amdhsa_float_round_mode_16_64 0
		.amdhsa_float_denorm_mode_32 3
		.amdhsa_float_denorm_mode_16_64 3
		.amdhsa_dx10_clamp 1
		.amdhsa_ieee_mode 1
		.amdhsa_fp16_overflow 0
		.amdhsa_workgroup_processor_mode 1
		.amdhsa_memory_ordered 1
		.amdhsa_forward_progress 0
		.amdhsa_shared_vgpr_count 0
		.amdhsa_exception_fp_ieee_invalid_op 0
		.amdhsa_exception_fp_denorm_src 0
		.amdhsa_exception_fp_ieee_div_zero 0
		.amdhsa_exception_fp_ieee_overflow 0
		.amdhsa_exception_fp_ieee_underflow 0
		.amdhsa_exception_fp_ieee_inexact 0
		.amdhsa_exception_int_div_zero 0
	.end_amdhsa_kernel
	.section	.text._ZL13mul_mat_f_idsIfLi64ELi11ELi5EEvPKT_PKfPKiS6_S6_Pfiiiiiiiiiiiiii15HIP_vector_typeIjLj3EES9_,"axG",@progbits,_ZL13mul_mat_f_idsIfLi64ELi11ELi5EEvPKT_PKfPKiS6_S6_Pfiiiiiiiiiiiiii15HIP_vector_typeIjLj3EES9_,comdat
.Lfunc_end87:
	.size	_ZL13mul_mat_f_idsIfLi64ELi11ELi5EEvPKT_PKfPKiS6_S6_Pfiiiiiiiiiiiiii15HIP_vector_typeIjLj3EES9_, .Lfunc_end87-_ZL13mul_mat_f_idsIfLi64ELi11ELi5EEvPKT_PKfPKiS6_S6_Pfiiiiiiiiiiiiii15HIP_vector_typeIjLj3EES9_
                                        ; -- End function
	.section	.AMDGPU.csdata,"",@progbits
; Kernel info:
; codeLenInByte = 80
; NumSgprs: 36
; NumVgprs: 38
; ScratchSize: 16
; MemoryBound: 0
; FloatMode: 240
; IeeeMode: 1
; LDSByteSize: 0 bytes/workgroup (compile time only)
; SGPRBlocks: 4
; VGPRBlocks: 4
; NumSGPRsForWavesPerEU: 36
; NumVGPRsForWavesPerEU: 38
; Occupancy: 15
; WaveLimiterHint : 1
; COMPUTE_PGM_RSRC2:SCRATCH_EN: 1
; COMPUTE_PGM_RSRC2:USER_SGPR: 15
; COMPUTE_PGM_RSRC2:TRAP_HANDLER: 0
; COMPUTE_PGM_RSRC2:TGID_X_EN: 1
; COMPUTE_PGM_RSRC2:TGID_Y_EN: 0
; COMPUTE_PGM_RSRC2:TGID_Z_EN: 0
; COMPUTE_PGM_RSRC2:TIDIG_COMP_CNT: 0
	.section	.text._ZL9mul_mat_fIfLi64ELi11ELi5ELb1EEvPKT_PKfPKiPfiiiiiiiiiiiiiiii,"axG",@progbits,_ZL9mul_mat_fIfLi64ELi11ELi5ELb1EEvPKT_PKfPKiPfiiiiiiiiiiiiiiii,comdat
	.globl	_ZL9mul_mat_fIfLi64ELi11ELi5ELb1EEvPKT_PKfPKiPfiiiiiiiiiiiiiiii ; -- Begin function _ZL9mul_mat_fIfLi64ELi11ELi5ELb1EEvPKT_PKfPKiPfiiiiiiiiiiiiiiii
	.p2align	8
	.type	_ZL9mul_mat_fIfLi64ELi11ELi5ELb1EEvPKT_PKfPKiPfiiiiiiiiiiiiiiii,@function
_ZL9mul_mat_fIfLi64ELi11ELi5ELb1EEvPKT_PKfPKiPfiiiiiiiiiiiiiiii: ; @_ZL9mul_mat_fIfLi64ELi11ELi5ELb1EEvPKT_PKfPKiPfiiiiiiiiiiiiiiii
; %bb.0:
	s_add_u32 s8, s0, 0x60
	s_addc_u32 s9, s1, 0
	s_getpc_b64 s[0:1]
	s_add_u32 s0, s0, __FUNCTION__._ZL9mul_mat_fIfLi32ELi11ELi1ELb1EEvPKT_PKfPKiPfiiiiiiiiiiiiiiii@rel32@lo+4
	s_addc_u32 s1, s1, __FUNCTION__._ZL9mul_mat_fIfLi32ELi11ELi1ELb1EEvPKT_PKfPKiPfiiiiiiiiiiiiiiii@rel32@hi+12
	v_dual_mov_b32 v0, 59 :: v_dual_mov_b32 v1, s0
	v_mov_b32_e32 v2, s1
	s_mov_b32 s32, 0
	s_getpc_b64 s[2:3]
	s_add_u32 s2, s2, _ZL14no_device_codePKciS0_iS0_@rel32@lo+4
	s_addc_u32 s3, s3, _ZL14no_device_codePKciS0_iS0_@rel32@hi+12
	s_delay_alu instid0(SALU_CYCLE_1)
	s_swappc_b64 s[30:31], s[2:3]
	.section	.rodata,"a",@progbits
	.p2align	6, 0x0
	.amdhsa_kernel _ZL9mul_mat_fIfLi64ELi11ELi5ELb1EEvPKT_PKfPKiPfiiiiiiiiiiiiiiii
		.amdhsa_group_segment_fixed_size 0
		.amdhsa_private_segment_fixed_size 16
		.amdhsa_kernarg_size 352
		.amdhsa_user_sgpr_count 15
		.amdhsa_user_sgpr_dispatch_ptr 0
		.amdhsa_user_sgpr_queue_ptr 0
		.amdhsa_user_sgpr_kernarg_segment_ptr 1
		.amdhsa_user_sgpr_dispatch_id 0
		.amdhsa_user_sgpr_private_segment_size 0
		.amdhsa_wavefront_size32 1
		.amdhsa_uses_dynamic_stack 0
		.amdhsa_enable_private_segment 1
		.amdhsa_system_sgpr_workgroup_id_x 1
		.amdhsa_system_sgpr_workgroup_id_y 0
		.amdhsa_system_sgpr_workgroup_id_z 0
		.amdhsa_system_sgpr_workgroup_info 0
		.amdhsa_system_vgpr_workitem_id 0
		.amdhsa_next_free_vgpr 38
		.amdhsa_next_free_sgpr 34
		.amdhsa_reserve_vcc 1
		.amdhsa_float_round_mode_32 0
		.amdhsa_float_round_mode_16_64 0
		.amdhsa_float_denorm_mode_32 3
		.amdhsa_float_denorm_mode_16_64 3
		.amdhsa_dx10_clamp 1
		.amdhsa_ieee_mode 1
		.amdhsa_fp16_overflow 0
		.amdhsa_workgroup_processor_mode 1
		.amdhsa_memory_ordered 1
		.amdhsa_forward_progress 0
		.amdhsa_shared_vgpr_count 0
		.amdhsa_exception_fp_ieee_invalid_op 0
		.amdhsa_exception_fp_denorm_src 0
		.amdhsa_exception_fp_ieee_div_zero 0
		.amdhsa_exception_fp_ieee_overflow 0
		.amdhsa_exception_fp_ieee_underflow 0
		.amdhsa_exception_fp_ieee_inexact 0
		.amdhsa_exception_int_div_zero 0
	.end_amdhsa_kernel
	.section	.text._ZL9mul_mat_fIfLi64ELi11ELi5ELb1EEvPKT_PKfPKiPfiiiiiiiiiiiiiiii,"axG",@progbits,_ZL9mul_mat_fIfLi64ELi11ELi5ELb1EEvPKT_PKfPKiPfiiiiiiiiiiiiiiii,comdat
.Lfunc_end88:
	.size	_ZL9mul_mat_fIfLi64ELi11ELi5ELb1EEvPKT_PKfPKiPfiiiiiiiiiiiiiiii, .Lfunc_end88-_ZL9mul_mat_fIfLi64ELi11ELi5ELb1EEvPKT_PKfPKiPfiiiiiiiiiiiiiiii
                                        ; -- End function
	.section	.AMDGPU.csdata,"",@progbits
; Kernel info:
; codeLenInByte = 76
; NumSgprs: 36
; NumVgprs: 38
; ScratchSize: 16
; MemoryBound: 0
; FloatMode: 240
; IeeeMode: 1
; LDSByteSize: 0 bytes/workgroup (compile time only)
; SGPRBlocks: 4
; VGPRBlocks: 4
; NumSGPRsForWavesPerEU: 36
; NumVGPRsForWavesPerEU: 38
; Occupancy: 15
; WaveLimiterHint : 1
; COMPUTE_PGM_RSRC2:SCRATCH_EN: 1
; COMPUTE_PGM_RSRC2:USER_SGPR: 15
; COMPUTE_PGM_RSRC2:TRAP_HANDLER: 0
; COMPUTE_PGM_RSRC2:TGID_X_EN: 1
; COMPUTE_PGM_RSRC2:TGID_Y_EN: 0
; COMPUTE_PGM_RSRC2:TGID_Z_EN: 0
; COMPUTE_PGM_RSRC2:TIDIG_COMP_CNT: 0
	.section	.text._ZL9mul_mat_fIfLi64ELi11ELi5ELb0EEvPKT_PKfPKiPfiiiiiiiiiiiiiiii,"axG",@progbits,_ZL9mul_mat_fIfLi64ELi11ELi5ELb0EEvPKT_PKfPKiPfiiiiiiiiiiiiiiii,comdat
	.globl	_ZL9mul_mat_fIfLi64ELi11ELi5ELb0EEvPKT_PKfPKiPfiiiiiiiiiiiiiiii ; -- Begin function _ZL9mul_mat_fIfLi64ELi11ELi5ELb0EEvPKT_PKfPKiPfiiiiiiiiiiiiiiii
	.p2align	8
	.type	_ZL9mul_mat_fIfLi64ELi11ELi5ELb0EEvPKT_PKfPKiPfiiiiiiiiiiiiiiii,@function
_ZL9mul_mat_fIfLi64ELi11ELi5ELb0EEvPKT_PKfPKiPfiiiiiiiiiiiiiiii: ; @_ZL9mul_mat_fIfLi64ELi11ELi5ELb0EEvPKT_PKfPKiPfiiiiiiiiiiiiiiii
; %bb.0:
	s_add_u32 s8, s0, 0x60
	s_addc_u32 s9, s1, 0
	s_getpc_b64 s[0:1]
	s_add_u32 s0, s0, __FUNCTION__._ZL9mul_mat_fIfLi32ELi11ELi1ELb1EEvPKT_PKfPKiPfiiiiiiiiiiiiiiii@rel32@lo+4
	s_addc_u32 s1, s1, __FUNCTION__._ZL9mul_mat_fIfLi32ELi11ELi1ELb1EEvPKT_PKfPKiPfiiiiiiiiiiiiiiii@rel32@hi+12
	v_dual_mov_b32 v0, 59 :: v_dual_mov_b32 v1, s0
	v_mov_b32_e32 v2, s1
	s_mov_b32 s32, 0
	s_getpc_b64 s[2:3]
	s_add_u32 s2, s2, _ZL14no_device_codePKciS0_iS0_@rel32@lo+4
	s_addc_u32 s3, s3, _ZL14no_device_codePKciS0_iS0_@rel32@hi+12
	s_delay_alu instid0(SALU_CYCLE_1)
	s_swappc_b64 s[30:31], s[2:3]
	.section	.rodata,"a",@progbits
	.p2align	6, 0x0
	.amdhsa_kernel _ZL9mul_mat_fIfLi64ELi11ELi5ELb0EEvPKT_PKfPKiPfiiiiiiiiiiiiiiii
		.amdhsa_group_segment_fixed_size 0
		.amdhsa_private_segment_fixed_size 16
		.amdhsa_kernarg_size 352
		.amdhsa_user_sgpr_count 15
		.amdhsa_user_sgpr_dispatch_ptr 0
		.amdhsa_user_sgpr_queue_ptr 0
		.amdhsa_user_sgpr_kernarg_segment_ptr 1
		.amdhsa_user_sgpr_dispatch_id 0
		.amdhsa_user_sgpr_private_segment_size 0
		.amdhsa_wavefront_size32 1
		.amdhsa_uses_dynamic_stack 0
		.amdhsa_enable_private_segment 1
		.amdhsa_system_sgpr_workgroup_id_x 1
		.amdhsa_system_sgpr_workgroup_id_y 0
		.amdhsa_system_sgpr_workgroup_id_z 0
		.amdhsa_system_sgpr_workgroup_info 0
		.amdhsa_system_vgpr_workitem_id 0
		.amdhsa_next_free_vgpr 38
		.amdhsa_next_free_sgpr 34
		.amdhsa_reserve_vcc 1
		.amdhsa_float_round_mode_32 0
		.amdhsa_float_round_mode_16_64 0
		.amdhsa_float_denorm_mode_32 3
		.amdhsa_float_denorm_mode_16_64 3
		.amdhsa_dx10_clamp 1
		.amdhsa_ieee_mode 1
		.amdhsa_fp16_overflow 0
		.amdhsa_workgroup_processor_mode 1
		.amdhsa_memory_ordered 1
		.amdhsa_forward_progress 0
		.amdhsa_shared_vgpr_count 0
		.amdhsa_exception_fp_ieee_invalid_op 0
		.amdhsa_exception_fp_denorm_src 0
		.amdhsa_exception_fp_ieee_div_zero 0
		.amdhsa_exception_fp_ieee_overflow 0
		.amdhsa_exception_fp_ieee_underflow 0
		.amdhsa_exception_fp_ieee_inexact 0
		.amdhsa_exception_int_div_zero 0
	.end_amdhsa_kernel
	.section	.text._ZL9mul_mat_fIfLi64ELi11ELi5ELb0EEvPKT_PKfPKiPfiiiiiiiiiiiiiiii,"axG",@progbits,_ZL9mul_mat_fIfLi64ELi11ELi5ELb0EEvPKT_PKfPKiPfiiiiiiiiiiiiiiii,comdat
.Lfunc_end89:
	.size	_ZL9mul_mat_fIfLi64ELi11ELi5ELb0EEvPKT_PKfPKiPfiiiiiiiiiiiiiiii, .Lfunc_end89-_ZL9mul_mat_fIfLi64ELi11ELi5ELb0EEvPKT_PKfPKiPfiiiiiiiiiiiiiiii
                                        ; -- End function
	.section	.AMDGPU.csdata,"",@progbits
; Kernel info:
; codeLenInByte = 76
; NumSgprs: 36
; NumVgprs: 38
; ScratchSize: 16
; MemoryBound: 0
; FloatMode: 240
; IeeeMode: 1
; LDSByteSize: 0 bytes/workgroup (compile time only)
; SGPRBlocks: 4
; VGPRBlocks: 4
; NumSGPRsForWavesPerEU: 36
; NumVGPRsForWavesPerEU: 38
; Occupancy: 15
; WaveLimiterHint : 1
; COMPUTE_PGM_RSRC2:SCRATCH_EN: 1
; COMPUTE_PGM_RSRC2:USER_SGPR: 15
; COMPUTE_PGM_RSRC2:TRAP_HANDLER: 0
; COMPUTE_PGM_RSRC2:TGID_X_EN: 1
; COMPUTE_PGM_RSRC2:TGID_Y_EN: 0
; COMPUTE_PGM_RSRC2:TGID_Z_EN: 0
; COMPUTE_PGM_RSRC2:TIDIG_COMP_CNT: 0
	.section	.text._ZL13mul_mat_f_idsIfLi64ELi11ELi6EEvPKT_PKfPKiS6_S6_Pfiiiiiiiiiiiiii15HIP_vector_typeIjLj3EES9_,"axG",@progbits,_ZL13mul_mat_f_idsIfLi64ELi11ELi6EEvPKT_PKfPKiS6_S6_Pfiiiiiiiiiiiiii15HIP_vector_typeIjLj3EES9_,comdat
	.globl	_ZL13mul_mat_f_idsIfLi64ELi11ELi6EEvPKT_PKfPKiS6_S6_Pfiiiiiiiiiiiiii15HIP_vector_typeIjLj3EES9_ ; -- Begin function _ZL13mul_mat_f_idsIfLi64ELi11ELi6EEvPKT_PKfPKiS6_S6_Pfiiiiiiiiiiiiii15HIP_vector_typeIjLj3EES9_
	.p2align	8
	.type	_ZL13mul_mat_f_idsIfLi64ELi11ELi6EEvPKT_PKfPKiS6_S6_Pfiiiiiiiiiiiiii15HIP_vector_typeIjLj3EES9_,@function
_ZL13mul_mat_f_idsIfLi64ELi11ELi6EEvPKT_PKfPKiS6_S6_Pfiiiiiiiiiiiiii15HIP_vector_typeIjLj3EES9_: ; @_ZL13mul_mat_f_idsIfLi64ELi11ELi6EEvPKT_PKfPKiS6_S6_Pfiiiiiiiiiiiiii15HIP_vector_typeIjLj3EES9_
; %bb.0:
	s_add_u32 s8, s0, 0x80
	s_addc_u32 s9, s1, 0
	s_getpc_b64 s[0:1]
	s_add_u32 s0, s0, __FUNCTION__._ZL13mul_mat_f_idsIfLi32ELi11ELi1EEvPKT_PKfPKiS6_S6_Pfiiiiiiiiiiiiii15HIP_vector_typeIjLj3EES9_@rel32@lo+4
	s_addc_u32 s1, s1, __FUNCTION__._ZL13mul_mat_f_idsIfLi32ELi11ELi1EEvPKT_PKfPKiS6_S6_Pfiiiiiiiiiiiiii15HIP_vector_typeIjLj3EES9_@rel32@hi+12
	v_dual_mov_b32 v0, 0x136 :: v_dual_mov_b32 v1, s0
	v_mov_b32_e32 v2, s1
	s_mov_b32 s32, 0
	s_getpc_b64 s[2:3]
	s_add_u32 s2, s2, _ZL14no_device_codePKciS0_iS0_@rel32@lo+4
	s_addc_u32 s3, s3, _ZL14no_device_codePKciS0_iS0_@rel32@hi+12
	s_delay_alu instid0(SALU_CYCLE_1)
	s_swappc_b64 s[30:31], s[2:3]
	.section	.rodata,"a",@progbits
	.p2align	6, 0x0
	.amdhsa_kernel _ZL13mul_mat_f_idsIfLi64ELi11ELi6EEvPKT_PKfPKiS6_S6_Pfiiiiiiiiiiiiii15HIP_vector_typeIjLj3EES9_
		.amdhsa_group_segment_fixed_size 0
		.amdhsa_private_segment_fixed_size 16
		.amdhsa_kernarg_size 384
		.amdhsa_user_sgpr_count 15
		.amdhsa_user_sgpr_dispatch_ptr 0
		.amdhsa_user_sgpr_queue_ptr 0
		.amdhsa_user_sgpr_kernarg_segment_ptr 1
		.amdhsa_user_sgpr_dispatch_id 0
		.amdhsa_user_sgpr_private_segment_size 0
		.amdhsa_wavefront_size32 1
		.amdhsa_uses_dynamic_stack 0
		.amdhsa_enable_private_segment 1
		.amdhsa_system_sgpr_workgroup_id_x 1
		.amdhsa_system_sgpr_workgroup_id_y 0
		.amdhsa_system_sgpr_workgroup_id_z 0
		.amdhsa_system_sgpr_workgroup_info 0
		.amdhsa_system_vgpr_workitem_id 0
		.amdhsa_next_free_vgpr 38
		.amdhsa_next_free_sgpr 34
		.amdhsa_reserve_vcc 1
		.amdhsa_float_round_mode_32 0
		.amdhsa_float_round_mode_16_64 0
		.amdhsa_float_denorm_mode_32 3
		.amdhsa_float_denorm_mode_16_64 3
		.amdhsa_dx10_clamp 1
		.amdhsa_ieee_mode 1
		.amdhsa_fp16_overflow 0
		.amdhsa_workgroup_processor_mode 1
		.amdhsa_memory_ordered 1
		.amdhsa_forward_progress 0
		.amdhsa_shared_vgpr_count 0
		.amdhsa_exception_fp_ieee_invalid_op 0
		.amdhsa_exception_fp_denorm_src 0
		.amdhsa_exception_fp_ieee_div_zero 0
		.amdhsa_exception_fp_ieee_overflow 0
		.amdhsa_exception_fp_ieee_underflow 0
		.amdhsa_exception_fp_ieee_inexact 0
		.amdhsa_exception_int_div_zero 0
	.end_amdhsa_kernel
	.section	.text._ZL13mul_mat_f_idsIfLi64ELi11ELi6EEvPKT_PKfPKiS6_S6_Pfiiiiiiiiiiiiii15HIP_vector_typeIjLj3EES9_,"axG",@progbits,_ZL13mul_mat_f_idsIfLi64ELi11ELi6EEvPKT_PKfPKiS6_S6_Pfiiiiiiiiiiiiii15HIP_vector_typeIjLj3EES9_,comdat
.Lfunc_end90:
	.size	_ZL13mul_mat_f_idsIfLi64ELi11ELi6EEvPKT_PKfPKiS6_S6_Pfiiiiiiiiiiiiii15HIP_vector_typeIjLj3EES9_, .Lfunc_end90-_ZL13mul_mat_f_idsIfLi64ELi11ELi6EEvPKT_PKfPKiS6_S6_Pfiiiiiiiiiiiiii15HIP_vector_typeIjLj3EES9_
                                        ; -- End function
	.section	.AMDGPU.csdata,"",@progbits
; Kernel info:
; codeLenInByte = 80
; NumSgprs: 36
; NumVgprs: 38
; ScratchSize: 16
; MemoryBound: 0
; FloatMode: 240
; IeeeMode: 1
; LDSByteSize: 0 bytes/workgroup (compile time only)
; SGPRBlocks: 4
; VGPRBlocks: 4
; NumSGPRsForWavesPerEU: 36
; NumVGPRsForWavesPerEU: 38
; Occupancy: 15
; WaveLimiterHint : 1
; COMPUTE_PGM_RSRC2:SCRATCH_EN: 1
; COMPUTE_PGM_RSRC2:USER_SGPR: 15
; COMPUTE_PGM_RSRC2:TRAP_HANDLER: 0
; COMPUTE_PGM_RSRC2:TGID_X_EN: 1
; COMPUTE_PGM_RSRC2:TGID_Y_EN: 0
; COMPUTE_PGM_RSRC2:TGID_Z_EN: 0
; COMPUTE_PGM_RSRC2:TIDIG_COMP_CNT: 0
	.section	.text._ZL9mul_mat_fIfLi64ELi11ELi6ELb1EEvPKT_PKfPKiPfiiiiiiiiiiiiiiii,"axG",@progbits,_ZL9mul_mat_fIfLi64ELi11ELi6ELb1EEvPKT_PKfPKiPfiiiiiiiiiiiiiiii,comdat
	.globl	_ZL9mul_mat_fIfLi64ELi11ELi6ELb1EEvPKT_PKfPKiPfiiiiiiiiiiiiiiii ; -- Begin function _ZL9mul_mat_fIfLi64ELi11ELi6ELb1EEvPKT_PKfPKiPfiiiiiiiiiiiiiiii
	.p2align	8
	.type	_ZL9mul_mat_fIfLi64ELi11ELi6ELb1EEvPKT_PKfPKiPfiiiiiiiiiiiiiiii,@function
_ZL9mul_mat_fIfLi64ELi11ELi6ELb1EEvPKT_PKfPKiPfiiiiiiiiiiiiiiii: ; @_ZL9mul_mat_fIfLi64ELi11ELi6ELb1EEvPKT_PKfPKiPfiiiiiiiiiiiiiiii
; %bb.0:
	s_add_u32 s8, s0, 0x60
	s_addc_u32 s9, s1, 0
	s_getpc_b64 s[0:1]
	s_add_u32 s0, s0, __FUNCTION__._ZL9mul_mat_fIfLi32ELi11ELi1ELb1EEvPKT_PKfPKiPfiiiiiiiiiiiiiiii@rel32@lo+4
	s_addc_u32 s1, s1, __FUNCTION__._ZL9mul_mat_fIfLi32ELi11ELi1ELb1EEvPKT_PKfPKiPfiiiiiiiiiiiiiiii@rel32@hi+12
	v_dual_mov_b32 v0, 59 :: v_dual_mov_b32 v1, s0
	v_mov_b32_e32 v2, s1
	s_mov_b32 s32, 0
	s_getpc_b64 s[2:3]
	s_add_u32 s2, s2, _ZL14no_device_codePKciS0_iS0_@rel32@lo+4
	s_addc_u32 s3, s3, _ZL14no_device_codePKciS0_iS0_@rel32@hi+12
	s_delay_alu instid0(SALU_CYCLE_1)
	s_swappc_b64 s[30:31], s[2:3]
	.section	.rodata,"a",@progbits
	.p2align	6, 0x0
	.amdhsa_kernel _ZL9mul_mat_fIfLi64ELi11ELi6ELb1EEvPKT_PKfPKiPfiiiiiiiiiiiiiiii
		.amdhsa_group_segment_fixed_size 0
		.amdhsa_private_segment_fixed_size 16
		.amdhsa_kernarg_size 352
		.amdhsa_user_sgpr_count 15
		.amdhsa_user_sgpr_dispatch_ptr 0
		.amdhsa_user_sgpr_queue_ptr 0
		.amdhsa_user_sgpr_kernarg_segment_ptr 1
		.amdhsa_user_sgpr_dispatch_id 0
		.amdhsa_user_sgpr_private_segment_size 0
		.amdhsa_wavefront_size32 1
		.amdhsa_uses_dynamic_stack 0
		.amdhsa_enable_private_segment 1
		.amdhsa_system_sgpr_workgroup_id_x 1
		.amdhsa_system_sgpr_workgroup_id_y 0
		.amdhsa_system_sgpr_workgroup_id_z 0
		.amdhsa_system_sgpr_workgroup_info 0
		.amdhsa_system_vgpr_workitem_id 0
		.amdhsa_next_free_vgpr 38
		.amdhsa_next_free_sgpr 34
		.amdhsa_reserve_vcc 1
		.amdhsa_float_round_mode_32 0
		.amdhsa_float_round_mode_16_64 0
		.amdhsa_float_denorm_mode_32 3
		.amdhsa_float_denorm_mode_16_64 3
		.amdhsa_dx10_clamp 1
		.amdhsa_ieee_mode 1
		.amdhsa_fp16_overflow 0
		.amdhsa_workgroup_processor_mode 1
		.amdhsa_memory_ordered 1
		.amdhsa_forward_progress 0
		.amdhsa_shared_vgpr_count 0
		.amdhsa_exception_fp_ieee_invalid_op 0
		.amdhsa_exception_fp_denorm_src 0
		.amdhsa_exception_fp_ieee_div_zero 0
		.amdhsa_exception_fp_ieee_overflow 0
		.amdhsa_exception_fp_ieee_underflow 0
		.amdhsa_exception_fp_ieee_inexact 0
		.amdhsa_exception_int_div_zero 0
	.end_amdhsa_kernel
	.section	.text._ZL9mul_mat_fIfLi64ELi11ELi6ELb1EEvPKT_PKfPKiPfiiiiiiiiiiiiiiii,"axG",@progbits,_ZL9mul_mat_fIfLi64ELi11ELi6ELb1EEvPKT_PKfPKiPfiiiiiiiiiiiiiiii,comdat
.Lfunc_end91:
	.size	_ZL9mul_mat_fIfLi64ELi11ELi6ELb1EEvPKT_PKfPKiPfiiiiiiiiiiiiiiii, .Lfunc_end91-_ZL9mul_mat_fIfLi64ELi11ELi6ELb1EEvPKT_PKfPKiPfiiiiiiiiiiiiiiii
                                        ; -- End function
	.section	.AMDGPU.csdata,"",@progbits
; Kernel info:
; codeLenInByte = 76
; NumSgprs: 36
; NumVgprs: 38
; ScratchSize: 16
; MemoryBound: 0
; FloatMode: 240
; IeeeMode: 1
; LDSByteSize: 0 bytes/workgroup (compile time only)
; SGPRBlocks: 4
; VGPRBlocks: 4
; NumSGPRsForWavesPerEU: 36
; NumVGPRsForWavesPerEU: 38
; Occupancy: 15
; WaveLimiterHint : 1
; COMPUTE_PGM_RSRC2:SCRATCH_EN: 1
; COMPUTE_PGM_RSRC2:USER_SGPR: 15
; COMPUTE_PGM_RSRC2:TRAP_HANDLER: 0
; COMPUTE_PGM_RSRC2:TGID_X_EN: 1
; COMPUTE_PGM_RSRC2:TGID_Y_EN: 0
; COMPUTE_PGM_RSRC2:TGID_Z_EN: 0
; COMPUTE_PGM_RSRC2:TIDIG_COMP_CNT: 0
	.section	.text._ZL9mul_mat_fIfLi64ELi11ELi6ELb0EEvPKT_PKfPKiPfiiiiiiiiiiiiiiii,"axG",@progbits,_ZL9mul_mat_fIfLi64ELi11ELi6ELb0EEvPKT_PKfPKiPfiiiiiiiiiiiiiiii,comdat
	.globl	_ZL9mul_mat_fIfLi64ELi11ELi6ELb0EEvPKT_PKfPKiPfiiiiiiiiiiiiiiii ; -- Begin function _ZL9mul_mat_fIfLi64ELi11ELi6ELb0EEvPKT_PKfPKiPfiiiiiiiiiiiiiiii
	.p2align	8
	.type	_ZL9mul_mat_fIfLi64ELi11ELi6ELb0EEvPKT_PKfPKiPfiiiiiiiiiiiiiiii,@function
_ZL9mul_mat_fIfLi64ELi11ELi6ELb0EEvPKT_PKfPKiPfiiiiiiiiiiiiiiii: ; @_ZL9mul_mat_fIfLi64ELi11ELi6ELb0EEvPKT_PKfPKiPfiiiiiiiiiiiiiiii
; %bb.0:
	s_add_u32 s8, s0, 0x60
	s_addc_u32 s9, s1, 0
	s_getpc_b64 s[0:1]
	s_add_u32 s0, s0, __FUNCTION__._ZL9mul_mat_fIfLi32ELi11ELi1ELb1EEvPKT_PKfPKiPfiiiiiiiiiiiiiiii@rel32@lo+4
	s_addc_u32 s1, s1, __FUNCTION__._ZL9mul_mat_fIfLi32ELi11ELi1ELb1EEvPKT_PKfPKiPfiiiiiiiiiiiiiiii@rel32@hi+12
	v_dual_mov_b32 v0, 59 :: v_dual_mov_b32 v1, s0
	v_mov_b32_e32 v2, s1
	s_mov_b32 s32, 0
	s_getpc_b64 s[2:3]
	s_add_u32 s2, s2, _ZL14no_device_codePKciS0_iS0_@rel32@lo+4
	s_addc_u32 s3, s3, _ZL14no_device_codePKciS0_iS0_@rel32@hi+12
	s_delay_alu instid0(SALU_CYCLE_1)
	s_swappc_b64 s[30:31], s[2:3]
	.section	.rodata,"a",@progbits
	.p2align	6, 0x0
	.amdhsa_kernel _ZL9mul_mat_fIfLi64ELi11ELi6ELb0EEvPKT_PKfPKiPfiiiiiiiiiiiiiiii
		.amdhsa_group_segment_fixed_size 0
		.amdhsa_private_segment_fixed_size 16
		.amdhsa_kernarg_size 352
		.amdhsa_user_sgpr_count 15
		.amdhsa_user_sgpr_dispatch_ptr 0
		.amdhsa_user_sgpr_queue_ptr 0
		.amdhsa_user_sgpr_kernarg_segment_ptr 1
		.amdhsa_user_sgpr_dispatch_id 0
		.amdhsa_user_sgpr_private_segment_size 0
		.amdhsa_wavefront_size32 1
		.amdhsa_uses_dynamic_stack 0
		.amdhsa_enable_private_segment 1
		.amdhsa_system_sgpr_workgroup_id_x 1
		.amdhsa_system_sgpr_workgroup_id_y 0
		.amdhsa_system_sgpr_workgroup_id_z 0
		.amdhsa_system_sgpr_workgroup_info 0
		.amdhsa_system_vgpr_workitem_id 0
		.amdhsa_next_free_vgpr 38
		.amdhsa_next_free_sgpr 34
		.amdhsa_reserve_vcc 1
		.amdhsa_float_round_mode_32 0
		.amdhsa_float_round_mode_16_64 0
		.amdhsa_float_denorm_mode_32 3
		.amdhsa_float_denorm_mode_16_64 3
		.amdhsa_dx10_clamp 1
		.amdhsa_ieee_mode 1
		.amdhsa_fp16_overflow 0
		.amdhsa_workgroup_processor_mode 1
		.amdhsa_memory_ordered 1
		.amdhsa_forward_progress 0
		.amdhsa_shared_vgpr_count 0
		.amdhsa_exception_fp_ieee_invalid_op 0
		.amdhsa_exception_fp_denorm_src 0
		.amdhsa_exception_fp_ieee_div_zero 0
		.amdhsa_exception_fp_ieee_overflow 0
		.amdhsa_exception_fp_ieee_underflow 0
		.amdhsa_exception_fp_ieee_inexact 0
		.amdhsa_exception_int_div_zero 0
	.end_amdhsa_kernel
	.section	.text._ZL9mul_mat_fIfLi64ELi11ELi6ELb0EEvPKT_PKfPKiPfiiiiiiiiiiiiiiii,"axG",@progbits,_ZL9mul_mat_fIfLi64ELi11ELi6ELb0EEvPKT_PKfPKiPfiiiiiiiiiiiiiiii,comdat
.Lfunc_end92:
	.size	_ZL9mul_mat_fIfLi64ELi11ELi6ELb0EEvPKT_PKfPKiPfiiiiiiiiiiiiiiii, .Lfunc_end92-_ZL9mul_mat_fIfLi64ELi11ELi6ELb0EEvPKT_PKfPKiPfiiiiiiiiiiiiiiii
                                        ; -- End function
	.section	.AMDGPU.csdata,"",@progbits
; Kernel info:
; codeLenInByte = 76
; NumSgprs: 36
; NumVgprs: 38
; ScratchSize: 16
; MemoryBound: 0
; FloatMode: 240
; IeeeMode: 1
; LDSByteSize: 0 bytes/workgroup (compile time only)
; SGPRBlocks: 4
; VGPRBlocks: 4
; NumSGPRsForWavesPerEU: 36
; NumVGPRsForWavesPerEU: 38
; Occupancy: 15
; WaveLimiterHint : 1
; COMPUTE_PGM_RSRC2:SCRATCH_EN: 1
; COMPUTE_PGM_RSRC2:USER_SGPR: 15
; COMPUTE_PGM_RSRC2:TRAP_HANDLER: 0
; COMPUTE_PGM_RSRC2:TGID_X_EN: 1
; COMPUTE_PGM_RSRC2:TGID_Y_EN: 0
; COMPUTE_PGM_RSRC2:TGID_Z_EN: 0
; COMPUTE_PGM_RSRC2:TIDIG_COMP_CNT: 0
	.section	.text._ZL13mul_mat_f_idsIfLi64ELi11ELi7EEvPKT_PKfPKiS6_S6_Pfiiiiiiiiiiiiii15HIP_vector_typeIjLj3EES9_,"axG",@progbits,_ZL13mul_mat_f_idsIfLi64ELi11ELi7EEvPKT_PKfPKiS6_S6_Pfiiiiiiiiiiiiii15HIP_vector_typeIjLj3EES9_,comdat
	.globl	_ZL13mul_mat_f_idsIfLi64ELi11ELi7EEvPKT_PKfPKiS6_S6_Pfiiiiiiiiiiiiii15HIP_vector_typeIjLj3EES9_ ; -- Begin function _ZL13mul_mat_f_idsIfLi64ELi11ELi7EEvPKT_PKfPKiS6_S6_Pfiiiiiiiiiiiiii15HIP_vector_typeIjLj3EES9_
	.p2align	8
	.type	_ZL13mul_mat_f_idsIfLi64ELi11ELi7EEvPKT_PKfPKiS6_S6_Pfiiiiiiiiiiiiii15HIP_vector_typeIjLj3EES9_,@function
_ZL13mul_mat_f_idsIfLi64ELi11ELi7EEvPKT_PKfPKiS6_S6_Pfiiiiiiiiiiiiii15HIP_vector_typeIjLj3EES9_: ; @_ZL13mul_mat_f_idsIfLi64ELi11ELi7EEvPKT_PKfPKiS6_S6_Pfiiiiiiiiiiiiii15HIP_vector_typeIjLj3EES9_
; %bb.0:
	s_add_u32 s8, s0, 0x80
	s_addc_u32 s9, s1, 0
	s_getpc_b64 s[0:1]
	s_add_u32 s0, s0, __FUNCTION__._ZL13mul_mat_f_idsIfLi32ELi11ELi1EEvPKT_PKfPKiS6_S6_Pfiiiiiiiiiiiiii15HIP_vector_typeIjLj3EES9_@rel32@lo+4
	s_addc_u32 s1, s1, __FUNCTION__._ZL13mul_mat_f_idsIfLi32ELi11ELi1EEvPKT_PKfPKiS6_S6_Pfiiiiiiiiiiiiii15HIP_vector_typeIjLj3EES9_@rel32@hi+12
	v_dual_mov_b32 v0, 0x136 :: v_dual_mov_b32 v1, s0
	v_mov_b32_e32 v2, s1
	s_mov_b32 s32, 0
	s_getpc_b64 s[2:3]
	s_add_u32 s2, s2, _ZL14no_device_codePKciS0_iS0_@rel32@lo+4
	s_addc_u32 s3, s3, _ZL14no_device_codePKciS0_iS0_@rel32@hi+12
	s_delay_alu instid0(SALU_CYCLE_1)
	s_swappc_b64 s[30:31], s[2:3]
	.section	.rodata,"a",@progbits
	.p2align	6, 0x0
	.amdhsa_kernel _ZL13mul_mat_f_idsIfLi64ELi11ELi7EEvPKT_PKfPKiS6_S6_Pfiiiiiiiiiiiiii15HIP_vector_typeIjLj3EES9_
		.amdhsa_group_segment_fixed_size 0
		.amdhsa_private_segment_fixed_size 16
		.amdhsa_kernarg_size 384
		.amdhsa_user_sgpr_count 15
		.amdhsa_user_sgpr_dispatch_ptr 0
		.amdhsa_user_sgpr_queue_ptr 0
		.amdhsa_user_sgpr_kernarg_segment_ptr 1
		.amdhsa_user_sgpr_dispatch_id 0
		.amdhsa_user_sgpr_private_segment_size 0
		.amdhsa_wavefront_size32 1
		.amdhsa_uses_dynamic_stack 0
		.amdhsa_enable_private_segment 1
		.amdhsa_system_sgpr_workgroup_id_x 1
		.amdhsa_system_sgpr_workgroup_id_y 0
		.amdhsa_system_sgpr_workgroup_id_z 0
		.amdhsa_system_sgpr_workgroup_info 0
		.amdhsa_system_vgpr_workitem_id 0
		.amdhsa_next_free_vgpr 38
		.amdhsa_next_free_sgpr 34
		.amdhsa_reserve_vcc 1
		.amdhsa_float_round_mode_32 0
		.amdhsa_float_round_mode_16_64 0
		.amdhsa_float_denorm_mode_32 3
		.amdhsa_float_denorm_mode_16_64 3
		.amdhsa_dx10_clamp 1
		.amdhsa_ieee_mode 1
		.amdhsa_fp16_overflow 0
		.amdhsa_workgroup_processor_mode 1
		.amdhsa_memory_ordered 1
		.amdhsa_forward_progress 0
		.amdhsa_shared_vgpr_count 0
		.amdhsa_exception_fp_ieee_invalid_op 0
		.amdhsa_exception_fp_denorm_src 0
		.amdhsa_exception_fp_ieee_div_zero 0
		.amdhsa_exception_fp_ieee_overflow 0
		.amdhsa_exception_fp_ieee_underflow 0
		.amdhsa_exception_fp_ieee_inexact 0
		.amdhsa_exception_int_div_zero 0
	.end_amdhsa_kernel
	.section	.text._ZL13mul_mat_f_idsIfLi64ELi11ELi7EEvPKT_PKfPKiS6_S6_Pfiiiiiiiiiiiiii15HIP_vector_typeIjLj3EES9_,"axG",@progbits,_ZL13mul_mat_f_idsIfLi64ELi11ELi7EEvPKT_PKfPKiS6_S6_Pfiiiiiiiiiiiiii15HIP_vector_typeIjLj3EES9_,comdat
.Lfunc_end93:
	.size	_ZL13mul_mat_f_idsIfLi64ELi11ELi7EEvPKT_PKfPKiS6_S6_Pfiiiiiiiiiiiiii15HIP_vector_typeIjLj3EES9_, .Lfunc_end93-_ZL13mul_mat_f_idsIfLi64ELi11ELi7EEvPKT_PKfPKiS6_S6_Pfiiiiiiiiiiiiii15HIP_vector_typeIjLj3EES9_
                                        ; -- End function
	.section	.AMDGPU.csdata,"",@progbits
; Kernel info:
; codeLenInByte = 80
; NumSgprs: 36
; NumVgprs: 38
; ScratchSize: 16
; MemoryBound: 0
; FloatMode: 240
; IeeeMode: 1
; LDSByteSize: 0 bytes/workgroup (compile time only)
; SGPRBlocks: 4
; VGPRBlocks: 4
; NumSGPRsForWavesPerEU: 36
; NumVGPRsForWavesPerEU: 38
; Occupancy: 16
; WaveLimiterHint : 1
; COMPUTE_PGM_RSRC2:SCRATCH_EN: 1
; COMPUTE_PGM_RSRC2:USER_SGPR: 15
; COMPUTE_PGM_RSRC2:TRAP_HANDLER: 0
; COMPUTE_PGM_RSRC2:TGID_X_EN: 1
; COMPUTE_PGM_RSRC2:TGID_Y_EN: 0
; COMPUTE_PGM_RSRC2:TGID_Z_EN: 0
; COMPUTE_PGM_RSRC2:TIDIG_COMP_CNT: 0
	.section	.text._ZL9mul_mat_fIfLi64ELi11ELi7ELb1EEvPKT_PKfPKiPfiiiiiiiiiiiiiiii,"axG",@progbits,_ZL9mul_mat_fIfLi64ELi11ELi7ELb1EEvPKT_PKfPKiPfiiiiiiiiiiiiiiii,comdat
	.globl	_ZL9mul_mat_fIfLi64ELi11ELi7ELb1EEvPKT_PKfPKiPfiiiiiiiiiiiiiiii ; -- Begin function _ZL9mul_mat_fIfLi64ELi11ELi7ELb1EEvPKT_PKfPKiPfiiiiiiiiiiiiiiii
	.p2align	8
	.type	_ZL9mul_mat_fIfLi64ELi11ELi7ELb1EEvPKT_PKfPKiPfiiiiiiiiiiiiiiii,@function
_ZL9mul_mat_fIfLi64ELi11ELi7ELb1EEvPKT_PKfPKiPfiiiiiiiiiiiiiiii: ; @_ZL9mul_mat_fIfLi64ELi11ELi7ELb1EEvPKT_PKfPKiPfiiiiiiiiiiiiiiii
; %bb.0:
	s_add_u32 s8, s0, 0x60
	s_addc_u32 s9, s1, 0
	s_getpc_b64 s[0:1]
	s_add_u32 s0, s0, __FUNCTION__._ZL9mul_mat_fIfLi32ELi11ELi1ELb1EEvPKT_PKfPKiPfiiiiiiiiiiiiiiii@rel32@lo+4
	s_addc_u32 s1, s1, __FUNCTION__._ZL9mul_mat_fIfLi32ELi11ELi1ELb1EEvPKT_PKfPKiPfiiiiiiiiiiiiiiii@rel32@hi+12
	v_dual_mov_b32 v0, 59 :: v_dual_mov_b32 v1, s0
	v_mov_b32_e32 v2, s1
	s_mov_b32 s32, 0
	s_getpc_b64 s[2:3]
	s_add_u32 s2, s2, _ZL14no_device_codePKciS0_iS0_@rel32@lo+4
	s_addc_u32 s3, s3, _ZL14no_device_codePKciS0_iS0_@rel32@hi+12
	s_delay_alu instid0(SALU_CYCLE_1)
	s_swappc_b64 s[30:31], s[2:3]
	.section	.rodata,"a",@progbits
	.p2align	6, 0x0
	.amdhsa_kernel _ZL9mul_mat_fIfLi64ELi11ELi7ELb1EEvPKT_PKfPKiPfiiiiiiiiiiiiiiii
		.amdhsa_group_segment_fixed_size 0
		.amdhsa_private_segment_fixed_size 16
		.amdhsa_kernarg_size 352
		.amdhsa_user_sgpr_count 15
		.amdhsa_user_sgpr_dispatch_ptr 0
		.amdhsa_user_sgpr_queue_ptr 0
		.amdhsa_user_sgpr_kernarg_segment_ptr 1
		.amdhsa_user_sgpr_dispatch_id 0
		.amdhsa_user_sgpr_private_segment_size 0
		.amdhsa_wavefront_size32 1
		.amdhsa_uses_dynamic_stack 0
		.amdhsa_enable_private_segment 1
		.amdhsa_system_sgpr_workgroup_id_x 1
		.amdhsa_system_sgpr_workgroup_id_y 0
		.amdhsa_system_sgpr_workgroup_id_z 0
		.amdhsa_system_sgpr_workgroup_info 0
		.amdhsa_system_vgpr_workitem_id 0
		.amdhsa_next_free_vgpr 38
		.amdhsa_next_free_sgpr 34
		.amdhsa_reserve_vcc 1
		.amdhsa_float_round_mode_32 0
		.amdhsa_float_round_mode_16_64 0
		.amdhsa_float_denorm_mode_32 3
		.amdhsa_float_denorm_mode_16_64 3
		.amdhsa_dx10_clamp 1
		.amdhsa_ieee_mode 1
		.amdhsa_fp16_overflow 0
		.amdhsa_workgroup_processor_mode 1
		.amdhsa_memory_ordered 1
		.amdhsa_forward_progress 0
		.amdhsa_shared_vgpr_count 0
		.amdhsa_exception_fp_ieee_invalid_op 0
		.amdhsa_exception_fp_denorm_src 0
		.amdhsa_exception_fp_ieee_div_zero 0
		.amdhsa_exception_fp_ieee_overflow 0
		.amdhsa_exception_fp_ieee_underflow 0
		.amdhsa_exception_fp_ieee_inexact 0
		.amdhsa_exception_int_div_zero 0
	.end_amdhsa_kernel
	.section	.text._ZL9mul_mat_fIfLi64ELi11ELi7ELb1EEvPKT_PKfPKiPfiiiiiiiiiiiiiiii,"axG",@progbits,_ZL9mul_mat_fIfLi64ELi11ELi7ELb1EEvPKT_PKfPKiPfiiiiiiiiiiiiiiii,comdat
.Lfunc_end94:
	.size	_ZL9mul_mat_fIfLi64ELi11ELi7ELb1EEvPKT_PKfPKiPfiiiiiiiiiiiiiiii, .Lfunc_end94-_ZL9mul_mat_fIfLi64ELi11ELi7ELb1EEvPKT_PKfPKiPfiiiiiiiiiiiiiiii
                                        ; -- End function
	.section	.AMDGPU.csdata,"",@progbits
; Kernel info:
; codeLenInByte = 76
; NumSgprs: 36
; NumVgprs: 38
; ScratchSize: 16
; MemoryBound: 0
; FloatMode: 240
; IeeeMode: 1
; LDSByteSize: 0 bytes/workgroup (compile time only)
; SGPRBlocks: 4
; VGPRBlocks: 4
; NumSGPRsForWavesPerEU: 36
; NumVGPRsForWavesPerEU: 38
; Occupancy: 16
; WaveLimiterHint : 1
; COMPUTE_PGM_RSRC2:SCRATCH_EN: 1
; COMPUTE_PGM_RSRC2:USER_SGPR: 15
; COMPUTE_PGM_RSRC2:TRAP_HANDLER: 0
; COMPUTE_PGM_RSRC2:TGID_X_EN: 1
; COMPUTE_PGM_RSRC2:TGID_Y_EN: 0
; COMPUTE_PGM_RSRC2:TGID_Z_EN: 0
; COMPUTE_PGM_RSRC2:TIDIG_COMP_CNT: 0
	.section	.text._ZL9mul_mat_fIfLi64ELi11ELi7ELb0EEvPKT_PKfPKiPfiiiiiiiiiiiiiiii,"axG",@progbits,_ZL9mul_mat_fIfLi64ELi11ELi7ELb0EEvPKT_PKfPKiPfiiiiiiiiiiiiiiii,comdat
	.globl	_ZL9mul_mat_fIfLi64ELi11ELi7ELb0EEvPKT_PKfPKiPfiiiiiiiiiiiiiiii ; -- Begin function _ZL9mul_mat_fIfLi64ELi11ELi7ELb0EEvPKT_PKfPKiPfiiiiiiiiiiiiiiii
	.p2align	8
	.type	_ZL9mul_mat_fIfLi64ELi11ELi7ELb0EEvPKT_PKfPKiPfiiiiiiiiiiiiiiii,@function
_ZL9mul_mat_fIfLi64ELi11ELi7ELb0EEvPKT_PKfPKiPfiiiiiiiiiiiiiiii: ; @_ZL9mul_mat_fIfLi64ELi11ELi7ELb0EEvPKT_PKfPKiPfiiiiiiiiiiiiiiii
; %bb.0:
	s_add_u32 s8, s0, 0x60
	s_addc_u32 s9, s1, 0
	s_getpc_b64 s[0:1]
	s_add_u32 s0, s0, __FUNCTION__._ZL9mul_mat_fIfLi32ELi11ELi1ELb1EEvPKT_PKfPKiPfiiiiiiiiiiiiiiii@rel32@lo+4
	s_addc_u32 s1, s1, __FUNCTION__._ZL9mul_mat_fIfLi32ELi11ELi1ELb1EEvPKT_PKfPKiPfiiiiiiiiiiiiiiii@rel32@hi+12
	v_dual_mov_b32 v0, 59 :: v_dual_mov_b32 v1, s0
	v_mov_b32_e32 v2, s1
	s_mov_b32 s32, 0
	s_getpc_b64 s[2:3]
	s_add_u32 s2, s2, _ZL14no_device_codePKciS0_iS0_@rel32@lo+4
	s_addc_u32 s3, s3, _ZL14no_device_codePKciS0_iS0_@rel32@hi+12
	s_delay_alu instid0(SALU_CYCLE_1)
	s_swappc_b64 s[30:31], s[2:3]
	.section	.rodata,"a",@progbits
	.p2align	6, 0x0
	.amdhsa_kernel _ZL9mul_mat_fIfLi64ELi11ELi7ELb0EEvPKT_PKfPKiPfiiiiiiiiiiiiiiii
		.amdhsa_group_segment_fixed_size 0
		.amdhsa_private_segment_fixed_size 16
		.amdhsa_kernarg_size 352
		.amdhsa_user_sgpr_count 15
		.amdhsa_user_sgpr_dispatch_ptr 0
		.amdhsa_user_sgpr_queue_ptr 0
		.amdhsa_user_sgpr_kernarg_segment_ptr 1
		.amdhsa_user_sgpr_dispatch_id 0
		.amdhsa_user_sgpr_private_segment_size 0
		.amdhsa_wavefront_size32 1
		.amdhsa_uses_dynamic_stack 0
		.amdhsa_enable_private_segment 1
		.amdhsa_system_sgpr_workgroup_id_x 1
		.amdhsa_system_sgpr_workgroup_id_y 0
		.amdhsa_system_sgpr_workgroup_id_z 0
		.amdhsa_system_sgpr_workgroup_info 0
		.amdhsa_system_vgpr_workitem_id 0
		.amdhsa_next_free_vgpr 38
		.amdhsa_next_free_sgpr 34
		.amdhsa_reserve_vcc 1
		.amdhsa_float_round_mode_32 0
		.amdhsa_float_round_mode_16_64 0
		.amdhsa_float_denorm_mode_32 3
		.amdhsa_float_denorm_mode_16_64 3
		.amdhsa_dx10_clamp 1
		.amdhsa_ieee_mode 1
		.amdhsa_fp16_overflow 0
		.amdhsa_workgroup_processor_mode 1
		.amdhsa_memory_ordered 1
		.amdhsa_forward_progress 0
		.amdhsa_shared_vgpr_count 0
		.amdhsa_exception_fp_ieee_invalid_op 0
		.amdhsa_exception_fp_denorm_src 0
		.amdhsa_exception_fp_ieee_div_zero 0
		.amdhsa_exception_fp_ieee_overflow 0
		.amdhsa_exception_fp_ieee_underflow 0
		.amdhsa_exception_fp_ieee_inexact 0
		.amdhsa_exception_int_div_zero 0
	.end_amdhsa_kernel
	.section	.text._ZL9mul_mat_fIfLi64ELi11ELi7ELb0EEvPKT_PKfPKiPfiiiiiiiiiiiiiiii,"axG",@progbits,_ZL9mul_mat_fIfLi64ELi11ELi7ELb0EEvPKT_PKfPKiPfiiiiiiiiiiiiiiii,comdat
.Lfunc_end95:
	.size	_ZL9mul_mat_fIfLi64ELi11ELi7ELb0EEvPKT_PKfPKiPfiiiiiiiiiiiiiiii, .Lfunc_end95-_ZL9mul_mat_fIfLi64ELi11ELi7ELb0EEvPKT_PKfPKiPfiiiiiiiiiiiiiiii
                                        ; -- End function
	.section	.AMDGPU.csdata,"",@progbits
; Kernel info:
; codeLenInByte = 76
; NumSgprs: 36
; NumVgprs: 38
; ScratchSize: 16
; MemoryBound: 0
; FloatMode: 240
; IeeeMode: 1
; LDSByteSize: 0 bytes/workgroup (compile time only)
; SGPRBlocks: 4
; VGPRBlocks: 4
; NumSGPRsForWavesPerEU: 36
; NumVGPRsForWavesPerEU: 38
; Occupancy: 16
; WaveLimiterHint : 1
; COMPUTE_PGM_RSRC2:SCRATCH_EN: 1
; COMPUTE_PGM_RSRC2:USER_SGPR: 15
; COMPUTE_PGM_RSRC2:TRAP_HANDLER: 0
; COMPUTE_PGM_RSRC2:TGID_X_EN: 1
; COMPUTE_PGM_RSRC2:TGID_Y_EN: 0
; COMPUTE_PGM_RSRC2:TGID_Z_EN: 0
; COMPUTE_PGM_RSRC2:TIDIG_COMP_CNT: 0
	.section	.text._ZL13mul_mat_f_idsIfLi64ELi11ELi8EEvPKT_PKfPKiS6_S6_Pfiiiiiiiiiiiiii15HIP_vector_typeIjLj3EES9_,"axG",@progbits,_ZL13mul_mat_f_idsIfLi64ELi11ELi8EEvPKT_PKfPKiS6_S6_Pfiiiiiiiiiiiiii15HIP_vector_typeIjLj3EES9_,comdat
	.globl	_ZL13mul_mat_f_idsIfLi64ELi11ELi8EEvPKT_PKfPKiS6_S6_Pfiiiiiiiiiiiiii15HIP_vector_typeIjLj3EES9_ ; -- Begin function _ZL13mul_mat_f_idsIfLi64ELi11ELi8EEvPKT_PKfPKiS6_S6_Pfiiiiiiiiiiiiii15HIP_vector_typeIjLj3EES9_
	.p2align	8
	.type	_ZL13mul_mat_f_idsIfLi64ELi11ELi8EEvPKT_PKfPKiS6_S6_Pfiiiiiiiiiiiiii15HIP_vector_typeIjLj3EES9_,@function
_ZL13mul_mat_f_idsIfLi64ELi11ELi8EEvPKT_PKfPKiS6_S6_Pfiiiiiiiiiiiiii15HIP_vector_typeIjLj3EES9_: ; @_ZL13mul_mat_f_idsIfLi64ELi11ELi8EEvPKT_PKfPKiS6_S6_Pfiiiiiiiiiiiiii15HIP_vector_typeIjLj3EES9_
; %bb.0:
	s_add_u32 s8, s0, 0x80
	s_addc_u32 s9, s1, 0
	s_getpc_b64 s[0:1]
	s_add_u32 s0, s0, __FUNCTION__._ZL13mul_mat_f_idsIfLi32ELi11ELi1EEvPKT_PKfPKiS6_S6_Pfiiiiiiiiiiiiii15HIP_vector_typeIjLj3EES9_@rel32@lo+4
	s_addc_u32 s1, s1, __FUNCTION__._ZL13mul_mat_f_idsIfLi32ELi11ELi1EEvPKT_PKfPKiS6_S6_Pfiiiiiiiiiiiiii15HIP_vector_typeIjLj3EES9_@rel32@hi+12
	v_dual_mov_b32 v0, 0x136 :: v_dual_mov_b32 v1, s0
	v_mov_b32_e32 v2, s1
	s_mov_b32 s32, 0
	s_getpc_b64 s[2:3]
	s_add_u32 s2, s2, _ZL14no_device_codePKciS0_iS0_@rel32@lo+4
	s_addc_u32 s3, s3, _ZL14no_device_codePKciS0_iS0_@rel32@hi+12
	s_delay_alu instid0(SALU_CYCLE_1)
	s_swappc_b64 s[30:31], s[2:3]
	.section	.rodata,"a",@progbits
	.p2align	6, 0x0
	.amdhsa_kernel _ZL13mul_mat_f_idsIfLi64ELi11ELi8EEvPKT_PKfPKiS6_S6_Pfiiiiiiiiiiiiii15HIP_vector_typeIjLj3EES9_
		.amdhsa_group_segment_fixed_size 0
		.amdhsa_private_segment_fixed_size 16
		.amdhsa_kernarg_size 384
		.amdhsa_user_sgpr_count 15
		.amdhsa_user_sgpr_dispatch_ptr 0
		.amdhsa_user_sgpr_queue_ptr 0
		.amdhsa_user_sgpr_kernarg_segment_ptr 1
		.amdhsa_user_sgpr_dispatch_id 0
		.amdhsa_user_sgpr_private_segment_size 0
		.amdhsa_wavefront_size32 1
		.amdhsa_uses_dynamic_stack 0
		.amdhsa_enable_private_segment 1
		.amdhsa_system_sgpr_workgroup_id_x 1
		.amdhsa_system_sgpr_workgroup_id_y 0
		.amdhsa_system_sgpr_workgroup_id_z 0
		.amdhsa_system_sgpr_workgroup_info 0
		.amdhsa_system_vgpr_workitem_id 0
		.amdhsa_next_free_vgpr 38
		.amdhsa_next_free_sgpr 34
		.amdhsa_reserve_vcc 1
		.amdhsa_float_round_mode_32 0
		.amdhsa_float_round_mode_16_64 0
		.amdhsa_float_denorm_mode_32 3
		.amdhsa_float_denorm_mode_16_64 3
		.amdhsa_dx10_clamp 1
		.amdhsa_ieee_mode 1
		.amdhsa_fp16_overflow 0
		.amdhsa_workgroup_processor_mode 1
		.amdhsa_memory_ordered 1
		.amdhsa_forward_progress 0
		.amdhsa_shared_vgpr_count 0
		.amdhsa_exception_fp_ieee_invalid_op 0
		.amdhsa_exception_fp_denorm_src 0
		.amdhsa_exception_fp_ieee_div_zero 0
		.amdhsa_exception_fp_ieee_overflow 0
		.amdhsa_exception_fp_ieee_underflow 0
		.amdhsa_exception_fp_ieee_inexact 0
		.amdhsa_exception_int_div_zero 0
	.end_amdhsa_kernel
	.section	.text._ZL13mul_mat_f_idsIfLi64ELi11ELi8EEvPKT_PKfPKiS6_S6_Pfiiiiiiiiiiiiii15HIP_vector_typeIjLj3EES9_,"axG",@progbits,_ZL13mul_mat_f_idsIfLi64ELi11ELi8EEvPKT_PKfPKiS6_S6_Pfiiiiiiiiiiiiii15HIP_vector_typeIjLj3EES9_,comdat
.Lfunc_end96:
	.size	_ZL13mul_mat_f_idsIfLi64ELi11ELi8EEvPKT_PKfPKiS6_S6_Pfiiiiiiiiiiiiii15HIP_vector_typeIjLj3EES9_, .Lfunc_end96-_ZL13mul_mat_f_idsIfLi64ELi11ELi8EEvPKT_PKfPKiS6_S6_Pfiiiiiiiiiiiiii15HIP_vector_typeIjLj3EES9_
                                        ; -- End function
	.section	.AMDGPU.csdata,"",@progbits
; Kernel info:
; codeLenInByte = 80
; NumSgprs: 36
; NumVgprs: 38
; ScratchSize: 16
; MemoryBound: 0
; FloatMode: 240
; IeeeMode: 1
; LDSByteSize: 0 bytes/workgroup (compile time only)
; SGPRBlocks: 4
; VGPRBlocks: 4
; NumSGPRsForWavesPerEU: 36
; NumVGPRsForWavesPerEU: 38
; Occupancy: 16
; WaveLimiterHint : 1
; COMPUTE_PGM_RSRC2:SCRATCH_EN: 1
; COMPUTE_PGM_RSRC2:USER_SGPR: 15
; COMPUTE_PGM_RSRC2:TRAP_HANDLER: 0
; COMPUTE_PGM_RSRC2:TGID_X_EN: 1
; COMPUTE_PGM_RSRC2:TGID_Y_EN: 0
; COMPUTE_PGM_RSRC2:TGID_Z_EN: 0
; COMPUTE_PGM_RSRC2:TIDIG_COMP_CNT: 0
	.section	.text._ZL9mul_mat_fIfLi64ELi11ELi8ELb1EEvPKT_PKfPKiPfiiiiiiiiiiiiiiii,"axG",@progbits,_ZL9mul_mat_fIfLi64ELi11ELi8ELb1EEvPKT_PKfPKiPfiiiiiiiiiiiiiiii,comdat
	.globl	_ZL9mul_mat_fIfLi64ELi11ELi8ELb1EEvPKT_PKfPKiPfiiiiiiiiiiiiiiii ; -- Begin function _ZL9mul_mat_fIfLi64ELi11ELi8ELb1EEvPKT_PKfPKiPfiiiiiiiiiiiiiiii
	.p2align	8
	.type	_ZL9mul_mat_fIfLi64ELi11ELi8ELb1EEvPKT_PKfPKiPfiiiiiiiiiiiiiiii,@function
_ZL9mul_mat_fIfLi64ELi11ELi8ELb1EEvPKT_PKfPKiPfiiiiiiiiiiiiiiii: ; @_ZL9mul_mat_fIfLi64ELi11ELi8ELb1EEvPKT_PKfPKiPfiiiiiiiiiiiiiiii
; %bb.0:
	s_add_u32 s8, s0, 0x60
	s_addc_u32 s9, s1, 0
	s_getpc_b64 s[0:1]
	s_add_u32 s0, s0, __FUNCTION__._ZL9mul_mat_fIfLi32ELi11ELi1ELb1EEvPKT_PKfPKiPfiiiiiiiiiiiiiiii@rel32@lo+4
	s_addc_u32 s1, s1, __FUNCTION__._ZL9mul_mat_fIfLi32ELi11ELi1ELb1EEvPKT_PKfPKiPfiiiiiiiiiiiiiiii@rel32@hi+12
	v_dual_mov_b32 v0, 59 :: v_dual_mov_b32 v1, s0
	v_mov_b32_e32 v2, s1
	s_mov_b32 s32, 0
	s_getpc_b64 s[2:3]
	s_add_u32 s2, s2, _ZL14no_device_codePKciS0_iS0_@rel32@lo+4
	s_addc_u32 s3, s3, _ZL14no_device_codePKciS0_iS0_@rel32@hi+12
	s_delay_alu instid0(SALU_CYCLE_1)
	s_swappc_b64 s[30:31], s[2:3]
	.section	.rodata,"a",@progbits
	.p2align	6, 0x0
	.amdhsa_kernel _ZL9mul_mat_fIfLi64ELi11ELi8ELb1EEvPKT_PKfPKiPfiiiiiiiiiiiiiiii
		.amdhsa_group_segment_fixed_size 0
		.amdhsa_private_segment_fixed_size 16
		.amdhsa_kernarg_size 352
		.amdhsa_user_sgpr_count 15
		.amdhsa_user_sgpr_dispatch_ptr 0
		.amdhsa_user_sgpr_queue_ptr 0
		.amdhsa_user_sgpr_kernarg_segment_ptr 1
		.amdhsa_user_sgpr_dispatch_id 0
		.amdhsa_user_sgpr_private_segment_size 0
		.amdhsa_wavefront_size32 1
		.amdhsa_uses_dynamic_stack 0
		.amdhsa_enable_private_segment 1
		.amdhsa_system_sgpr_workgroup_id_x 1
		.amdhsa_system_sgpr_workgroup_id_y 0
		.amdhsa_system_sgpr_workgroup_id_z 0
		.amdhsa_system_sgpr_workgroup_info 0
		.amdhsa_system_vgpr_workitem_id 0
		.amdhsa_next_free_vgpr 38
		.amdhsa_next_free_sgpr 34
		.amdhsa_reserve_vcc 1
		.amdhsa_float_round_mode_32 0
		.amdhsa_float_round_mode_16_64 0
		.amdhsa_float_denorm_mode_32 3
		.amdhsa_float_denorm_mode_16_64 3
		.amdhsa_dx10_clamp 1
		.amdhsa_ieee_mode 1
		.amdhsa_fp16_overflow 0
		.amdhsa_workgroup_processor_mode 1
		.amdhsa_memory_ordered 1
		.amdhsa_forward_progress 0
		.amdhsa_shared_vgpr_count 0
		.amdhsa_exception_fp_ieee_invalid_op 0
		.amdhsa_exception_fp_denorm_src 0
		.amdhsa_exception_fp_ieee_div_zero 0
		.amdhsa_exception_fp_ieee_overflow 0
		.amdhsa_exception_fp_ieee_underflow 0
		.amdhsa_exception_fp_ieee_inexact 0
		.amdhsa_exception_int_div_zero 0
	.end_amdhsa_kernel
	.section	.text._ZL9mul_mat_fIfLi64ELi11ELi8ELb1EEvPKT_PKfPKiPfiiiiiiiiiiiiiiii,"axG",@progbits,_ZL9mul_mat_fIfLi64ELi11ELi8ELb1EEvPKT_PKfPKiPfiiiiiiiiiiiiiiii,comdat
.Lfunc_end97:
	.size	_ZL9mul_mat_fIfLi64ELi11ELi8ELb1EEvPKT_PKfPKiPfiiiiiiiiiiiiiiii, .Lfunc_end97-_ZL9mul_mat_fIfLi64ELi11ELi8ELb1EEvPKT_PKfPKiPfiiiiiiiiiiiiiiii
                                        ; -- End function
	.section	.AMDGPU.csdata,"",@progbits
; Kernel info:
; codeLenInByte = 76
; NumSgprs: 36
; NumVgprs: 38
; ScratchSize: 16
; MemoryBound: 0
; FloatMode: 240
; IeeeMode: 1
; LDSByteSize: 0 bytes/workgroup (compile time only)
; SGPRBlocks: 4
; VGPRBlocks: 4
; NumSGPRsForWavesPerEU: 36
; NumVGPRsForWavesPerEU: 38
; Occupancy: 16
; WaveLimiterHint : 1
; COMPUTE_PGM_RSRC2:SCRATCH_EN: 1
; COMPUTE_PGM_RSRC2:USER_SGPR: 15
; COMPUTE_PGM_RSRC2:TRAP_HANDLER: 0
; COMPUTE_PGM_RSRC2:TGID_X_EN: 1
; COMPUTE_PGM_RSRC2:TGID_Y_EN: 0
; COMPUTE_PGM_RSRC2:TGID_Z_EN: 0
; COMPUTE_PGM_RSRC2:TIDIG_COMP_CNT: 0
	.section	.text._ZL9mul_mat_fIfLi64ELi11ELi8ELb0EEvPKT_PKfPKiPfiiiiiiiiiiiiiiii,"axG",@progbits,_ZL9mul_mat_fIfLi64ELi11ELi8ELb0EEvPKT_PKfPKiPfiiiiiiiiiiiiiiii,comdat
	.globl	_ZL9mul_mat_fIfLi64ELi11ELi8ELb0EEvPKT_PKfPKiPfiiiiiiiiiiiiiiii ; -- Begin function _ZL9mul_mat_fIfLi64ELi11ELi8ELb0EEvPKT_PKfPKiPfiiiiiiiiiiiiiiii
	.p2align	8
	.type	_ZL9mul_mat_fIfLi64ELi11ELi8ELb0EEvPKT_PKfPKiPfiiiiiiiiiiiiiiii,@function
_ZL9mul_mat_fIfLi64ELi11ELi8ELb0EEvPKT_PKfPKiPfiiiiiiiiiiiiiiii: ; @_ZL9mul_mat_fIfLi64ELi11ELi8ELb0EEvPKT_PKfPKiPfiiiiiiiiiiiiiiii
; %bb.0:
	s_add_u32 s8, s0, 0x60
	s_addc_u32 s9, s1, 0
	s_getpc_b64 s[0:1]
	s_add_u32 s0, s0, __FUNCTION__._ZL9mul_mat_fIfLi32ELi11ELi1ELb1EEvPKT_PKfPKiPfiiiiiiiiiiiiiiii@rel32@lo+4
	s_addc_u32 s1, s1, __FUNCTION__._ZL9mul_mat_fIfLi32ELi11ELi1ELb1EEvPKT_PKfPKiPfiiiiiiiiiiiiiiii@rel32@hi+12
	v_dual_mov_b32 v0, 59 :: v_dual_mov_b32 v1, s0
	v_mov_b32_e32 v2, s1
	s_mov_b32 s32, 0
	s_getpc_b64 s[2:3]
	s_add_u32 s2, s2, _ZL14no_device_codePKciS0_iS0_@rel32@lo+4
	s_addc_u32 s3, s3, _ZL14no_device_codePKciS0_iS0_@rel32@hi+12
	s_delay_alu instid0(SALU_CYCLE_1)
	s_swappc_b64 s[30:31], s[2:3]
	.section	.rodata,"a",@progbits
	.p2align	6, 0x0
	.amdhsa_kernel _ZL9mul_mat_fIfLi64ELi11ELi8ELb0EEvPKT_PKfPKiPfiiiiiiiiiiiiiiii
		.amdhsa_group_segment_fixed_size 0
		.amdhsa_private_segment_fixed_size 16
		.amdhsa_kernarg_size 352
		.amdhsa_user_sgpr_count 15
		.amdhsa_user_sgpr_dispatch_ptr 0
		.amdhsa_user_sgpr_queue_ptr 0
		.amdhsa_user_sgpr_kernarg_segment_ptr 1
		.amdhsa_user_sgpr_dispatch_id 0
		.amdhsa_user_sgpr_private_segment_size 0
		.amdhsa_wavefront_size32 1
		.amdhsa_uses_dynamic_stack 0
		.amdhsa_enable_private_segment 1
		.amdhsa_system_sgpr_workgroup_id_x 1
		.amdhsa_system_sgpr_workgroup_id_y 0
		.amdhsa_system_sgpr_workgroup_id_z 0
		.amdhsa_system_sgpr_workgroup_info 0
		.amdhsa_system_vgpr_workitem_id 0
		.amdhsa_next_free_vgpr 38
		.amdhsa_next_free_sgpr 34
		.amdhsa_reserve_vcc 1
		.amdhsa_float_round_mode_32 0
		.amdhsa_float_round_mode_16_64 0
		.amdhsa_float_denorm_mode_32 3
		.amdhsa_float_denorm_mode_16_64 3
		.amdhsa_dx10_clamp 1
		.amdhsa_ieee_mode 1
		.amdhsa_fp16_overflow 0
		.amdhsa_workgroup_processor_mode 1
		.amdhsa_memory_ordered 1
		.amdhsa_forward_progress 0
		.amdhsa_shared_vgpr_count 0
		.amdhsa_exception_fp_ieee_invalid_op 0
		.amdhsa_exception_fp_denorm_src 0
		.amdhsa_exception_fp_ieee_div_zero 0
		.amdhsa_exception_fp_ieee_overflow 0
		.amdhsa_exception_fp_ieee_underflow 0
		.amdhsa_exception_fp_ieee_inexact 0
		.amdhsa_exception_int_div_zero 0
	.end_amdhsa_kernel
	.section	.text._ZL9mul_mat_fIfLi64ELi11ELi8ELb0EEvPKT_PKfPKiPfiiiiiiiiiiiiiiii,"axG",@progbits,_ZL9mul_mat_fIfLi64ELi11ELi8ELb0EEvPKT_PKfPKiPfiiiiiiiiiiiiiiii,comdat
.Lfunc_end98:
	.size	_ZL9mul_mat_fIfLi64ELi11ELi8ELb0EEvPKT_PKfPKiPfiiiiiiiiiiiiiiii, .Lfunc_end98-_ZL9mul_mat_fIfLi64ELi11ELi8ELb0EEvPKT_PKfPKiPfiiiiiiiiiiiiiiii
                                        ; -- End function
	.section	.AMDGPU.csdata,"",@progbits
; Kernel info:
; codeLenInByte = 76
; NumSgprs: 36
; NumVgprs: 38
; ScratchSize: 16
; MemoryBound: 0
; FloatMode: 240
; IeeeMode: 1
; LDSByteSize: 0 bytes/workgroup (compile time only)
; SGPRBlocks: 4
; VGPRBlocks: 4
; NumSGPRsForWavesPerEU: 36
; NumVGPRsForWavesPerEU: 38
; Occupancy: 16
; WaveLimiterHint : 1
; COMPUTE_PGM_RSRC2:SCRATCH_EN: 1
; COMPUTE_PGM_RSRC2:USER_SGPR: 15
; COMPUTE_PGM_RSRC2:TRAP_HANDLER: 0
; COMPUTE_PGM_RSRC2:TGID_X_EN: 1
; COMPUTE_PGM_RSRC2:TGID_Y_EN: 0
; COMPUTE_PGM_RSRC2:TGID_Z_EN: 0
; COMPUTE_PGM_RSRC2:TIDIG_COMP_CNT: 0
	.section	.text._ZL13mul_mat_f_idsI7__half2Li64ELi11ELi1EEvPKT_PKfPKiS7_S7_Pfiiiiiiiiiiiiii15HIP_vector_typeIjLj3EESA_,"axG",@progbits,_ZL13mul_mat_f_idsI7__half2Li64ELi11ELi1EEvPKT_PKfPKiS7_S7_Pfiiiiiiiiiiiiii15HIP_vector_typeIjLj3EESA_,comdat
	.globl	_ZL13mul_mat_f_idsI7__half2Li64ELi11ELi1EEvPKT_PKfPKiS7_S7_Pfiiiiiiiiiiiiii15HIP_vector_typeIjLj3EESA_ ; -- Begin function _ZL13mul_mat_f_idsI7__half2Li64ELi11ELi1EEvPKT_PKfPKiS7_S7_Pfiiiiiiiiiiiiii15HIP_vector_typeIjLj3EESA_
	.p2align	8
	.type	_ZL13mul_mat_f_idsI7__half2Li64ELi11ELi1EEvPKT_PKfPKiS7_S7_Pfiiiiiiiiiiiiii15HIP_vector_typeIjLj3EESA_,@function
_ZL13mul_mat_f_idsI7__half2Li64ELi11ELi1EEvPKT_PKfPKiS7_S7_Pfiiiiiiiiiiiiii15HIP_vector_typeIjLj3EESA_: ; @_ZL13mul_mat_f_idsI7__half2Li64ELi11ELi1EEvPKT_PKfPKiS7_S7_Pfiiiiiiiiiiiiii15HIP_vector_typeIjLj3EESA_
; %bb.0:
	s_add_u32 s8, s0, 0x80
	s_addc_u32 s9, s1, 0
	s_getpc_b64 s[0:1]
	s_add_u32 s0, s0, __FUNCTION__._ZL13mul_mat_f_idsIfLi32ELi11ELi1EEvPKT_PKfPKiS6_S6_Pfiiiiiiiiiiiiii15HIP_vector_typeIjLj3EES9_@rel32@lo+4
	s_addc_u32 s1, s1, __FUNCTION__._ZL13mul_mat_f_idsIfLi32ELi11ELi1EEvPKT_PKfPKiS6_S6_Pfiiiiiiiiiiiiii15HIP_vector_typeIjLj3EES9_@rel32@hi+12
	v_dual_mov_b32 v0, 0x136 :: v_dual_mov_b32 v1, s0
	v_mov_b32_e32 v2, s1
	s_mov_b32 s32, 0
	s_getpc_b64 s[2:3]
	s_add_u32 s2, s2, _ZL14no_device_codePKciS0_iS0_@rel32@lo+4
	s_addc_u32 s3, s3, _ZL14no_device_codePKciS0_iS0_@rel32@hi+12
	s_delay_alu instid0(SALU_CYCLE_1)
	s_swappc_b64 s[30:31], s[2:3]
	.section	.rodata,"a",@progbits
	.p2align	6, 0x0
	.amdhsa_kernel _ZL13mul_mat_f_idsI7__half2Li64ELi11ELi1EEvPKT_PKfPKiS7_S7_Pfiiiiiiiiiiiiii15HIP_vector_typeIjLj3EESA_
		.amdhsa_group_segment_fixed_size 0
		.amdhsa_private_segment_fixed_size 16
		.amdhsa_kernarg_size 384
		.amdhsa_user_sgpr_count 15
		.amdhsa_user_sgpr_dispatch_ptr 0
		.amdhsa_user_sgpr_queue_ptr 0
		.amdhsa_user_sgpr_kernarg_segment_ptr 1
		.amdhsa_user_sgpr_dispatch_id 0
		.amdhsa_user_sgpr_private_segment_size 0
		.amdhsa_wavefront_size32 1
		.amdhsa_uses_dynamic_stack 0
		.amdhsa_enable_private_segment 1
		.amdhsa_system_sgpr_workgroup_id_x 1
		.amdhsa_system_sgpr_workgroup_id_y 0
		.amdhsa_system_sgpr_workgroup_id_z 0
		.amdhsa_system_sgpr_workgroup_info 0
		.amdhsa_system_vgpr_workitem_id 0
		.amdhsa_next_free_vgpr 38
		.amdhsa_next_free_sgpr 34
		.amdhsa_reserve_vcc 1
		.amdhsa_float_round_mode_32 0
		.amdhsa_float_round_mode_16_64 0
		.amdhsa_float_denorm_mode_32 3
		.amdhsa_float_denorm_mode_16_64 3
		.amdhsa_dx10_clamp 1
		.amdhsa_ieee_mode 1
		.amdhsa_fp16_overflow 0
		.amdhsa_workgroup_processor_mode 1
		.amdhsa_memory_ordered 1
		.amdhsa_forward_progress 0
		.amdhsa_shared_vgpr_count 0
		.amdhsa_exception_fp_ieee_invalid_op 0
		.amdhsa_exception_fp_denorm_src 0
		.amdhsa_exception_fp_ieee_div_zero 0
		.amdhsa_exception_fp_ieee_overflow 0
		.amdhsa_exception_fp_ieee_underflow 0
		.amdhsa_exception_fp_ieee_inexact 0
		.amdhsa_exception_int_div_zero 0
	.end_amdhsa_kernel
	.section	.text._ZL13mul_mat_f_idsI7__half2Li64ELi11ELi1EEvPKT_PKfPKiS7_S7_Pfiiiiiiiiiiiiii15HIP_vector_typeIjLj3EESA_,"axG",@progbits,_ZL13mul_mat_f_idsI7__half2Li64ELi11ELi1EEvPKT_PKfPKiS7_S7_Pfiiiiiiiiiiiiii15HIP_vector_typeIjLj3EESA_,comdat
.Lfunc_end99:
	.size	_ZL13mul_mat_f_idsI7__half2Li64ELi11ELi1EEvPKT_PKfPKiS7_S7_Pfiiiiiiiiiiiiii15HIP_vector_typeIjLj3EESA_, .Lfunc_end99-_ZL13mul_mat_f_idsI7__half2Li64ELi11ELi1EEvPKT_PKfPKiS7_S7_Pfiiiiiiiiiiiiii15HIP_vector_typeIjLj3EESA_
                                        ; -- End function
	.section	.AMDGPU.csdata,"",@progbits
; Kernel info:
; codeLenInByte = 80
; NumSgprs: 36
; NumVgprs: 38
; ScratchSize: 16
; MemoryBound: 0
; FloatMode: 240
; IeeeMode: 1
; LDSByteSize: 0 bytes/workgroup (compile time only)
; SGPRBlocks: 4
; VGPRBlocks: 4
; NumSGPRsForWavesPerEU: 36
; NumVGPRsForWavesPerEU: 38
; Occupancy: 16
; WaveLimiterHint : 1
; COMPUTE_PGM_RSRC2:SCRATCH_EN: 1
; COMPUTE_PGM_RSRC2:USER_SGPR: 15
; COMPUTE_PGM_RSRC2:TRAP_HANDLER: 0
; COMPUTE_PGM_RSRC2:TGID_X_EN: 1
; COMPUTE_PGM_RSRC2:TGID_Y_EN: 0
; COMPUTE_PGM_RSRC2:TGID_Z_EN: 0
; COMPUTE_PGM_RSRC2:TIDIG_COMP_CNT: 0
	.section	.text._ZL9mul_mat_fI7__half2Li64ELi11ELi1ELb1EEvPKT_PKfPKiPfiiiiiiiiiiiiiiii,"axG",@progbits,_ZL9mul_mat_fI7__half2Li64ELi11ELi1ELb1EEvPKT_PKfPKiPfiiiiiiiiiiiiiiii,comdat
	.globl	_ZL9mul_mat_fI7__half2Li64ELi11ELi1ELb1EEvPKT_PKfPKiPfiiiiiiiiiiiiiiii ; -- Begin function _ZL9mul_mat_fI7__half2Li64ELi11ELi1ELb1EEvPKT_PKfPKiPfiiiiiiiiiiiiiiii
	.p2align	8
	.type	_ZL9mul_mat_fI7__half2Li64ELi11ELi1ELb1EEvPKT_PKfPKiPfiiiiiiiiiiiiiiii,@function
_ZL9mul_mat_fI7__half2Li64ELi11ELi1ELb1EEvPKT_PKfPKiPfiiiiiiiiiiiiiiii: ; @_ZL9mul_mat_fI7__half2Li64ELi11ELi1ELb1EEvPKT_PKfPKiPfiiiiiiiiiiiiiiii
; %bb.0:
	s_add_u32 s8, s0, 0x60
	s_addc_u32 s9, s1, 0
	s_getpc_b64 s[0:1]
	s_add_u32 s0, s0, __FUNCTION__._ZL9mul_mat_fIfLi32ELi11ELi1ELb1EEvPKT_PKfPKiPfiiiiiiiiiiiiiiii@rel32@lo+4
	s_addc_u32 s1, s1, __FUNCTION__._ZL9mul_mat_fIfLi32ELi11ELi1ELb1EEvPKT_PKfPKiPfiiiiiiiiiiiiiiii@rel32@hi+12
	v_dual_mov_b32 v0, 59 :: v_dual_mov_b32 v1, s0
	v_mov_b32_e32 v2, s1
	s_mov_b32 s32, 0
	s_getpc_b64 s[2:3]
	s_add_u32 s2, s2, _ZL14no_device_codePKciS0_iS0_@rel32@lo+4
	s_addc_u32 s3, s3, _ZL14no_device_codePKciS0_iS0_@rel32@hi+12
	s_delay_alu instid0(SALU_CYCLE_1)
	s_swappc_b64 s[30:31], s[2:3]
	.section	.rodata,"a",@progbits
	.p2align	6, 0x0
	.amdhsa_kernel _ZL9mul_mat_fI7__half2Li64ELi11ELi1ELb1EEvPKT_PKfPKiPfiiiiiiiiiiiiiiii
		.amdhsa_group_segment_fixed_size 0
		.amdhsa_private_segment_fixed_size 16
		.amdhsa_kernarg_size 352
		.amdhsa_user_sgpr_count 15
		.amdhsa_user_sgpr_dispatch_ptr 0
		.amdhsa_user_sgpr_queue_ptr 0
		.amdhsa_user_sgpr_kernarg_segment_ptr 1
		.amdhsa_user_sgpr_dispatch_id 0
		.amdhsa_user_sgpr_private_segment_size 0
		.amdhsa_wavefront_size32 1
		.amdhsa_uses_dynamic_stack 0
		.amdhsa_enable_private_segment 1
		.amdhsa_system_sgpr_workgroup_id_x 1
		.amdhsa_system_sgpr_workgroup_id_y 0
		.amdhsa_system_sgpr_workgroup_id_z 0
		.amdhsa_system_sgpr_workgroup_info 0
		.amdhsa_system_vgpr_workitem_id 0
		.amdhsa_next_free_vgpr 38
		.amdhsa_next_free_sgpr 34
		.amdhsa_reserve_vcc 1
		.amdhsa_float_round_mode_32 0
		.amdhsa_float_round_mode_16_64 0
		.amdhsa_float_denorm_mode_32 3
		.amdhsa_float_denorm_mode_16_64 3
		.amdhsa_dx10_clamp 1
		.amdhsa_ieee_mode 1
		.amdhsa_fp16_overflow 0
		.amdhsa_workgroup_processor_mode 1
		.amdhsa_memory_ordered 1
		.amdhsa_forward_progress 0
		.amdhsa_shared_vgpr_count 0
		.amdhsa_exception_fp_ieee_invalid_op 0
		.amdhsa_exception_fp_denorm_src 0
		.amdhsa_exception_fp_ieee_div_zero 0
		.amdhsa_exception_fp_ieee_overflow 0
		.amdhsa_exception_fp_ieee_underflow 0
		.amdhsa_exception_fp_ieee_inexact 0
		.amdhsa_exception_int_div_zero 0
	.end_amdhsa_kernel
	.section	.text._ZL9mul_mat_fI7__half2Li64ELi11ELi1ELb1EEvPKT_PKfPKiPfiiiiiiiiiiiiiiii,"axG",@progbits,_ZL9mul_mat_fI7__half2Li64ELi11ELi1ELb1EEvPKT_PKfPKiPfiiiiiiiiiiiiiiii,comdat
.Lfunc_end100:
	.size	_ZL9mul_mat_fI7__half2Li64ELi11ELi1ELb1EEvPKT_PKfPKiPfiiiiiiiiiiiiiiii, .Lfunc_end100-_ZL9mul_mat_fI7__half2Li64ELi11ELi1ELb1EEvPKT_PKfPKiPfiiiiiiiiiiiiiiii
                                        ; -- End function
	.section	.AMDGPU.csdata,"",@progbits
; Kernel info:
; codeLenInByte = 76
; NumSgprs: 36
; NumVgprs: 38
; ScratchSize: 16
; MemoryBound: 0
; FloatMode: 240
; IeeeMode: 1
; LDSByteSize: 0 bytes/workgroup (compile time only)
; SGPRBlocks: 4
; VGPRBlocks: 4
; NumSGPRsForWavesPerEU: 36
; NumVGPRsForWavesPerEU: 38
; Occupancy: 16
; WaveLimiterHint : 1
; COMPUTE_PGM_RSRC2:SCRATCH_EN: 1
; COMPUTE_PGM_RSRC2:USER_SGPR: 15
; COMPUTE_PGM_RSRC2:TRAP_HANDLER: 0
; COMPUTE_PGM_RSRC2:TGID_X_EN: 1
; COMPUTE_PGM_RSRC2:TGID_Y_EN: 0
; COMPUTE_PGM_RSRC2:TGID_Z_EN: 0
; COMPUTE_PGM_RSRC2:TIDIG_COMP_CNT: 0
	.section	.text._ZL9mul_mat_fI7__half2Li64ELi11ELi1ELb0EEvPKT_PKfPKiPfiiiiiiiiiiiiiiii,"axG",@progbits,_ZL9mul_mat_fI7__half2Li64ELi11ELi1ELb0EEvPKT_PKfPKiPfiiiiiiiiiiiiiiii,comdat
	.globl	_ZL9mul_mat_fI7__half2Li64ELi11ELi1ELb0EEvPKT_PKfPKiPfiiiiiiiiiiiiiiii ; -- Begin function _ZL9mul_mat_fI7__half2Li64ELi11ELi1ELb0EEvPKT_PKfPKiPfiiiiiiiiiiiiiiii
	.p2align	8
	.type	_ZL9mul_mat_fI7__half2Li64ELi11ELi1ELb0EEvPKT_PKfPKiPfiiiiiiiiiiiiiiii,@function
_ZL9mul_mat_fI7__half2Li64ELi11ELi1ELb0EEvPKT_PKfPKiPfiiiiiiiiiiiiiiii: ; @_ZL9mul_mat_fI7__half2Li64ELi11ELi1ELb0EEvPKT_PKfPKiPfiiiiiiiiiiiiiiii
; %bb.0:
	s_add_u32 s8, s0, 0x60
	s_addc_u32 s9, s1, 0
	s_getpc_b64 s[0:1]
	s_add_u32 s0, s0, __FUNCTION__._ZL9mul_mat_fIfLi32ELi11ELi1ELb1EEvPKT_PKfPKiPfiiiiiiiiiiiiiiii@rel32@lo+4
	s_addc_u32 s1, s1, __FUNCTION__._ZL9mul_mat_fIfLi32ELi11ELi1ELb1EEvPKT_PKfPKiPfiiiiiiiiiiiiiiii@rel32@hi+12
	v_dual_mov_b32 v0, 59 :: v_dual_mov_b32 v1, s0
	v_mov_b32_e32 v2, s1
	s_mov_b32 s32, 0
	s_getpc_b64 s[2:3]
	s_add_u32 s2, s2, _ZL14no_device_codePKciS0_iS0_@rel32@lo+4
	s_addc_u32 s3, s3, _ZL14no_device_codePKciS0_iS0_@rel32@hi+12
	s_delay_alu instid0(SALU_CYCLE_1)
	s_swappc_b64 s[30:31], s[2:3]
	.section	.rodata,"a",@progbits
	.p2align	6, 0x0
	.amdhsa_kernel _ZL9mul_mat_fI7__half2Li64ELi11ELi1ELb0EEvPKT_PKfPKiPfiiiiiiiiiiiiiiii
		.amdhsa_group_segment_fixed_size 0
		.amdhsa_private_segment_fixed_size 16
		.amdhsa_kernarg_size 352
		.amdhsa_user_sgpr_count 15
		.amdhsa_user_sgpr_dispatch_ptr 0
		.amdhsa_user_sgpr_queue_ptr 0
		.amdhsa_user_sgpr_kernarg_segment_ptr 1
		.amdhsa_user_sgpr_dispatch_id 0
		.amdhsa_user_sgpr_private_segment_size 0
		.amdhsa_wavefront_size32 1
		.amdhsa_uses_dynamic_stack 0
		.amdhsa_enable_private_segment 1
		.amdhsa_system_sgpr_workgroup_id_x 1
		.amdhsa_system_sgpr_workgroup_id_y 0
		.amdhsa_system_sgpr_workgroup_id_z 0
		.amdhsa_system_sgpr_workgroup_info 0
		.amdhsa_system_vgpr_workitem_id 0
		.amdhsa_next_free_vgpr 38
		.amdhsa_next_free_sgpr 34
		.amdhsa_reserve_vcc 1
		.amdhsa_float_round_mode_32 0
		.amdhsa_float_round_mode_16_64 0
		.amdhsa_float_denorm_mode_32 3
		.amdhsa_float_denorm_mode_16_64 3
		.amdhsa_dx10_clamp 1
		.amdhsa_ieee_mode 1
		.amdhsa_fp16_overflow 0
		.amdhsa_workgroup_processor_mode 1
		.amdhsa_memory_ordered 1
		.amdhsa_forward_progress 0
		.amdhsa_shared_vgpr_count 0
		.amdhsa_exception_fp_ieee_invalid_op 0
		.amdhsa_exception_fp_denorm_src 0
		.amdhsa_exception_fp_ieee_div_zero 0
		.amdhsa_exception_fp_ieee_overflow 0
		.amdhsa_exception_fp_ieee_underflow 0
		.amdhsa_exception_fp_ieee_inexact 0
		.amdhsa_exception_int_div_zero 0
	.end_amdhsa_kernel
	.section	.text._ZL9mul_mat_fI7__half2Li64ELi11ELi1ELb0EEvPKT_PKfPKiPfiiiiiiiiiiiiiiii,"axG",@progbits,_ZL9mul_mat_fI7__half2Li64ELi11ELi1ELb0EEvPKT_PKfPKiPfiiiiiiiiiiiiiiii,comdat
.Lfunc_end101:
	.size	_ZL9mul_mat_fI7__half2Li64ELi11ELi1ELb0EEvPKT_PKfPKiPfiiiiiiiiiiiiiiii, .Lfunc_end101-_ZL9mul_mat_fI7__half2Li64ELi11ELi1ELb0EEvPKT_PKfPKiPfiiiiiiiiiiiiiiii
                                        ; -- End function
	.section	.AMDGPU.csdata,"",@progbits
; Kernel info:
; codeLenInByte = 76
; NumSgprs: 36
; NumVgprs: 38
; ScratchSize: 16
; MemoryBound: 0
; FloatMode: 240
; IeeeMode: 1
; LDSByteSize: 0 bytes/workgroup (compile time only)
; SGPRBlocks: 4
; VGPRBlocks: 4
; NumSGPRsForWavesPerEU: 36
; NumVGPRsForWavesPerEU: 38
; Occupancy: 16
; WaveLimiterHint : 1
; COMPUTE_PGM_RSRC2:SCRATCH_EN: 1
; COMPUTE_PGM_RSRC2:USER_SGPR: 15
; COMPUTE_PGM_RSRC2:TRAP_HANDLER: 0
; COMPUTE_PGM_RSRC2:TGID_X_EN: 1
; COMPUTE_PGM_RSRC2:TGID_Y_EN: 0
; COMPUTE_PGM_RSRC2:TGID_Z_EN: 0
; COMPUTE_PGM_RSRC2:TIDIG_COMP_CNT: 0
	.section	.text._ZL13mul_mat_f_idsI7__half2Li64ELi11ELi2EEvPKT_PKfPKiS7_S7_Pfiiiiiiiiiiiiii15HIP_vector_typeIjLj3EESA_,"axG",@progbits,_ZL13mul_mat_f_idsI7__half2Li64ELi11ELi2EEvPKT_PKfPKiS7_S7_Pfiiiiiiiiiiiiii15HIP_vector_typeIjLj3EESA_,comdat
	.globl	_ZL13mul_mat_f_idsI7__half2Li64ELi11ELi2EEvPKT_PKfPKiS7_S7_Pfiiiiiiiiiiiiii15HIP_vector_typeIjLj3EESA_ ; -- Begin function _ZL13mul_mat_f_idsI7__half2Li64ELi11ELi2EEvPKT_PKfPKiS7_S7_Pfiiiiiiiiiiiiii15HIP_vector_typeIjLj3EESA_
	.p2align	8
	.type	_ZL13mul_mat_f_idsI7__half2Li64ELi11ELi2EEvPKT_PKfPKiS7_S7_Pfiiiiiiiiiiiiii15HIP_vector_typeIjLj3EESA_,@function
_ZL13mul_mat_f_idsI7__half2Li64ELi11ELi2EEvPKT_PKfPKiS7_S7_Pfiiiiiiiiiiiiii15HIP_vector_typeIjLj3EESA_: ; @_ZL13mul_mat_f_idsI7__half2Li64ELi11ELi2EEvPKT_PKfPKiS7_S7_Pfiiiiiiiiiiiiii15HIP_vector_typeIjLj3EESA_
; %bb.0:
	s_add_u32 s8, s0, 0x80
	s_addc_u32 s9, s1, 0
	s_getpc_b64 s[0:1]
	s_add_u32 s0, s0, __FUNCTION__._ZL13mul_mat_f_idsIfLi32ELi11ELi1EEvPKT_PKfPKiS6_S6_Pfiiiiiiiiiiiiii15HIP_vector_typeIjLj3EES9_@rel32@lo+4
	s_addc_u32 s1, s1, __FUNCTION__._ZL13mul_mat_f_idsIfLi32ELi11ELi1EEvPKT_PKfPKiS6_S6_Pfiiiiiiiiiiiiii15HIP_vector_typeIjLj3EES9_@rel32@hi+12
	v_dual_mov_b32 v0, 0x136 :: v_dual_mov_b32 v1, s0
	v_mov_b32_e32 v2, s1
	s_mov_b32 s32, 0
	s_getpc_b64 s[2:3]
	s_add_u32 s2, s2, _ZL14no_device_codePKciS0_iS0_@rel32@lo+4
	s_addc_u32 s3, s3, _ZL14no_device_codePKciS0_iS0_@rel32@hi+12
	s_delay_alu instid0(SALU_CYCLE_1)
	s_swappc_b64 s[30:31], s[2:3]
	.section	.rodata,"a",@progbits
	.p2align	6, 0x0
	.amdhsa_kernel _ZL13mul_mat_f_idsI7__half2Li64ELi11ELi2EEvPKT_PKfPKiS7_S7_Pfiiiiiiiiiiiiii15HIP_vector_typeIjLj3EESA_
		.amdhsa_group_segment_fixed_size 0
		.amdhsa_private_segment_fixed_size 16
		.amdhsa_kernarg_size 384
		.amdhsa_user_sgpr_count 15
		.amdhsa_user_sgpr_dispatch_ptr 0
		.amdhsa_user_sgpr_queue_ptr 0
		.amdhsa_user_sgpr_kernarg_segment_ptr 1
		.amdhsa_user_sgpr_dispatch_id 0
		.amdhsa_user_sgpr_private_segment_size 0
		.amdhsa_wavefront_size32 1
		.amdhsa_uses_dynamic_stack 0
		.amdhsa_enable_private_segment 1
		.amdhsa_system_sgpr_workgroup_id_x 1
		.amdhsa_system_sgpr_workgroup_id_y 0
		.amdhsa_system_sgpr_workgroup_id_z 0
		.amdhsa_system_sgpr_workgroup_info 0
		.amdhsa_system_vgpr_workitem_id 0
		.amdhsa_next_free_vgpr 38
		.amdhsa_next_free_sgpr 34
		.amdhsa_reserve_vcc 1
		.amdhsa_float_round_mode_32 0
		.amdhsa_float_round_mode_16_64 0
		.amdhsa_float_denorm_mode_32 3
		.amdhsa_float_denorm_mode_16_64 3
		.amdhsa_dx10_clamp 1
		.amdhsa_ieee_mode 1
		.amdhsa_fp16_overflow 0
		.amdhsa_workgroup_processor_mode 1
		.amdhsa_memory_ordered 1
		.amdhsa_forward_progress 0
		.amdhsa_shared_vgpr_count 0
		.amdhsa_exception_fp_ieee_invalid_op 0
		.amdhsa_exception_fp_denorm_src 0
		.amdhsa_exception_fp_ieee_div_zero 0
		.amdhsa_exception_fp_ieee_overflow 0
		.amdhsa_exception_fp_ieee_underflow 0
		.amdhsa_exception_fp_ieee_inexact 0
		.amdhsa_exception_int_div_zero 0
	.end_amdhsa_kernel
	.section	.text._ZL13mul_mat_f_idsI7__half2Li64ELi11ELi2EEvPKT_PKfPKiS7_S7_Pfiiiiiiiiiiiiii15HIP_vector_typeIjLj3EESA_,"axG",@progbits,_ZL13mul_mat_f_idsI7__half2Li64ELi11ELi2EEvPKT_PKfPKiS7_S7_Pfiiiiiiiiiiiiii15HIP_vector_typeIjLj3EESA_,comdat
.Lfunc_end102:
	.size	_ZL13mul_mat_f_idsI7__half2Li64ELi11ELi2EEvPKT_PKfPKiS7_S7_Pfiiiiiiiiiiiiii15HIP_vector_typeIjLj3EESA_, .Lfunc_end102-_ZL13mul_mat_f_idsI7__half2Li64ELi11ELi2EEvPKT_PKfPKiS7_S7_Pfiiiiiiiiiiiiii15HIP_vector_typeIjLj3EESA_
                                        ; -- End function
	.section	.AMDGPU.csdata,"",@progbits
; Kernel info:
; codeLenInByte = 80
; NumSgprs: 36
; NumVgprs: 38
; ScratchSize: 16
; MemoryBound: 0
; FloatMode: 240
; IeeeMode: 1
; LDSByteSize: 0 bytes/workgroup (compile time only)
; SGPRBlocks: 4
; VGPRBlocks: 4
; NumSGPRsForWavesPerEU: 36
; NumVGPRsForWavesPerEU: 38
; Occupancy: 16
; WaveLimiterHint : 1
; COMPUTE_PGM_RSRC2:SCRATCH_EN: 1
; COMPUTE_PGM_RSRC2:USER_SGPR: 15
; COMPUTE_PGM_RSRC2:TRAP_HANDLER: 0
; COMPUTE_PGM_RSRC2:TGID_X_EN: 1
; COMPUTE_PGM_RSRC2:TGID_Y_EN: 0
; COMPUTE_PGM_RSRC2:TGID_Z_EN: 0
; COMPUTE_PGM_RSRC2:TIDIG_COMP_CNT: 0
	.section	.text._ZL9mul_mat_fI7__half2Li64ELi11ELi2ELb1EEvPKT_PKfPKiPfiiiiiiiiiiiiiiii,"axG",@progbits,_ZL9mul_mat_fI7__half2Li64ELi11ELi2ELb1EEvPKT_PKfPKiPfiiiiiiiiiiiiiiii,comdat
	.globl	_ZL9mul_mat_fI7__half2Li64ELi11ELi2ELb1EEvPKT_PKfPKiPfiiiiiiiiiiiiiiii ; -- Begin function _ZL9mul_mat_fI7__half2Li64ELi11ELi2ELb1EEvPKT_PKfPKiPfiiiiiiiiiiiiiiii
	.p2align	8
	.type	_ZL9mul_mat_fI7__half2Li64ELi11ELi2ELb1EEvPKT_PKfPKiPfiiiiiiiiiiiiiiii,@function
_ZL9mul_mat_fI7__half2Li64ELi11ELi2ELb1EEvPKT_PKfPKiPfiiiiiiiiiiiiiiii: ; @_ZL9mul_mat_fI7__half2Li64ELi11ELi2ELb1EEvPKT_PKfPKiPfiiiiiiiiiiiiiiii
; %bb.0:
	s_add_u32 s8, s0, 0x60
	s_addc_u32 s9, s1, 0
	s_getpc_b64 s[0:1]
	s_add_u32 s0, s0, __FUNCTION__._ZL9mul_mat_fIfLi32ELi11ELi1ELb1EEvPKT_PKfPKiPfiiiiiiiiiiiiiiii@rel32@lo+4
	s_addc_u32 s1, s1, __FUNCTION__._ZL9mul_mat_fIfLi32ELi11ELi1ELb1EEvPKT_PKfPKiPfiiiiiiiiiiiiiiii@rel32@hi+12
	v_dual_mov_b32 v0, 59 :: v_dual_mov_b32 v1, s0
	v_mov_b32_e32 v2, s1
	s_mov_b32 s32, 0
	s_getpc_b64 s[2:3]
	s_add_u32 s2, s2, _ZL14no_device_codePKciS0_iS0_@rel32@lo+4
	s_addc_u32 s3, s3, _ZL14no_device_codePKciS0_iS0_@rel32@hi+12
	s_delay_alu instid0(SALU_CYCLE_1)
	s_swappc_b64 s[30:31], s[2:3]
	.section	.rodata,"a",@progbits
	.p2align	6, 0x0
	.amdhsa_kernel _ZL9mul_mat_fI7__half2Li64ELi11ELi2ELb1EEvPKT_PKfPKiPfiiiiiiiiiiiiiiii
		.amdhsa_group_segment_fixed_size 0
		.amdhsa_private_segment_fixed_size 16
		.amdhsa_kernarg_size 352
		.amdhsa_user_sgpr_count 15
		.amdhsa_user_sgpr_dispatch_ptr 0
		.amdhsa_user_sgpr_queue_ptr 0
		.amdhsa_user_sgpr_kernarg_segment_ptr 1
		.amdhsa_user_sgpr_dispatch_id 0
		.amdhsa_user_sgpr_private_segment_size 0
		.amdhsa_wavefront_size32 1
		.amdhsa_uses_dynamic_stack 0
		.amdhsa_enable_private_segment 1
		.amdhsa_system_sgpr_workgroup_id_x 1
		.amdhsa_system_sgpr_workgroup_id_y 0
		.amdhsa_system_sgpr_workgroup_id_z 0
		.amdhsa_system_sgpr_workgroup_info 0
		.amdhsa_system_vgpr_workitem_id 0
		.amdhsa_next_free_vgpr 38
		.amdhsa_next_free_sgpr 34
		.amdhsa_reserve_vcc 1
		.amdhsa_float_round_mode_32 0
		.amdhsa_float_round_mode_16_64 0
		.amdhsa_float_denorm_mode_32 3
		.amdhsa_float_denorm_mode_16_64 3
		.amdhsa_dx10_clamp 1
		.amdhsa_ieee_mode 1
		.amdhsa_fp16_overflow 0
		.amdhsa_workgroup_processor_mode 1
		.amdhsa_memory_ordered 1
		.amdhsa_forward_progress 0
		.amdhsa_shared_vgpr_count 0
		.amdhsa_exception_fp_ieee_invalid_op 0
		.amdhsa_exception_fp_denorm_src 0
		.amdhsa_exception_fp_ieee_div_zero 0
		.amdhsa_exception_fp_ieee_overflow 0
		.amdhsa_exception_fp_ieee_underflow 0
		.amdhsa_exception_fp_ieee_inexact 0
		.amdhsa_exception_int_div_zero 0
	.end_amdhsa_kernel
	.section	.text._ZL9mul_mat_fI7__half2Li64ELi11ELi2ELb1EEvPKT_PKfPKiPfiiiiiiiiiiiiiiii,"axG",@progbits,_ZL9mul_mat_fI7__half2Li64ELi11ELi2ELb1EEvPKT_PKfPKiPfiiiiiiiiiiiiiiii,comdat
.Lfunc_end103:
	.size	_ZL9mul_mat_fI7__half2Li64ELi11ELi2ELb1EEvPKT_PKfPKiPfiiiiiiiiiiiiiiii, .Lfunc_end103-_ZL9mul_mat_fI7__half2Li64ELi11ELi2ELb1EEvPKT_PKfPKiPfiiiiiiiiiiiiiiii
                                        ; -- End function
	.section	.AMDGPU.csdata,"",@progbits
; Kernel info:
; codeLenInByte = 76
; NumSgprs: 36
; NumVgprs: 38
; ScratchSize: 16
; MemoryBound: 0
; FloatMode: 240
; IeeeMode: 1
; LDSByteSize: 0 bytes/workgroup (compile time only)
; SGPRBlocks: 4
; VGPRBlocks: 4
; NumSGPRsForWavesPerEU: 36
; NumVGPRsForWavesPerEU: 38
; Occupancy: 16
; WaveLimiterHint : 1
; COMPUTE_PGM_RSRC2:SCRATCH_EN: 1
; COMPUTE_PGM_RSRC2:USER_SGPR: 15
; COMPUTE_PGM_RSRC2:TRAP_HANDLER: 0
; COMPUTE_PGM_RSRC2:TGID_X_EN: 1
; COMPUTE_PGM_RSRC2:TGID_Y_EN: 0
; COMPUTE_PGM_RSRC2:TGID_Z_EN: 0
; COMPUTE_PGM_RSRC2:TIDIG_COMP_CNT: 0
	.section	.text._ZL9mul_mat_fI7__half2Li64ELi11ELi2ELb0EEvPKT_PKfPKiPfiiiiiiiiiiiiiiii,"axG",@progbits,_ZL9mul_mat_fI7__half2Li64ELi11ELi2ELb0EEvPKT_PKfPKiPfiiiiiiiiiiiiiiii,comdat
	.globl	_ZL9mul_mat_fI7__half2Li64ELi11ELi2ELb0EEvPKT_PKfPKiPfiiiiiiiiiiiiiiii ; -- Begin function _ZL9mul_mat_fI7__half2Li64ELi11ELi2ELb0EEvPKT_PKfPKiPfiiiiiiiiiiiiiiii
	.p2align	8
	.type	_ZL9mul_mat_fI7__half2Li64ELi11ELi2ELb0EEvPKT_PKfPKiPfiiiiiiiiiiiiiiii,@function
_ZL9mul_mat_fI7__half2Li64ELi11ELi2ELb0EEvPKT_PKfPKiPfiiiiiiiiiiiiiiii: ; @_ZL9mul_mat_fI7__half2Li64ELi11ELi2ELb0EEvPKT_PKfPKiPfiiiiiiiiiiiiiiii
; %bb.0:
	s_add_u32 s8, s0, 0x60
	s_addc_u32 s9, s1, 0
	s_getpc_b64 s[0:1]
	s_add_u32 s0, s0, __FUNCTION__._ZL9mul_mat_fIfLi32ELi11ELi1ELb1EEvPKT_PKfPKiPfiiiiiiiiiiiiiiii@rel32@lo+4
	s_addc_u32 s1, s1, __FUNCTION__._ZL9mul_mat_fIfLi32ELi11ELi1ELb1EEvPKT_PKfPKiPfiiiiiiiiiiiiiiii@rel32@hi+12
	v_dual_mov_b32 v0, 59 :: v_dual_mov_b32 v1, s0
	v_mov_b32_e32 v2, s1
	s_mov_b32 s32, 0
	s_getpc_b64 s[2:3]
	s_add_u32 s2, s2, _ZL14no_device_codePKciS0_iS0_@rel32@lo+4
	s_addc_u32 s3, s3, _ZL14no_device_codePKciS0_iS0_@rel32@hi+12
	s_delay_alu instid0(SALU_CYCLE_1)
	s_swappc_b64 s[30:31], s[2:3]
	.section	.rodata,"a",@progbits
	.p2align	6, 0x0
	.amdhsa_kernel _ZL9mul_mat_fI7__half2Li64ELi11ELi2ELb0EEvPKT_PKfPKiPfiiiiiiiiiiiiiiii
		.amdhsa_group_segment_fixed_size 0
		.amdhsa_private_segment_fixed_size 16
		.amdhsa_kernarg_size 352
		.amdhsa_user_sgpr_count 15
		.amdhsa_user_sgpr_dispatch_ptr 0
		.amdhsa_user_sgpr_queue_ptr 0
		.amdhsa_user_sgpr_kernarg_segment_ptr 1
		.amdhsa_user_sgpr_dispatch_id 0
		.amdhsa_user_sgpr_private_segment_size 0
		.amdhsa_wavefront_size32 1
		.amdhsa_uses_dynamic_stack 0
		.amdhsa_enable_private_segment 1
		.amdhsa_system_sgpr_workgroup_id_x 1
		.amdhsa_system_sgpr_workgroup_id_y 0
		.amdhsa_system_sgpr_workgroup_id_z 0
		.amdhsa_system_sgpr_workgroup_info 0
		.amdhsa_system_vgpr_workitem_id 0
		.amdhsa_next_free_vgpr 38
		.amdhsa_next_free_sgpr 34
		.amdhsa_reserve_vcc 1
		.amdhsa_float_round_mode_32 0
		.amdhsa_float_round_mode_16_64 0
		.amdhsa_float_denorm_mode_32 3
		.amdhsa_float_denorm_mode_16_64 3
		.amdhsa_dx10_clamp 1
		.amdhsa_ieee_mode 1
		.amdhsa_fp16_overflow 0
		.amdhsa_workgroup_processor_mode 1
		.amdhsa_memory_ordered 1
		.amdhsa_forward_progress 0
		.amdhsa_shared_vgpr_count 0
		.amdhsa_exception_fp_ieee_invalid_op 0
		.amdhsa_exception_fp_denorm_src 0
		.amdhsa_exception_fp_ieee_div_zero 0
		.amdhsa_exception_fp_ieee_overflow 0
		.amdhsa_exception_fp_ieee_underflow 0
		.amdhsa_exception_fp_ieee_inexact 0
		.amdhsa_exception_int_div_zero 0
	.end_amdhsa_kernel
	.section	.text._ZL9mul_mat_fI7__half2Li64ELi11ELi2ELb0EEvPKT_PKfPKiPfiiiiiiiiiiiiiiii,"axG",@progbits,_ZL9mul_mat_fI7__half2Li64ELi11ELi2ELb0EEvPKT_PKfPKiPfiiiiiiiiiiiiiiii,comdat
.Lfunc_end104:
	.size	_ZL9mul_mat_fI7__half2Li64ELi11ELi2ELb0EEvPKT_PKfPKiPfiiiiiiiiiiiiiiii, .Lfunc_end104-_ZL9mul_mat_fI7__half2Li64ELi11ELi2ELb0EEvPKT_PKfPKiPfiiiiiiiiiiiiiiii
                                        ; -- End function
	.section	.AMDGPU.csdata,"",@progbits
; Kernel info:
; codeLenInByte = 76
; NumSgprs: 36
; NumVgprs: 38
; ScratchSize: 16
; MemoryBound: 0
; FloatMode: 240
; IeeeMode: 1
; LDSByteSize: 0 bytes/workgroup (compile time only)
; SGPRBlocks: 4
; VGPRBlocks: 4
; NumSGPRsForWavesPerEU: 36
; NumVGPRsForWavesPerEU: 38
; Occupancy: 16
; WaveLimiterHint : 1
; COMPUTE_PGM_RSRC2:SCRATCH_EN: 1
; COMPUTE_PGM_RSRC2:USER_SGPR: 15
; COMPUTE_PGM_RSRC2:TRAP_HANDLER: 0
; COMPUTE_PGM_RSRC2:TGID_X_EN: 1
; COMPUTE_PGM_RSRC2:TGID_Y_EN: 0
; COMPUTE_PGM_RSRC2:TGID_Z_EN: 0
; COMPUTE_PGM_RSRC2:TIDIG_COMP_CNT: 0
	.section	.text._ZL13mul_mat_f_idsI7__half2Li64ELi11ELi3EEvPKT_PKfPKiS7_S7_Pfiiiiiiiiiiiiii15HIP_vector_typeIjLj3EESA_,"axG",@progbits,_ZL13mul_mat_f_idsI7__half2Li64ELi11ELi3EEvPKT_PKfPKiS7_S7_Pfiiiiiiiiiiiiii15HIP_vector_typeIjLj3EESA_,comdat
	.globl	_ZL13mul_mat_f_idsI7__half2Li64ELi11ELi3EEvPKT_PKfPKiS7_S7_Pfiiiiiiiiiiiiii15HIP_vector_typeIjLj3EESA_ ; -- Begin function _ZL13mul_mat_f_idsI7__half2Li64ELi11ELi3EEvPKT_PKfPKiS7_S7_Pfiiiiiiiiiiiiii15HIP_vector_typeIjLj3EESA_
	.p2align	8
	.type	_ZL13mul_mat_f_idsI7__half2Li64ELi11ELi3EEvPKT_PKfPKiS7_S7_Pfiiiiiiiiiiiiii15HIP_vector_typeIjLj3EESA_,@function
_ZL13mul_mat_f_idsI7__half2Li64ELi11ELi3EEvPKT_PKfPKiS7_S7_Pfiiiiiiiiiiiiii15HIP_vector_typeIjLj3EESA_: ; @_ZL13mul_mat_f_idsI7__half2Li64ELi11ELi3EEvPKT_PKfPKiS7_S7_Pfiiiiiiiiiiiiii15HIP_vector_typeIjLj3EESA_
; %bb.0:
	s_add_u32 s8, s0, 0x80
	s_addc_u32 s9, s1, 0
	s_getpc_b64 s[0:1]
	s_add_u32 s0, s0, __FUNCTION__._ZL13mul_mat_f_idsIfLi32ELi11ELi1EEvPKT_PKfPKiS6_S6_Pfiiiiiiiiiiiiii15HIP_vector_typeIjLj3EES9_@rel32@lo+4
	s_addc_u32 s1, s1, __FUNCTION__._ZL13mul_mat_f_idsIfLi32ELi11ELi1EEvPKT_PKfPKiS6_S6_Pfiiiiiiiiiiiiii15HIP_vector_typeIjLj3EES9_@rel32@hi+12
	v_dual_mov_b32 v0, 0x136 :: v_dual_mov_b32 v1, s0
	v_mov_b32_e32 v2, s1
	s_mov_b32 s32, 0
	s_getpc_b64 s[2:3]
	s_add_u32 s2, s2, _ZL14no_device_codePKciS0_iS0_@rel32@lo+4
	s_addc_u32 s3, s3, _ZL14no_device_codePKciS0_iS0_@rel32@hi+12
	s_delay_alu instid0(SALU_CYCLE_1)
	s_swappc_b64 s[30:31], s[2:3]
	.section	.rodata,"a",@progbits
	.p2align	6, 0x0
	.amdhsa_kernel _ZL13mul_mat_f_idsI7__half2Li64ELi11ELi3EEvPKT_PKfPKiS7_S7_Pfiiiiiiiiiiiiii15HIP_vector_typeIjLj3EESA_
		.amdhsa_group_segment_fixed_size 0
		.amdhsa_private_segment_fixed_size 16
		.amdhsa_kernarg_size 384
		.amdhsa_user_sgpr_count 15
		.amdhsa_user_sgpr_dispatch_ptr 0
		.amdhsa_user_sgpr_queue_ptr 0
		.amdhsa_user_sgpr_kernarg_segment_ptr 1
		.amdhsa_user_sgpr_dispatch_id 0
		.amdhsa_user_sgpr_private_segment_size 0
		.amdhsa_wavefront_size32 1
		.amdhsa_uses_dynamic_stack 0
		.amdhsa_enable_private_segment 1
		.amdhsa_system_sgpr_workgroup_id_x 1
		.amdhsa_system_sgpr_workgroup_id_y 0
		.amdhsa_system_sgpr_workgroup_id_z 0
		.amdhsa_system_sgpr_workgroup_info 0
		.amdhsa_system_vgpr_workitem_id 0
		.amdhsa_next_free_vgpr 38
		.amdhsa_next_free_sgpr 34
		.amdhsa_reserve_vcc 1
		.amdhsa_float_round_mode_32 0
		.amdhsa_float_round_mode_16_64 0
		.amdhsa_float_denorm_mode_32 3
		.amdhsa_float_denorm_mode_16_64 3
		.amdhsa_dx10_clamp 1
		.amdhsa_ieee_mode 1
		.amdhsa_fp16_overflow 0
		.amdhsa_workgroup_processor_mode 1
		.amdhsa_memory_ordered 1
		.amdhsa_forward_progress 0
		.amdhsa_shared_vgpr_count 0
		.amdhsa_exception_fp_ieee_invalid_op 0
		.amdhsa_exception_fp_denorm_src 0
		.amdhsa_exception_fp_ieee_div_zero 0
		.amdhsa_exception_fp_ieee_overflow 0
		.amdhsa_exception_fp_ieee_underflow 0
		.amdhsa_exception_fp_ieee_inexact 0
		.amdhsa_exception_int_div_zero 0
	.end_amdhsa_kernel
	.section	.text._ZL13mul_mat_f_idsI7__half2Li64ELi11ELi3EEvPKT_PKfPKiS7_S7_Pfiiiiiiiiiiiiii15HIP_vector_typeIjLj3EESA_,"axG",@progbits,_ZL13mul_mat_f_idsI7__half2Li64ELi11ELi3EEvPKT_PKfPKiS7_S7_Pfiiiiiiiiiiiiii15HIP_vector_typeIjLj3EESA_,comdat
.Lfunc_end105:
	.size	_ZL13mul_mat_f_idsI7__half2Li64ELi11ELi3EEvPKT_PKfPKiS7_S7_Pfiiiiiiiiiiiiii15HIP_vector_typeIjLj3EESA_, .Lfunc_end105-_ZL13mul_mat_f_idsI7__half2Li64ELi11ELi3EEvPKT_PKfPKiS7_S7_Pfiiiiiiiiiiiiii15HIP_vector_typeIjLj3EESA_
                                        ; -- End function
	.section	.AMDGPU.csdata,"",@progbits
; Kernel info:
; codeLenInByte = 80
; NumSgprs: 36
; NumVgprs: 38
; ScratchSize: 16
; MemoryBound: 0
; FloatMode: 240
; IeeeMode: 1
; LDSByteSize: 0 bytes/workgroup (compile time only)
; SGPRBlocks: 4
; VGPRBlocks: 4
; NumSGPRsForWavesPerEU: 36
; NumVGPRsForWavesPerEU: 38
; Occupancy: 16
; WaveLimiterHint : 1
; COMPUTE_PGM_RSRC2:SCRATCH_EN: 1
; COMPUTE_PGM_RSRC2:USER_SGPR: 15
; COMPUTE_PGM_RSRC2:TRAP_HANDLER: 0
; COMPUTE_PGM_RSRC2:TGID_X_EN: 1
; COMPUTE_PGM_RSRC2:TGID_Y_EN: 0
; COMPUTE_PGM_RSRC2:TGID_Z_EN: 0
; COMPUTE_PGM_RSRC2:TIDIG_COMP_CNT: 0
	.section	.text._ZL9mul_mat_fI7__half2Li64ELi11ELi3ELb1EEvPKT_PKfPKiPfiiiiiiiiiiiiiiii,"axG",@progbits,_ZL9mul_mat_fI7__half2Li64ELi11ELi3ELb1EEvPKT_PKfPKiPfiiiiiiiiiiiiiiii,comdat
	.globl	_ZL9mul_mat_fI7__half2Li64ELi11ELi3ELb1EEvPKT_PKfPKiPfiiiiiiiiiiiiiiii ; -- Begin function _ZL9mul_mat_fI7__half2Li64ELi11ELi3ELb1EEvPKT_PKfPKiPfiiiiiiiiiiiiiiii
	.p2align	8
	.type	_ZL9mul_mat_fI7__half2Li64ELi11ELi3ELb1EEvPKT_PKfPKiPfiiiiiiiiiiiiiiii,@function
_ZL9mul_mat_fI7__half2Li64ELi11ELi3ELb1EEvPKT_PKfPKiPfiiiiiiiiiiiiiiii: ; @_ZL9mul_mat_fI7__half2Li64ELi11ELi3ELb1EEvPKT_PKfPKiPfiiiiiiiiiiiiiiii
; %bb.0:
	s_add_u32 s8, s0, 0x60
	s_addc_u32 s9, s1, 0
	s_getpc_b64 s[0:1]
	s_add_u32 s0, s0, __FUNCTION__._ZL9mul_mat_fIfLi32ELi11ELi1ELb1EEvPKT_PKfPKiPfiiiiiiiiiiiiiiii@rel32@lo+4
	s_addc_u32 s1, s1, __FUNCTION__._ZL9mul_mat_fIfLi32ELi11ELi1ELb1EEvPKT_PKfPKiPfiiiiiiiiiiiiiiii@rel32@hi+12
	v_dual_mov_b32 v0, 59 :: v_dual_mov_b32 v1, s0
	v_mov_b32_e32 v2, s1
	s_mov_b32 s32, 0
	s_getpc_b64 s[2:3]
	s_add_u32 s2, s2, _ZL14no_device_codePKciS0_iS0_@rel32@lo+4
	s_addc_u32 s3, s3, _ZL14no_device_codePKciS0_iS0_@rel32@hi+12
	s_delay_alu instid0(SALU_CYCLE_1)
	s_swappc_b64 s[30:31], s[2:3]
	.section	.rodata,"a",@progbits
	.p2align	6, 0x0
	.amdhsa_kernel _ZL9mul_mat_fI7__half2Li64ELi11ELi3ELb1EEvPKT_PKfPKiPfiiiiiiiiiiiiiiii
		.amdhsa_group_segment_fixed_size 0
		.amdhsa_private_segment_fixed_size 16
		.amdhsa_kernarg_size 352
		.amdhsa_user_sgpr_count 15
		.amdhsa_user_sgpr_dispatch_ptr 0
		.amdhsa_user_sgpr_queue_ptr 0
		.amdhsa_user_sgpr_kernarg_segment_ptr 1
		.amdhsa_user_sgpr_dispatch_id 0
		.amdhsa_user_sgpr_private_segment_size 0
		.amdhsa_wavefront_size32 1
		.amdhsa_uses_dynamic_stack 0
		.amdhsa_enable_private_segment 1
		.amdhsa_system_sgpr_workgroup_id_x 1
		.amdhsa_system_sgpr_workgroup_id_y 0
		.amdhsa_system_sgpr_workgroup_id_z 0
		.amdhsa_system_sgpr_workgroup_info 0
		.amdhsa_system_vgpr_workitem_id 0
		.amdhsa_next_free_vgpr 38
		.amdhsa_next_free_sgpr 34
		.amdhsa_reserve_vcc 1
		.amdhsa_float_round_mode_32 0
		.amdhsa_float_round_mode_16_64 0
		.amdhsa_float_denorm_mode_32 3
		.amdhsa_float_denorm_mode_16_64 3
		.amdhsa_dx10_clamp 1
		.amdhsa_ieee_mode 1
		.amdhsa_fp16_overflow 0
		.amdhsa_workgroup_processor_mode 1
		.amdhsa_memory_ordered 1
		.amdhsa_forward_progress 0
		.amdhsa_shared_vgpr_count 0
		.amdhsa_exception_fp_ieee_invalid_op 0
		.amdhsa_exception_fp_denorm_src 0
		.amdhsa_exception_fp_ieee_div_zero 0
		.amdhsa_exception_fp_ieee_overflow 0
		.amdhsa_exception_fp_ieee_underflow 0
		.amdhsa_exception_fp_ieee_inexact 0
		.amdhsa_exception_int_div_zero 0
	.end_amdhsa_kernel
	.section	.text._ZL9mul_mat_fI7__half2Li64ELi11ELi3ELb1EEvPKT_PKfPKiPfiiiiiiiiiiiiiiii,"axG",@progbits,_ZL9mul_mat_fI7__half2Li64ELi11ELi3ELb1EEvPKT_PKfPKiPfiiiiiiiiiiiiiiii,comdat
.Lfunc_end106:
	.size	_ZL9mul_mat_fI7__half2Li64ELi11ELi3ELb1EEvPKT_PKfPKiPfiiiiiiiiiiiiiiii, .Lfunc_end106-_ZL9mul_mat_fI7__half2Li64ELi11ELi3ELb1EEvPKT_PKfPKiPfiiiiiiiiiiiiiiii
                                        ; -- End function
	.section	.AMDGPU.csdata,"",@progbits
; Kernel info:
; codeLenInByte = 76
; NumSgprs: 36
; NumVgprs: 38
; ScratchSize: 16
; MemoryBound: 0
; FloatMode: 240
; IeeeMode: 1
; LDSByteSize: 0 bytes/workgroup (compile time only)
; SGPRBlocks: 4
; VGPRBlocks: 4
; NumSGPRsForWavesPerEU: 36
; NumVGPRsForWavesPerEU: 38
; Occupancy: 16
; WaveLimiterHint : 1
; COMPUTE_PGM_RSRC2:SCRATCH_EN: 1
; COMPUTE_PGM_RSRC2:USER_SGPR: 15
; COMPUTE_PGM_RSRC2:TRAP_HANDLER: 0
; COMPUTE_PGM_RSRC2:TGID_X_EN: 1
; COMPUTE_PGM_RSRC2:TGID_Y_EN: 0
; COMPUTE_PGM_RSRC2:TGID_Z_EN: 0
; COMPUTE_PGM_RSRC2:TIDIG_COMP_CNT: 0
	.section	.text._ZL9mul_mat_fI7__half2Li64ELi11ELi3ELb0EEvPKT_PKfPKiPfiiiiiiiiiiiiiiii,"axG",@progbits,_ZL9mul_mat_fI7__half2Li64ELi11ELi3ELb0EEvPKT_PKfPKiPfiiiiiiiiiiiiiiii,comdat
	.globl	_ZL9mul_mat_fI7__half2Li64ELi11ELi3ELb0EEvPKT_PKfPKiPfiiiiiiiiiiiiiiii ; -- Begin function _ZL9mul_mat_fI7__half2Li64ELi11ELi3ELb0EEvPKT_PKfPKiPfiiiiiiiiiiiiiiii
	.p2align	8
	.type	_ZL9mul_mat_fI7__half2Li64ELi11ELi3ELb0EEvPKT_PKfPKiPfiiiiiiiiiiiiiiii,@function
_ZL9mul_mat_fI7__half2Li64ELi11ELi3ELb0EEvPKT_PKfPKiPfiiiiiiiiiiiiiiii: ; @_ZL9mul_mat_fI7__half2Li64ELi11ELi3ELb0EEvPKT_PKfPKiPfiiiiiiiiiiiiiiii
; %bb.0:
	s_add_u32 s8, s0, 0x60
	s_addc_u32 s9, s1, 0
	s_getpc_b64 s[0:1]
	s_add_u32 s0, s0, __FUNCTION__._ZL9mul_mat_fIfLi32ELi11ELi1ELb1EEvPKT_PKfPKiPfiiiiiiiiiiiiiiii@rel32@lo+4
	s_addc_u32 s1, s1, __FUNCTION__._ZL9mul_mat_fIfLi32ELi11ELi1ELb1EEvPKT_PKfPKiPfiiiiiiiiiiiiiiii@rel32@hi+12
	v_dual_mov_b32 v0, 59 :: v_dual_mov_b32 v1, s0
	v_mov_b32_e32 v2, s1
	s_mov_b32 s32, 0
	s_getpc_b64 s[2:3]
	s_add_u32 s2, s2, _ZL14no_device_codePKciS0_iS0_@rel32@lo+4
	s_addc_u32 s3, s3, _ZL14no_device_codePKciS0_iS0_@rel32@hi+12
	s_delay_alu instid0(SALU_CYCLE_1)
	s_swappc_b64 s[30:31], s[2:3]
	.section	.rodata,"a",@progbits
	.p2align	6, 0x0
	.amdhsa_kernel _ZL9mul_mat_fI7__half2Li64ELi11ELi3ELb0EEvPKT_PKfPKiPfiiiiiiiiiiiiiiii
		.amdhsa_group_segment_fixed_size 0
		.amdhsa_private_segment_fixed_size 16
		.amdhsa_kernarg_size 352
		.amdhsa_user_sgpr_count 15
		.amdhsa_user_sgpr_dispatch_ptr 0
		.amdhsa_user_sgpr_queue_ptr 0
		.amdhsa_user_sgpr_kernarg_segment_ptr 1
		.amdhsa_user_sgpr_dispatch_id 0
		.amdhsa_user_sgpr_private_segment_size 0
		.amdhsa_wavefront_size32 1
		.amdhsa_uses_dynamic_stack 0
		.amdhsa_enable_private_segment 1
		.amdhsa_system_sgpr_workgroup_id_x 1
		.amdhsa_system_sgpr_workgroup_id_y 0
		.amdhsa_system_sgpr_workgroup_id_z 0
		.amdhsa_system_sgpr_workgroup_info 0
		.amdhsa_system_vgpr_workitem_id 0
		.amdhsa_next_free_vgpr 38
		.amdhsa_next_free_sgpr 34
		.amdhsa_reserve_vcc 1
		.amdhsa_float_round_mode_32 0
		.amdhsa_float_round_mode_16_64 0
		.amdhsa_float_denorm_mode_32 3
		.amdhsa_float_denorm_mode_16_64 3
		.amdhsa_dx10_clamp 1
		.amdhsa_ieee_mode 1
		.amdhsa_fp16_overflow 0
		.amdhsa_workgroup_processor_mode 1
		.amdhsa_memory_ordered 1
		.amdhsa_forward_progress 0
		.amdhsa_shared_vgpr_count 0
		.amdhsa_exception_fp_ieee_invalid_op 0
		.amdhsa_exception_fp_denorm_src 0
		.amdhsa_exception_fp_ieee_div_zero 0
		.amdhsa_exception_fp_ieee_overflow 0
		.amdhsa_exception_fp_ieee_underflow 0
		.amdhsa_exception_fp_ieee_inexact 0
		.amdhsa_exception_int_div_zero 0
	.end_amdhsa_kernel
	.section	.text._ZL9mul_mat_fI7__half2Li64ELi11ELi3ELb0EEvPKT_PKfPKiPfiiiiiiiiiiiiiiii,"axG",@progbits,_ZL9mul_mat_fI7__half2Li64ELi11ELi3ELb0EEvPKT_PKfPKiPfiiiiiiiiiiiiiiii,comdat
.Lfunc_end107:
	.size	_ZL9mul_mat_fI7__half2Li64ELi11ELi3ELb0EEvPKT_PKfPKiPfiiiiiiiiiiiiiiii, .Lfunc_end107-_ZL9mul_mat_fI7__half2Li64ELi11ELi3ELb0EEvPKT_PKfPKiPfiiiiiiiiiiiiiiii
                                        ; -- End function
	.section	.AMDGPU.csdata,"",@progbits
; Kernel info:
; codeLenInByte = 76
; NumSgprs: 36
; NumVgprs: 38
; ScratchSize: 16
; MemoryBound: 0
; FloatMode: 240
; IeeeMode: 1
; LDSByteSize: 0 bytes/workgroup (compile time only)
; SGPRBlocks: 4
; VGPRBlocks: 4
; NumSGPRsForWavesPerEU: 36
; NumVGPRsForWavesPerEU: 38
; Occupancy: 16
; WaveLimiterHint : 1
; COMPUTE_PGM_RSRC2:SCRATCH_EN: 1
; COMPUTE_PGM_RSRC2:USER_SGPR: 15
; COMPUTE_PGM_RSRC2:TRAP_HANDLER: 0
; COMPUTE_PGM_RSRC2:TGID_X_EN: 1
; COMPUTE_PGM_RSRC2:TGID_Y_EN: 0
; COMPUTE_PGM_RSRC2:TGID_Z_EN: 0
; COMPUTE_PGM_RSRC2:TIDIG_COMP_CNT: 0
	.section	.text._ZL13mul_mat_f_idsI7__half2Li64ELi11ELi4EEvPKT_PKfPKiS7_S7_Pfiiiiiiiiiiiiii15HIP_vector_typeIjLj3EESA_,"axG",@progbits,_ZL13mul_mat_f_idsI7__half2Li64ELi11ELi4EEvPKT_PKfPKiS7_S7_Pfiiiiiiiiiiiiii15HIP_vector_typeIjLj3EESA_,comdat
	.globl	_ZL13mul_mat_f_idsI7__half2Li64ELi11ELi4EEvPKT_PKfPKiS7_S7_Pfiiiiiiiiiiiiii15HIP_vector_typeIjLj3EESA_ ; -- Begin function _ZL13mul_mat_f_idsI7__half2Li64ELi11ELi4EEvPKT_PKfPKiS7_S7_Pfiiiiiiiiiiiiii15HIP_vector_typeIjLj3EESA_
	.p2align	8
	.type	_ZL13mul_mat_f_idsI7__half2Li64ELi11ELi4EEvPKT_PKfPKiS7_S7_Pfiiiiiiiiiiiiii15HIP_vector_typeIjLj3EESA_,@function
_ZL13mul_mat_f_idsI7__half2Li64ELi11ELi4EEvPKT_PKfPKiS7_S7_Pfiiiiiiiiiiiiii15HIP_vector_typeIjLj3EESA_: ; @_ZL13mul_mat_f_idsI7__half2Li64ELi11ELi4EEvPKT_PKfPKiS7_S7_Pfiiiiiiiiiiiiii15HIP_vector_typeIjLj3EESA_
; %bb.0:
	s_add_u32 s8, s0, 0x80
	s_addc_u32 s9, s1, 0
	s_getpc_b64 s[0:1]
	s_add_u32 s0, s0, __FUNCTION__._ZL13mul_mat_f_idsIfLi32ELi11ELi1EEvPKT_PKfPKiS6_S6_Pfiiiiiiiiiiiiii15HIP_vector_typeIjLj3EES9_@rel32@lo+4
	s_addc_u32 s1, s1, __FUNCTION__._ZL13mul_mat_f_idsIfLi32ELi11ELi1EEvPKT_PKfPKiS6_S6_Pfiiiiiiiiiiiiii15HIP_vector_typeIjLj3EES9_@rel32@hi+12
	v_dual_mov_b32 v0, 0x136 :: v_dual_mov_b32 v1, s0
	v_mov_b32_e32 v2, s1
	s_mov_b32 s32, 0
	s_getpc_b64 s[2:3]
	s_add_u32 s2, s2, _ZL14no_device_codePKciS0_iS0_@rel32@lo+4
	s_addc_u32 s3, s3, _ZL14no_device_codePKciS0_iS0_@rel32@hi+12
	s_delay_alu instid0(SALU_CYCLE_1)
	s_swappc_b64 s[30:31], s[2:3]
	.section	.rodata,"a",@progbits
	.p2align	6, 0x0
	.amdhsa_kernel _ZL13mul_mat_f_idsI7__half2Li64ELi11ELi4EEvPKT_PKfPKiS7_S7_Pfiiiiiiiiiiiiii15HIP_vector_typeIjLj3EESA_
		.amdhsa_group_segment_fixed_size 0
		.amdhsa_private_segment_fixed_size 16
		.amdhsa_kernarg_size 384
		.amdhsa_user_sgpr_count 15
		.amdhsa_user_sgpr_dispatch_ptr 0
		.amdhsa_user_sgpr_queue_ptr 0
		.amdhsa_user_sgpr_kernarg_segment_ptr 1
		.amdhsa_user_sgpr_dispatch_id 0
		.amdhsa_user_sgpr_private_segment_size 0
		.amdhsa_wavefront_size32 1
		.amdhsa_uses_dynamic_stack 0
		.amdhsa_enable_private_segment 1
		.amdhsa_system_sgpr_workgroup_id_x 1
		.amdhsa_system_sgpr_workgroup_id_y 0
		.amdhsa_system_sgpr_workgroup_id_z 0
		.amdhsa_system_sgpr_workgroup_info 0
		.amdhsa_system_vgpr_workitem_id 0
		.amdhsa_next_free_vgpr 38
		.amdhsa_next_free_sgpr 34
		.amdhsa_reserve_vcc 1
		.amdhsa_float_round_mode_32 0
		.amdhsa_float_round_mode_16_64 0
		.amdhsa_float_denorm_mode_32 3
		.amdhsa_float_denorm_mode_16_64 3
		.amdhsa_dx10_clamp 1
		.amdhsa_ieee_mode 1
		.amdhsa_fp16_overflow 0
		.amdhsa_workgroup_processor_mode 1
		.amdhsa_memory_ordered 1
		.amdhsa_forward_progress 0
		.amdhsa_shared_vgpr_count 0
		.amdhsa_exception_fp_ieee_invalid_op 0
		.amdhsa_exception_fp_denorm_src 0
		.amdhsa_exception_fp_ieee_div_zero 0
		.amdhsa_exception_fp_ieee_overflow 0
		.amdhsa_exception_fp_ieee_underflow 0
		.amdhsa_exception_fp_ieee_inexact 0
		.amdhsa_exception_int_div_zero 0
	.end_amdhsa_kernel
	.section	.text._ZL13mul_mat_f_idsI7__half2Li64ELi11ELi4EEvPKT_PKfPKiS7_S7_Pfiiiiiiiiiiiiii15HIP_vector_typeIjLj3EESA_,"axG",@progbits,_ZL13mul_mat_f_idsI7__half2Li64ELi11ELi4EEvPKT_PKfPKiS7_S7_Pfiiiiiiiiiiiiii15HIP_vector_typeIjLj3EESA_,comdat
.Lfunc_end108:
	.size	_ZL13mul_mat_f_idsI7__half2Li64ELi11ELi4EEvPKT_PKfPKiS7_S7_Pfiiiiiiiiiiiiii15HIP_vector_typeIjLj3EESA_, .Lfunc_end108-_ZL13mul_mat_f_idsI7__half2Li64ELi11ELi4EEvPKT_PKfPKiS7_S7_Pfiiiiiiiiiiiiii15HIP_vector_typeIjLj3EESA_
                                        ; -- End function
	.section	.AMDGPU.csdata,"",@progbits
; Kernel info:
; codeLenInByte = 80
; NumSgprs: 36
; NumVgprs: 38
; ScratchSize: 16
; MemoryBound: 0
; FloatMode: 240
; IeeeMode: 1
; LDSByteSize: 0 bytes/workgroup (compile time only)
; SGPRBlocks: 4
; VGPRBlocks: 4
; NumSGPRsForWavesPerEU: 36
; NumVGPRsForWavesPerEU: 38
; Occupancy: 16
; WaveLimiterHint : 1
; COMPUTE_PGM_RSRC2:SCRATCH_EN: 1
; COMPUTE_PGM_RSRC2:USER_SGPR: 15
; COMPUTE_PGM_RSRC2:TRAP_HANDLER: 0
; COMPUTE_PGM_RSRC2:TGID_X_EN: 1
; COMPUTE_PGM_RSRC2:TGID_Y_EN: 0
; COMPUTE_PGM_RSRC2:TGID_Z_EN: 0
; COMPUTE_PGM_RSRC2:TIDIG_COMP_CNT: 0
	.section	.text._ZL9mul_mat_fI7__half2Li64ELi11ELi4ELb1EEvPKT_PKfPKiPfiiiiiiiiiiiiiiii,"axG",@progbits,_ZL9mul_mat_fI7__half2Li64ELi11ELi4ELb1EEvPKT_PKfPKiPfiiiiiiiiiiiiiiii,comdat
	.globl	_ZL9mul_mat_fI7__half2Li64ELi11ELi4ELb1EEvPKT_PKfPKiPfiiiiiiiiiiiiiiii ; -- Begin function _ZL9mul_mat_fI7__half2Li64ELi11ELi4ELb1EEvPKT_PKfPKiPfiiiiiiiiiiiiiiii
	.p2align	8
	.type	_ZL9mul_mat_fI7__half2Li64ELi11ELi4ELb1EEvPKT_PKfPKiPfiiiiiiiiiiiiiiii,@function
_ZL9mul_mat_fI7__half2Li64ELi11ELi4ELb1EEvPKT_PKfPKiPfiiiiiiiiiiiiiiii: ; @_ZL9mul_mat_fI7__half2Li64ELi11ELi4ELb1EEvPKT_PKfPKiPfiiiiiiiiiiiiiiii
; %bb.0:
	s_add_u32 s8, s0, 0x60
	s_addc_u32 s9, s1, 0
	s_getpc_b64 s[0:1]
	s_add_u32 s0, s0, __FUNCTION__._ZL9mul_mat_fIfLi32ELi11ELi1ELb1EEvPKT_PKfPKiPfiiiiiiiiiiiiiiii@rel32@lo+4
	s_addc_u32 s1, s1, __FUNCTION__._ZL9mul_mat_fIfLi32ELi11ELi1ELb1EEvPKT_PKfPKiPfiiiiiiiiiiiiiiii@rel32@hi+12
	v_dual_mov_b32 v0, 59 :: v_dual_mov_b32 v1, s0
	v_mov_b32_e32 v2, s1
	s_mov_b32 s32, 0
	s_getpc_b64 s[2:3]
	s_add_u32 s2, s2, _ZL14no_device_codePKciS0_iS0_@rel32@lo+4
	s_addc_u32 s3, s3, _ZL14no_device_codePKciS0_iS0_@rel32@hi+12
	s_delay_alu instid0(SALU_CYCLE_1)
	s_swappc_b64 s[30:31], s[2:3]
	.section	.rodata,"a",@progbits
	.p2align	6, 0x0
	.amdhsa_kernel _ZL9mul_mat_fI7__half2Li64ELi11ELi4ELb1EEvPKT_PKfPKiPfiiiiiiiiiiiiiiii
		.amdhsa_group_segment_fixed_size 0
		.amdhsa_private_segment_fixed_size 16
		.amdhsa_kernarg_size 352
		.amdhsa_user_sgpr_count 15
		.amdhsa_user_sgpr_dispatch_ptr 0
		.amdhsa_user_sgpr_queue_ptr 0
		.amdhsa_user_sgpr_kernarg_segment_ptr 1
		.amdhsa_user_sgpr_dispatch_id 0
		.amdhsa_user_sgpr_private_segment_size 0
		.amdhsa_wavefront_size32 1
		.amdhsa_uses_dynamic_stack 0
		.amdhsa_enable_private_segment 1
		.amdhsa_system_sgpr_workgroup_id_x 1
		.amdhsa_system_sgpr_workgroup_id_y 0
		.amdhsa_system_sgpr_workgroup_id_z 0
		.amdhsa_system_sgpr_workgroup_info 0
		.amdhsa_system_vgpr_workitem_id 0
		.amdhsa_next_free_vgpr 38
		.amdhsa_next_free_sgpr 34
		.amdhsa_reserve_vcc 1
		.amdhsa_float_round_mode_32 0
		.amdhsa_float_round_mode_16_64 0
		.amdhsa_float_denorm_mode_32 3
		.amdhsa_float_denorm_mode_16_64 3
		.amdhsa_dx10_clamp 1
		.amdhsa_ieee_mode 1
		.amdhsa_fp16_overflow 0
		.amdhsa_workgroup_processor_mode 1
		.amdhsa_memory_ordered 1
		.amdhsa_forward_progress 0
		.amdhsa_shared_vgpr_count 0
		.amdhsa_exception_fp_ieee_invalid_op 0
		.amdhsa_exception_fp_denorm_src 0
		.amdhsa_exception_fp_ieee_div_zero 0
		.amdhsa_exception_fp_ieee_overflow 0
		.amdhsa_exception_fp_ieee_underflow 0
		.amdhsa_exception_fp_ieee_inexact 0
		.amdhsa_exception_int_div_zero 0
	.end_amdhsa_kernel
	.section	.text._ZL9mul_mat_fI7__half2Li64ELi11ELi4ELb1EEvPKT_PKfPKiPfiiiiiiiiiiiiiiii,"axG",@progbits,_ZL9mul_mat_fI7__half2Li64ELi11ELi4ELb1EEvPKT_PKfPKiPfiiiiiiiiiiiiiiii,comdat
.Lfunc_end109:
	.size	_ZL9mul_mat_fI7__half2Li64ELi11ELi4ELb1EEvPKT_PKfPKiPfiiiiiiiiiiiiiiii, .Lfunc_end109-_ZL9mul_mat_fI7__half2Li64ELi11ELi4ELb1EEvPKT_PKfPKiPfiiiiiiiiiiiiiiii
                                        ; -- End function
	.section	.AMDGPU.csdata,"",@progbits
; Kernel info:
; codeLenInByte = 76
; NumSgprs: 36
; NumVgprs: 38
; ScratchSize: 16
; MemoryBound: 0
; FloatMode: 240
; IeeeMode: 1
; LDSByteSize: 0 bytes/workgroup (compile time only)
; SGPRBlocks: 4
; VGPRBlocks: 4
; NumSGPRsForWavesPerEU: 36
; NumVGPRsForWavesPerEU: 38
; Occupancy: 16
; WaveLimiterHint : 1
; COMPUTE_PGM_RSRC2:SCRATCH_EN: 1
; COMPUTE_PGM_RSRC2:USER_SGPR: 15
; COMPUTE_PGM_RSRC2:TRAP_HANDLER: 0
; COMPUTE_PGM_RSRC2:TGID_X_EN: 1
; COMPUTE_PGM_RSRC2:TGID_Y_EN: 0
; COMPUTE_PGM_RSRC2:TGID_Z_EN: 0
; COMPUTE_PGM_RSRC2:TIDIG_COMP_CNT: 0
	.section	.text._ZL9mul_mat_fI7__half2Li64ELi11ELi4ELb0EEvPKT_PKfPKiPfiiiiiiiiiiiiiiii,"axG",@progbits,_ZL9mul_mat_fI7__half2Li64ELi11ELi4ELb0EEvPKT_PKfPKiPfiiiiiiiiiiiiiiii,comdat
	.globl	_ZL9mul_mat_fI7__half2Li64ELi11ELi4ELb0EEvPKT_PKfPKiPfiiiiiiiiiiiiiiii ; -- Begin function _ZL9mul_mat_fI7__half2Li64ELi11ELi4ELb0EEvPKT_PKfPKiPfiiiiiiiiiiiiiiii
	.p2align	8
	.type	_ZL9mul_mat_fI7__half2Li64ELi11ELi4ELb0EEvPKT_PKfPKiPfiiiiiiiiiiiiiiii,@function
_ZL9mul_mat_fI7__half2Li64ELi11ELi4ELb0EEvPKT_PKfPKiPfiiiiiiiiiiiiiiii: ; @_ZL9mul_mat_fI7__half2Li64ELi11ELi4ELb0EEvPKT_PKfPKiPfiiiiiiiiiiiiiiii
; %bb.0:
	s_add_u32 s8, s0, 0x60
	s_addc_u32 s9, s1, 0
	s_getpc_b64 s[0:1]
	s_add_u32 s0, s0, __FUNCTION__._ZL9mul_mat_fIfLi32ELi11ELi1ELb1EEvPKT_PKfPKiPfiiiiiiiiiiiiiiii@rel32@lo+4
	s_addc_u32 s1, s1, __FUNCTION__._ZL9mul_mat_fIfLi32ELi11ELi1ELb1EEvPKT_PKfPKiPfiiiiiiiiiiiiiiii@rel32@hi+12
	v_dual_mov_b32 v0, 59 :: v_dual_mov_b32 v1, s0
	v_mov_b32_e32 v2, s1
	s_mov_b32 s32, 0
	s_getpc_b64 s[2:3]
	s_add_u32 s2, s2, _ZL14no_device_codePKciS0_iS0_@rel32@lo+4
	s_addc_u32 s3, s3, _ZL14no_device_codePKciS0_iS0_@rel32@hi+12
	s_delay_alu instid0(SALU_CYCLE_1)
	s_swappc_b64 s[30:31], s[2:3]
	.section	.rodata,"a",@progbits
	.p2align	6, 0x0
	.amdhsa_kernel _ZL9mul_mat_fI7__half2Li64ELi11ELi4ELb0EEvPKT_PKfPKiPfiiiiiiiiiiiiiiii
		.amdhsa_group_segment_fixed_size 0
		.amdhsa_private_segment_fixed_size 16
		.amdhsa_kernarg_size 352
		.amdhsa_user_sgpr_count 15
		.amdhsa_user_sgpr_dispatch_ptr 0
		.amdhsa_user_sgpr_queue_ptr 0
		.amdhsa_user_sgpr_kernarg_segment_ptr 1
		.amdhsa_user_sgpr_dispatch_id 0
		.amdhsa_user_sgpr_private_segment_size 0
		.amdhsa_wavefront_size32 1
		.amdhsa_uses_dynamic_stack 0
		.amdhsa_enable_private_segment 1
		.amdhsa_system_sgpr_workgroup_id_x 1
		.amdhsa_system_sgpr_workgroup_id_y 0
		.amdhsa_system_sgpr_workgroup_id_z 0
		.amdhsa_system_sgpr_workgroup_info 0
		.amdhsa_system_vgpr_workitem_id 0
		.amdhsa_next_free_vgpr 38
		.amdhsa_next_free_sgpr 34
		.amdhsa_reserve_vcc 1
		.amdhsa_float_round_mode_32 0
		.amdhsa_float_round_mode_16_64 0
		.amdhsa_float_denorm_mode_32 3
		.amdhsa_float_denorm_mode_16_64 3
		.amdhsa_dx10_clamp 1
		.amdhsa_ieee_mode 1
		.amdhsa_fp16_overflow 0
		.amdhsa_workgroup_processor_mode 1
		.amdhsa_memory_ordered 1
		.amdhsa_forward_progress 0
		.amdhsa_shared_vgpr_count 0
		.amdhsa_exception_fp_ieee_invalid_op 0
		.amdhsa_exception_fp_denorm_src 0
		.amdhsa_exception_fp_ieee_div_zero 0
		.amdhsa_exception_fp_ieee_overflow 0
		.amdhsa_exception_fp_ieee_underflow 0
		.amdhsa_exception_fp_ieee_inexact 0
		.amdhsa_exception_int_div_zero 0
	.end_amdhsa_kernel
	.section	.text._ZL9mul_mat_fI7__half2Li64ELi11ELi4ELb0EEvPKT_PKfPKiPfiiiiiiiiiiiiiiii,"axG",@progbits,_ZL9mul_mat_fI7__half2Li64ELi11ELi4ELb0EEvPKT_PKfPKiPfiiiiiiiiiiiiiiii,comdat
.Lfunc_end110:
	.size	_ZL9mul_mat_fI7__half2Li64ELi11ELi4ELb0EEvPKT_PKfPKiPfiiiiiiiiiiiiiiii, .Lfunc_end110-_ZL9mul_mat_fI7__half2Li64ELi11ELi4ELb0EEvPKT_PKfPKiPfiiiiiiiiiiiiiiii
                                        ; -- End function
	.section	.AMDGPU.csdata,"",@progbits
; Kernel info:
; codeLenInByte = 76
; NumSgprs: 36
; NumVgprs: 38
; ScratchSize: 16
; MemoryBound: 0
; FloatMode: 240
; IeeeMode: 1
; LDSByteSize: 0 bytes/workgroup (compile time only)
; SGPRBlocks: 4
; VGPRBlocks: 4
; NumSGPRsForWavesPerEU: 36
; NumVGPRsForWavesPerEU: 38
; Occupancy: 16
; WaveLimiterHint : 1
; COMPUTE_PGM_RSRC2:SCRATCH_EN: 1
; COMPUTE_PGM_RSRC2:USER_SGPR: 15
; COMPUTE_PGM_RSRC2:TRAP_HANDLER: 0
; COMPUTE_PGM_RSRC2:TGID_X_EN: 1
; COMPUTE_PGM_RSRC2:TGID_Y_EN: 0
; COMPUTE_PGM_RSRC2:TGID_Z_EN: 0
; COMPUTE_PGM_RSRC2:TIDIG_COMP_CNT: 0
	.section	.text._ZL13mul_mat_f_idsI7__half2Li64ELi11ELi5EEvPKT_PKfPKiS7_S7_Pfiiiiiiiiiiiiii15HIP_vector_typeIjLj3EESA_,"axG",@progbits,_ZL13mul_mat_f_idsI7__half2Li64ELi11ELi5EEvPKT_PKfPKiS7_S7_Pfiiiiiiiiiiiiii15HIP_vector_typeIjLj3EESA_,comdat
	.globl	_ZL13mul_mat_f_idsI7__half2Li64ELi11ELi5EEvPKT_PKfPKiS7_S7_Pfiiiiiiiiiiiiii15HIP_vector_typeIjLj3EESA_ ; -- Begin function _ZL13mul_mat_f_idsI7__half2Li64ELi11ELi5EEvPKT_PKfPKiS7_S7_Pfiiiiiiiiiiiiii15HIP_vector_typeIjLj3EESA_
	.p2align	8
	.type	_ZL13mul_mat_f_idsI7__half2Li64ELi11ELi5EEvPKT_PKfPKiS7_S7_Pfiiiiiiiiiiiiii15HIP_vector_typeIjLj3EESA_,@function
_ZL13mul_mat_f_idsI7__half2Li64ELi11ELi5EEvPKT_PKfPKiS7_S7_Pfiiiiiiiiiiiiii15HIP_vector_typeIjLj3EESA_: ; @_ZL13mul_mat_f_idsI7__half2Li64ELi11ELi5EEvPKT_PKfPKiS7_S7_Pfiiiiiiiiiiiiii15HIP_vector_typeIjLj3EESA_
; %bb.0:
	s_add_u32 s8, s0, 0x80
	s_addc_u32 s9, s1, 0
	s_getpc_b64 s[0:1]
	s_add_u32 s0, s0, __FUNCTION__._ZL13mul_mat_f_idsIfLi32ELi11ELi1EEvPKT_PKfPKiS6_S6_Pfiiiiiiiiiiiiii15HIP_vector_typeIjLj3EES9_@rel32@lo+4
	s_addc_u32 s1, s1, __FUNCTION__._ZL13mul_mat_f_idsIfLi32ELi11ELi1EEvPKT_PKfPKiS6_S6_Pfiiiiiiiiiiiiii15HIP_vector_typeIjLj3EES9_@rel32@hi+12
	v_dual_mov_b32 v0, 0x136 :: v_dual_mov_b32 v1, s0
	v_mov_b32_e32 v2, s1
	s_mov_b32 s32, 0
	s_getpc_b64 s[2:3]
	s_add_u32 s2, s2, _ZL14no_device_codePKciS0_iS0_@rel32@lo+4
	s_addc_u32 s3, s3, _ZL14no_device_codePKciS0_iS0_@rel32@hi+12
	s_delay_alu instid0(SALU_CYCLE_1)
	s_swappc_b64 s[30:31], s[2:3]
	.section	.rodata,"a",@progbits
	.p2align	6, 0x0
	.amdhsa_kernel _ZL13mul_mat_f_idsI7__half2Li64ELi11ELi5EEvPKT_PKfPKiS7_S7_Pfiiiiiiiiiiiiii15HIP_vector_typeIjLj3EESA_
		.amdhsa_group_segment_fixed_size 0
		.amdhsa_private_segment_fixed_size 16
		.amdhsa_kernarg_size 384
		.amdhsa_user_sgpr_count 15
		.amdhsa_user_sgpr_dispatch_ptr 0
		.amdhsa_user_sgpr_queue_ptr 0
		.amdhsa_user_sgpr_kernarg_segment_ptr 1
		.amdhsa_user_sgpr_dispatch_id 0
		.amdhsa_user_sgpr_private_segment_size 0
		.amdhsa_wavefront_size32 1
		.amdhsa_uses_dynamic_stack 0
		.amdhsa_enable_private_segment 1
		.amdhsa_system_sgpr_workgroup_id_x 1
		.amdhsa_system_sgpr_workgroup_id_y 0
		.amdhsa_system_sgpr_workgroup_id_z 0
		.amdhsa_system_sgpr_workgroup_info 0
		.amdhsa_system_vgpr_workitem_id 0
		.amdhsa_next_free_vgpr 38
		.amdhsa_next_free_sgpr 34
		.amdhsa_reserve_vcc 1
		.amdhsa_float_round_mode_32 0
		.amdhsa_float_round_mode_16_64 0
		.amdhsa_float_denorm_mode_32 3
		.amdhsa_float_denorm_mode_16_64 3
		.amdhsa_dx10_clamp 1
		.amdhsa_ieee_mode 1
		.amdhsa_fp16_overflow 0
		.amdhsa_workgroup_processor_mode 1
		.amdhsa_memory_ordered 1
		.amdhsa_forward_progress 0
		.amdhsa_shared_vgpr_count 0
		.amdhsa_exception_fp_ieee_invalid_op 0
		.amdhsa_exception_fp_denorm_src 0
		.amdhsa_exception_fp_ieee_div_zero 0
		.amdhsa_exception_fp_ieee_overflow 0
		.amdhsa_exception_fp_ieee_underflow 0
		.amdhsa_exception_fp_ieee_inexact 0
		.amdhsa_exception_int_div_zero 0
	.end_amdhsa_kernel
	.section	.text._ZL13mul_mat_f_idsI7__half2Li64ELi11ELi5EEvPKT_PKfPKiS7_S7_Pfiiiiiiiiiiiiii15HIP_vector_typeIjLj3EESA_,"axG",@progbits,_ZL13mul_mat_f_idsI7__half2Li64ELi11ELi5EEvPKT_PKfPKiS7_S7_Pfiiiiiiiiiiiiii15HIP_vector_typeIjLj3EESA_,comdat
.Lfunc_end111:
	.size	_ZL13mul_mat_f_idsI7__half2Li64ELi11ELi5EEvPKT_PKfPKiS7_S7_Pfiiiiiiiiiiiiii15HIP_vector_typeIjLj3EESA_, .Lfunc_end111-_ZL13mul_mat_f_idsI7__half2Li64ELi11ELi5EEvPKT_PKfPKiS7_S7_Pfiiiiiiiiiiiiii15HIP_vector_typeIjLj3EESA_
                                        ; -- End function
	.section	.AMDGPU.csdata,"",@progbits
; Kernel info:
; codeLenInByte = 80
; NumSgprs: 36
; NumVgprs: 38
; ScratchSize: 16
; MemoryBound: 0
; FloatMode: 240
; IeeeMode: 1
; LDSByteSize: 0 bytes/workgroup (compile time only)
; SGPRBlocks: 4
; VGPRBlocks: 4
; NumSGPRsForWavesPerEU: 36
; NumVGPRsForWavesPerEU: 38
; Occupancy: 15
; WaveLimiterHint : 1
; COMPUTE_PGM_RSRC2:SCRATCH_EN: 1
; COMPUTE_PGM_RSRC2:USER_SGPR: 15
; COMPUTE_PGM_RSRC2:TRAP_HANDLER: 0
; COMPUTE_PGM_RSRC2:TGID_X_EN: 1
; COMPUTE_PGM_RSRC2:TGID_Y_EN: 0
; COMPUTE_PGM_RSRC2:TGID_Z_EN: 0
; COMPUTE_PGM_RSRC2:TIDIG_COMP_CNT: 0
	.section	.text._ZL9mul_mat_fI7__half2Li64ELi11ELi5ELb1EEvPKT_PKfPKiPfiiiiiiiiiiiiiiii,"axG",@progbits,_ZL9mul_mat_fI7__half2Li64ELi11ELi5ELb1EEvPKT_PKfPKiPfiiiiiiiiiiiiiiii,comdat
	.globl	_ZL9mul_mat_fI7__half2Li64ELi11ELi5ELb1EEvPKT_PKfPKiPfiiiiiiiiiiiiiiii ; -- Begin function _ZL9mul_mat_fI7__half2Li64ELi11ELi5ELb1EEvPKT_PKfPKiPfiiiiiiiiiiiiiiii
	.p2align	8
	.type	_ZL9mul_mat_fI7__half2Li64ELi11ELi5ELb1EEvPKT_PKfPKiPfiiiiiiiiiiiiiiii,@function
_ZL9mul_mat_fI7__half2Li64ELi11ELi5ELb1EEvPKT_PKfPKiPfiiiiiiiiiiiiiiii: ; @_ZL9mul_mat_fI7__half2Li64ELi11ELi5ELb1EEvPKT_PKfPKiPfiiiiiiiiiiiiiiii
; %bb.0:
	s_add_u32 s8, s0, 0x60
	s_addc_u32 s9, s1, 0
	s_getpc_b64 s[0:1]
	s_add_u32 s0, s0, __FUNCTION__._ZL9mul_mat_fIfLi32ELi11ELi1ELb1EEvPKT_PKfPKiPfiiiiiiiiiiiiiiii@rel32@lo+4
	s_addc_u32 s1, s1, __FUNCTION__._ZL9mul_mat_fIfLi32ELi11ELi1ELb1EEvPKT_PKfPKiPfiiiiiiiiiiiiiiii@rel32@hi+12
	v_dual_mov_b32 v0, 59 :: v_dual_mov_b32 v1, s0
	v_mov_b32_e32 v2, s1
	s_mov_b32 s32, 0
	s_getpc_b64 s[2:3]
	s_add_u32 s2, s2, _ZL14no_device_codePKciS0_iS0_@rel32@lo+4
	s_addc_u32 s3, s3, _ZL14no_device_codePKciS0_iS0_@rel32@hi+12
	s_delay_alu instid0(SALU_CYCLE_1)
	s_swappc_b64 s[30:31], s[2:3]
	.section	.rodata,"a",@progbits
	.p2align	6, 0x0
	.amdhsa_kernel _ZL9mul_mat_fI7__half2Li64ELi11ELi5ELb1EEvPKT_PKfPKiPfiiiiiiiiiiiiiiii
		.amdhsa_group_segment_fixed_size 0
		.amdhsa_private_segment_fixed_size 16
		.amdhsa_kernarg_size 352
		.amdhsa_user_sgpr_count 15
		.amdhsa_user_sgpr_dispatch_ptr 0
		.amdhsa_user_sgpr_queue_ptr 0
		.amdhsa_user_sgpr_kernarg_segment_ptr 1
		.amdhsa_user_sgpr_dispatch_id 0
		.amdhsa_user_sgpr_private_segment_size 0
		.amdhsa_wavefront_size32 1
		.amdhsa_uses_dynamic_stack 0
		.amdhsa_enable_private_segment 1
		.amdhsa_system_sgpr_workgroup_id_x 1
		.amdhsa_system_sgpr_workgroup_id_y 0
		.amdhsa_system_sgpr_workgroup_id_z 0
		.amdhsa_system_sgpr_workgroup_info 0
		.amdhsa_system_vgpr_workitem_id 0
		.amdhsa_next_free_vgpr 38
		.amdhsa_next_free_sgpr 34
		.amdhsa_reserve_vcc 1
		.amdhsa_float_round_mode_32 0
		.amdhsa_float_round_mode_16_64 0
		.amdhsa_float_denorm_mode_32 3
		.amdhsa_float_denorm_mode_16_64 3
		.amdhsa_dx10_clamp 1
		.amdhsa_ieee_mode 1
		.amdhsa_fp16_overflow 0
		.amdhsa_workgroup_processor_mode 1
		.amdhsa_memory_ordered 1
		.amdhsa_forward_progress 0
		.amdhsa_shared_vgpr_count 0
		.amdhsa_exception_fp_ieee_invalid_op 0
		.amdhsa_exception_fp_denorm_src 0
		.amdhsa_exception_fp_ieee_div_zero 0
		.amdhsa_exception_fp_ieee_overflow 0
		.amdhsa_exception_fp_ieee_underflow 0
		.amdhsa_exception_fp_ieee_inexact 0
		.amdhsa_exception_int_div_zero 0
	.end_amdhsa_kernel
	.section	.text._ZL9mul_mat_fI7__half2Li64ELi11ELi5ELb1EEvPKT_PKfPKiPfiiiiiiiiiiiiiiii,"axG",@progbits,_ZL9mul_mat_fI7__half2Li64ELi11ELi5ELb1EEvPKT_PKfPKiPfiiiiiiiiiiiiiiii,comdat
.Lfunc_end112:
	.size	_ZL9mul_mat_fI7__half2Li64ELi11ELi5ELb1EEvPKT_PKfPKiPfiiiiiiiiiiiiiiii, .Lfunc_end112-_ZL9mul_mat_fI7__half2Li64ELi11ELi5ELb1EEvPKT_PKfPKiPfiiiiiiiiiiiiiiii
                                        ; -- End function
	.section	.AMDGPU.csdata,"",@progbits
; Kernel info:
; codeLenInByte = 76
; NumSgprs: 36
; NumVgprs: 38
; ScratchSize: 16
; MemoryBound: 0
; FloatMode: 240
; IeeeMode: 1
; LDSByteSize: 0 bytes/workgroup (compile time only)
; SGPRBlocks: 4
; VGPRBlocks: 4
; NumSGPRsForWavesPerEU: 36
; NumVGPRsForWavesPerEU: 38
; Occupancy: 15
; WaveLimiterHint : 1
; COMPUTE_PGM_RSRC2:SCRATCH_EN: 1
; COMPUTE_PGM_RSRC2:USER_SGPR: 15
; COMPUTE_PGM_RSRC2:TRAP_HANDLER: 0
; COMPUTE_PGM_RSRC2:TGID_X_EN: 1
; COMPUTE_PGM_RSRC2:TGID_Y_EN: 0
; COMPUTE_PGM_RSRC2:TGID_Z_EN: 0
; COMPUTE_PGM_RSRC2:TIDIG_COMP_CNT: 0
	.section	.text._ZL9mul_mat_fI7__half2Li64ELi11ELi5ELb0EEvPKT_PKfPKiPfiiiiiiiiiiiiiiii,"axG",@progbits,_ZL9mul_mat_fI7__half2Li64ELi11ELi5ELb0EEvPKT_PKfPKiPfiiiiiiiiiiiiiiii,comdat
	.globl	_ZL9mul_mat_fI7__half2Li64ELi11ELi5ELb0EEvPKT_PKfPKiPfiiiiiiiiiiiiiiii ; -- Begin function _ZL9mul_mat_fI7__half2Li64ELi11ELi5ELb0EEvPKT_PKfPKiPfiiiiiiiiiiiiiiii
	.p2align	8
	.type	_ZL9mul_mat_fI7__half2Li64ELi11ELi5ELb0EEvPKT_PKfPKiPfiiiiiiiiiiiiiiii,@function
_ZL9mul_mat_fI7__half2Li64ELi11ELi5ELb0EEvPKT_PKfPKiPfiiiiiiiiiiiiiiii: ; @_ZL9mul_mat_fI7__half2Li64ELi11ELi5ELb0EEvPKT_PKfPKiPfiiiiiiiiiiiiiiii
; %bb.0:
	s_add_u32 s8, s0, 0x60
	s_addc_u32 s9, s1, 0
	s_getpc_b64 s[0:1]
	s_add_u32 s0, s0, __FUNCTION__._ZL9mul_mat_fIfLi32ELi11ELi1ELb1EEvPKT_PKfPKiPfiiiiiiiiiiiiiiii@rel32@lo+4
	s_addc_u32 s1, s1, __FUNCTION__._ZL9mul_mat_fIfLi32ELi11ELi1ELb1EEvPKT_PKfPKiPfiiiiiiiiiiiiiiii@rel32@hi+12
	v_dual_mov_b32 v0, 59 :: v_dual_mov_b32 v1, s0
	v_mov_b32_e32 v2, s1
	s_mov_b32 s32, 0
	s_getpc_b64 s[2:3]
	s_add_u32 s2, s2, _ZL14no_device_codePKciS0_iS0_@rel32@lo+4
	s_addc_u32 s3, s3, _ZL14no_device_codePKciS0_iS0_@rel32@hi+12
	s_delay_alu instid0(SALU_CYCLE_1)
	s_swappc_b64 s[30:31], s[2:3]
	.section	.rodata,"a",@progbits
	.p2align	6, 0x0
	.amdhsa_kernel _ZL9mul_mat_fI7__half2Li64ELi11ELi5ELb0EEvPKT_PKfPKiPfiiiiiiiiiiiiiiii
		.amdhsa_group_segment_fixed_size 0
		.amdhsa_private_segment_fixed_size 16
		.amdhsa_kernarg_size 352
		.amdhsa_user_sgpr_count 15
		.amdhsa_user_sgpr_dispatch_ptr 0
		.amdhsa_user_sgpr_queue_ptr 0
		.amdhsa_user_sgpr_kernarg_segment_ptr 1
		.amdhsa_user_sgpr_dispatch_id 0
		.amdhsa_user_sgpr_private_segment_size 0
		.amdhsa_wavefront_size32 1
		.amdhsa_uses_dynamic_stack 0
		.amdhsa_enable_private_segment 1
		.amdhsa_system_sgpr_workgroup_id_x 1
		.amdhsa_system_sgpr_workgroup_id_y 0
		.amdhsa_system_sgpr_workgroup_id_z 0
		.amdhsa_system_sgpr_workgroup_info 0
		.amdhsa_system_vgpr_workitem_id 0
		.amdhsa_next_free_vgpr 38
		.amdhsa_next_free_sgpr 34
		.amdhsa_reserve_vcc 1
		.amdhsa_float_round_mode_32 0
		.amdhsa_float_round_mode_16_64 0
		.amdhsa_float_denorm_mode_32 3
		.amdhsa_float_denorm_mode_16_64 3
		.amdhsa_dx10_clamp 1
		.amdhsa_ieee_mode 1
		.amdhsa_fp16_overflow 0
		.amdhsa_workgroup_processor_mode 1
		.amdhsa_memory_ordered 1
		.amdhsa_forward_progress 0
		.amdhsa_shared_vgpr_count 0
		.amdhsa_exception_fp_ieee_invalid_op 0
		.amdhsa_exception_fp_denorm_src 0
		.amdhsa_exception_fp_ieee_div_zero 0
		.amdhsa_exception_fp_ieee_overflow 0
		.amdhsa_exception_fp_ieee_underflow 0
		.amdhsa_exception_fp_ieee_inexact 0
		.amdhsa_exception_int_div_zero 0
	.end_amdhsa_kernel
	.section	.text._ZL9mul_mat_fI7__half2Li64ELi11ELi5ELb0EEvPKT_PKfPKiPfiiiiiiiiiiiiiiii,"axG",@progbits,_ZL9mul_mat_fI7__half2Li64ELi11ELi5ELb0EEvPKT_PKfPKiPfiiiiiiiiiiiiiiii,comdat
.Lfunc_end113:
	.size	_ZL9mul_mat_fI7__half2Li64ELi11ELi5ELb0EEvPKT_PKfPKiPfiiiiiiiiiiiiiiii, .Lfunc_end113-_ZL9mul_mat_fI7__half2Li64ELi11ELi5ELb0EEvPKT_PKfPKiPfiiiiiiiiiiiiiiii
                                        ; -- End function
	.section	.AMDGPU.csdata,"",@progbits
; Kernel info:
; codeLenInByte = 76
; NumSgprs: 36
; NumVgprs: 38
; ScratchSize: 16
; MemoryBound: 0
; FloatMode: 240
; IeeeMode: 1
; LDSByteSize: 0 bytes/workgroup (compile time only)
; SGPRBlocks: 4
; VGPRBlocks: 4
; NumSGPRsForWavesPerEU: 36
; NumVGPRsForWavesPerEU: 38
; Occupancy: 15
; WaveLimiterHint : 1
; COMPUTE_PGM_RSRC2:SCRATCH_EN: 1
; COMPUTE_PGM_RSRC2:USER_SGPR: 15
; COMPUTE_PGM_RSRC2:TRAP_HANDLER: 0
; COMPUTE_PGM_RSRC2:TGID_X_EN: 1
; COMPUTE_PGM_RSRC2:TGID_Y_EN: 0
; COMPUTE_PGM_RSRC2:TGID_Z_EN: 0
; COMPUTE_PGM_RSRC2:TIDIG_COMP_CNT: 0
	.section	.text._ZL13mul_mat_f_idsI7__half2Li64ELi11ELi6EEvPKT_PKfPKiS7_S7_Pfiiiiiiiiiiiiii15HIP_vector_typeIjLj3EESA_,"axG",@progbits,_ZL13mul_mat_f_idsI7__half2Li64ELi11ELi6EEvPKT_PKfPKiS7_S7_Pfiiiiiiiiiiiiii15HIP_vector_typeIjLj3EESA_,comdat
	.globl	_ZL13mul_mat_f_idsI7__half2Li64ELi11ELi6EEvPKT_PKfPKiS7_S7_Pfiiiiiiiiiiiiii15HIP_vector_typeIjLj3EESA_ ; -- Begin function _ZL13mul_mat_f_idsI7__half2Li64ELi11ELi6EEvPKT_PKfPKiS7_S7_Pfiiiiiiiiiiiiii15HIP_vector_typeIjLj3EESA_
	.p2align	8
	.type	_ZL13mul_mat_f_idsI7__half2Li64ELi11ELi6EEvPKT_PKfPKiS7_S7_Pfiiiiiiiiiiiiii15HIP_vector_typeIjLj3EESA_,@function
_ZL13mul_mat_f_idsI7__half2Li64ELi11ELi6EEvPKT_PKfPKiS7_S7_Pfiiiiiiiiiiiiii15HIP_vector_typeIjLj3EESA_: ; @_ZL13mul_mat_f_idsI7__half2Li64ELi11ELi6EEvPKT_PKfPKiS7_S7_Pfiiiiiiiiiiiiii15HIP_vector_typeIjLj3EESA_
; %bb.0:
	s_add_u32 s8, s0, 0x80
	s_addc_u32 s9, s1, 0
	s_getpc_b64 s[0:1]
	s_add_u32 s0, s0, __FUNCTION__._ZL13mul_mat_f_idsIfLi32ELi11ELi1EEvPKT_PKfPKiS6_S6_Pfiiiiiiiiiiiiii15HIP_vector_typeIjLj3EES9_@rel32@lo+4
	s_addc_u32 s1, s1, __FUNCTION__._ZL13mul_mat_f_idsIfLi32ELi11ELi1EEvPKT_PKfPKiS6_S6_Pfiiiiiiiiiiiiii15HIP_vector_typeIjLj3EES9_@rel32@hi+12
	v_dual_mov_b32 v0, 0x136 :: v_dual_mov_b32 v1, s0
	v_mov_b32_e32 v2, s1
	s_mov_b32 s32, 0
	s_getpc_b64 s[2:3]
	s_add_u32 s2, s2, _ZL14no_device_codePKciS0_iS0_@rel32@lo+4
	s_addc_u32 s3, s3, _ZL14no_device_codePKciS0_iS0_@rel32@hi+12
	s_delay_alu instid0(SALU_CYCLE_1)
	s_swappc_b64 s[30:31], s[2:3]
	.section	.rodata,"a",@progbits
	.p2align	6, 0x0
	.amdhsa_kernel _ZL13mul_mat_f_idsI7__half2Li64ELi11ELi6EEvPKT_PKfPKiS7_S7_Pfiiiiiiiiiiiiii15HIP_vector_typeIjLj3EESA_
		.amdhsa_group_segment_fixed_size 0
		.amdhsa_private_segment_fixed_size 16
		.amdhsa_kernarg_size 384
		.amdhsa_user_sgpr_count 15
		.amdhsa_user_sgpr_dispatch_ptr 0
		.amdhsa_user_sgpr_queue_ptr 0
		.amdhsa_user_sgpr_kernarg_segment_ptr 1
		.amdhsa_user_sgpr_dispatch_id 0
		.amdhsa_user_sgpr_private_segment_size 0
		.amdhsa_wavefront_size32 1
		.amdhsa_uses_dynamic_stack 0
		.amdhsa_enable_private_segment 1
		.amdhsa_system_sgpr_workgroup_id_x 1
		.amdhsa_system_sgpr_workgroup_id_y 0
		.amdhsa_system_sgpr_workgroup_id_z 0
		.amdhsa_system_sgpr_workgroup_info 0
		.amdhsa_system_vgpr_workitem_id 0
		.amdhsa_next_free_vgpr 38
		.amdhsa_next_free_sgpr 34
		.amdhsa_reserve_vcc 1
		.amdhsa_float_round_mode_32 0
		.amdhsa_float_round_mode_16_64 0
		.amdhsa_float_denorm_mode_32 3
		.amdhsa_float_denorm_mode_16_64 3
		.amdhsa_dx10_clamp 1
		.amdhsa_ieee_mode 1
		.amdhsa_fp16_overflow 0
		.amdhsa_workgroup_processor_mode 1
		.amdhsa_memory_ordered 1
		.amdhsa_forward_progress 0
		.amdhsa_shared_vgpr_count 0
		.amdhsa_exception_fp_ieee_invalid_op 0
		.amdhsa_exception_fp_denorm_src 0
		.amdhsa_exception_fp_ieee_div_zero 0
		.amdhsa_exception_fp_ieee_overflow 0
		.amdhsa_exception_fp_ieee_underflow 0
		.amdhsa_exception_fp_ieee_inexact 0
		.amdhsa_exception_int_div_zero 0
	.end_amdhsa_kernel
	.section	.text._ZL13mul_mat_f_idsI7__half2Li64ELi11ELi6EEvPKT_PKfPKiS7_S7_Pfiiiiiiiiiiiiii15HIP_vector_typeIjLj3EESA_,"axG",@progbits,_ZL13mul_mat_f_idsI7__half2Li64ELi11ELi6EEvPKT_PKfPKiS7_S7_Pfiiiiiiiiiiiiii15HIP_vector_typeIjLj3EESA_,comdat
.Lfunc_end114:
	.size	_ZL13mul_mat_f_idsI7__half2Li64ELi11ELi6EEvPKT_PKfPKiS7_S7_Pfiiiiiiiiiiiiii15HIP_vector_typeIjLj3EESA_, .Lfunc_end114-_ZL13mul_mat_f_idsI7__half2Li64ELi11ELi6EEvPKT_PKfPKiS7_S7_Pfiiiiiiiiiiiiii15HIP_vector_typeIjLj3EESA_
                                        ; -- End function
	.section	.AMDGPU.csdata,"",@progbits
; Kernel info:
; codeLenInByte = 80
; NumSgprs: 36
; NumVgprs: 38
; ScratchSize: 16
; MemoryBound: 0
; FloatMode: 240
; IeeeMode: 1
; LDSByteSize: 0 bytes/workgroup (compile time only)
; SGPRBlocks: 4
; VGPRBlocks: 4
; NumSGPRsForWavesPerEU: 36
; NumVGPRsForWavesPerEU: 38
; Occupancy: 15
; WaveLimiterHint : 1
; COMPUTE_PGM_RSRC2:SCRATCH_EN: 1
; COMPUTE_PGM_RSRC2:USER_SGPR: 15
; COMPUTE_PGM_RSRC2:TRAP_HANDLER: 0
; COMPUTE_PGM_RSRC2:TGID_X_EN: 1
; COMPUTE_PGM_RSRC2:TGID_Y_EN: 0
; COMPUTE_PGM_RSRC2:TGID_Z_EN: 0
; COMPUTE_PGM_RSRC2:TIDIG_COMP_CNT: 0
	.section	.text._ZL9mul_mat_fI7__half2Li64ELi11ELi6ELb1EEvPKT_PKfPKiPfiiiiiiiiiiiiiiii,"axG",@progbits,_ZL9mul_mat_fI7__half2Li64ELi11ELi6ELb1EEvPKT_PKfPKiPfiiiiiiiiiiiiiiii,comdat
	.globl	_ZL9mul_mat_fI7__half2Li64ELi11ELi6ELb1EEvPKT_PKfPKiPfiiiiiiiiiiiiiiii ; -- Begin function _ZL9mul_mat_fI7__half2Li64ELi11ELi6ELb1EEvPKT_PKfPKiPfiiiiiiiiiiiiiiii
	.p2align	8
	.type	_ZL9mul_mat_fI7__half2Li64ELi11ELi6ELb1EEvPKT_PKfPKiPfiiiiiiiiiiiiiiii,@function
_ZL9mul_mat_fI7__half2Li64ELi11ELi6ELb1EEvPKT_PKfPKiPfiiiiiiiiiiiiiiii: ; @_ZL9mul_mat_fI7__half2Li64ELi11ELi6ELb1EEvPKT_PKfPKiPfiiiiiiiiiiiiiiii
; %bb.0:
	s_add_u32 s8, s0, 0x60
	s_addc_u32 s9, s1, 0
	s_getpc_b64 s[0:1]
	s_add_u32 s0, s0, __FUNCTION__._ZL9mul_mat_fIfLi32ELi11ELi1ELb1EEvPKT_PKfPKiPfiiiiiiiiiiiiiiii@rel32@lo+4
	s_addc_u32 s1, s1, __FUNCTION__._ZL9mul_mat_fIfLi32ELi11ELi1ELb1EEvPKT_PKfPKiPfiiiiiiiiiiiiiiii@rel32@hi+12
	v_dual_mov_b32 v0, 59 :: v_dual_mov_b32 v1, s0
	v_mov_b32_e32 v2, s1
	s_mov_b32 s32, 0
	s_getpc_b64 s[2:3]
	s_add_u32 s2, s2, _ZL14no_device_codePKciS0_iS0_@rel32@lo+4
	s_addc_u32 s3, s3, _ZL14no_device_codePKciS0_iS0_@rel32@hi+12
	s_delay_alu instid0(SALU_CYCLE_1)
	s_swappc_b64 s[30:31], s[2:3]
	.section	.rodata,"a",@progbits
	.p2align	6, 0x0
	.amdhsa_kernel _ZL9mul_mat_fI7__half2Li64ELi11ELi6ELb1EEvPKT_PKfPKiPfiiiiiiiiiiiiiiii
		.amdhsa_group_segment_fixed_size 0
		.amdhsa_private_segment_fixed_size 16
		.amdhsa_kernarg_size 352
		.amdhsa_user_sgpr_count 15
		.amdhsa_user_sgpr_dispatch_ptr 0
		.amdhsa_user_sgpr_queue_ptr 0
		.amdhsa_user_sgpr_kernarg_segment_ptr 1
		.amdhsa_user_sgpr_dispatch_id 0
		.amdhsa_user_sgpr_private_segment_size 0
		.amdhsa_wavefront_size32 1
		.amdhsa_uses_dynamic_stack 0
		.amdhsa_enable_private_segment 1
		.amdhsa_system_sgpr_workgroup_id_x 1
		.amdhsa_system_sgpr_workgroup_id_y 0
		.amdhsa_system_sgpr_workgroup_id_z 0
		.amdhsa_system_sgpr_workgroup_info 0
		.amdhsa_system_vgpr_workitem_id 0
		.amdhsa_next_free_vgpr 38
		.amdhsa_next_free_sgpr 34
		.amdhsa_reserve_vcc 1
		.amdhsa_float_round_mode_32 0
		.amdhsa_float_round_mode_16_64 0
		.amdhsa_float_denorm_mode_32 3
		.amdhsa_float_denorm_mode_16_64 3
		.amdhsa_dx10_clamp 1
		.amdhsa_ieee_mode 1
		.amdhsa_fp16_overflow 0
		.amdhsa_workgroup_processor_mode 1
		.amdhsa_memory_ordered 1
		.amdhsa_forward_progress 0
		.amdhsa_shared_vgpr_count 0
		.amdhsa_exception_fp_ieee_invalid_op 0
		.amdhsa_exception_fp_denorm_src 0
		.amdhsa_exception_fp_ieee_div_zero 0
		.amdhsa_exception_fp_ieee_overflow 0
		.amdhsa_exception_fp_ieee_underflow 0
		.amdhsa_exception_fp_ieee_inexact 0
		.amdhsa_exception_int_div_zero 0
	.end_amdhsa_kernel
	.section	.text._ZL9mul_mat_fI7__half2Li64ELi11ELi6ELb1EEvPKT_PKfPKiPfiiiiiiiiiiiiiiii,"axG",@progbits,_ZL9mul_mat_fI7__half2Li64ELi11ELi6ELb1EEvPKT_PKfPKiPfiiiiiiiiiiiiiiii,comdat
.Lfunc_end115:
	.size	_ZL9mul_mat_fI7__half2Li64ELi11ELi6ELb1EEvPKT_PKfPKiPfiiiiiiiiiiiiiiii, .Lfunc_end115-_ZL9mul_mat_fI7__half2Li64ELi11ELi6ELb1EEvPKT_PKfPKiPfiiiiiiiiiiiiiiii
                                        ; -- End function
	.section	.AMDGPU.csdata,"",@progbits
; Kernel info:
; codeLenInByte = 76
; NumSgprs: 36
; NumVgprs: 38
; ScratchSize: 16
; MemoryBound: 0
; FloatMode: 240
; IeeeMode: 1
; LDSByteSize: 0 bytes/workgroup (compile time only)
; SGPRBlocks: 4
; VGPRBlocks: 4
; NumSGPRsForWavesPerEU: 36
; NumVGPRsForWavesPerEU: 38
; Occupancy: 15
; WaveLimiterHint : 1
; COMPUTE_PGM_RSRC2:SCRATCH_EN: 1
; COMPUTE_PGM_RSRC2:USER_SGPR: 15
; COMPUTE_PGM_RSRC2:TRAP_HANDLER: 0
; COMPUTE_PGM_RSRC2:TGID_X_EN: 1
; COMPUTE_PGM_RSRC2:TGID_Y_EN: 0
; COMPUTE_PGM_RSRC2:TGID_Z_EN: 0
; COMPUTE_PGM_RSRC2:TIDIG_COMP_CNT: 0
	.section	.text._ZL9mul_mat_fI7__half2Li64ELi11ELi6ELb0EEvPKT_PKfPKiPfiiiiiiiiiiiiiiii,"axG",@progbits,_ZL9mul_mat_fI7__half2Li64ELi11ELi6ELb0EEvPKT_PKfPKiPfiiiiiiiiiiiiiiii,comdat
	.globl	_ZL9mul_mat_fI7__half2Li64ELi11ELi6ELb0EEvPKT_PKfPKiPfiiiiiiiiiiiiiiii ; -- Begin function _ZL9mul_mat_fI7__half2Li64ELi11ELi6ELb0EEvPKT_PKfPKiPfiiiiiiiiiiiiiiii
	.p2align	8
	.type	_ZL9mul_mat_fI7__half2Li64ELi11ELi6ELb0EEvPKT_PKfPKiPfiiiiiiiiiiiiiiii,@function
_ZL9mul_mat_fI7__half2Li64ELi11ELi6ELb0EEvPKT_PKfPKiPfiiiiiiiiiiiiiiii: ; @_ZL9mul_mat_fI7__half2Li64ELi11ELi6ELb0EEvPKT_PKfPKiPfiiiiiiiiiiiiiiii
; %bb.0:
	s_add_u32 s8, s0, 0x60
	s_addc_u32 s9, s1, 0
	s_getpc_b64 s[0:1]
	s_add_u32 s0, s0, __FUNCTION__._ZL9mul_mat_fIfLi32ELi11ELi1ELb1EEvPKT_PKfPKiPfiiiiiiiiiiiiiiii@rel32@lo+4
	s_addc_u32 s1, s1, __FUNCTION__._ZL9mul_mat_fIfLi32ELi11ELi1ELb1EEvPKT_PKfPKiPfiiiiiiiiiiiiiiii@rel32@hi+12
	v_dual_mov_b32 v0, 59 :: v_dual_mov_b32 v1, s0
	v_mov_b32_e32 v2, s1
	s_mov_b32 s32, 0
	s_getpc_b64 s[2:3]
	s_add_u32 s2, s2, _ZL14no_device_codePKciS0_iS0_@rel32@lo+4
	s_addc_u32 s3, s3, _ZL14no_device_codePKciS0_iS0_@rel32@hi+12
	s_delay_alu instid0(SALU_CYCLE_1)
	s_swappc_b64 s[30:31], s[2:3]
	.section	.rodata,"a",@progbits
	.p2align	6, 0x0
	.amdhsa_kernel _ZL9mul_mat_fI7__half2Li64ELi11ELi6ELb0EEvPKT_PKfPKiPfiiiiiiiiiiiiiiii
		.amdhsa_group_segment_fixed_size 0
		.amdhsa_private_segment_fixed_size 16
		.amdhsa_kernarg_size 352
		.amdhsa_user_sgpr_count 15
		.amdhsa_user_sgpr_dispatch_ptr 0
		.amdhsa_user_sgpr_queue_ptr 0
		.amdhsa_user_sgpr_kernarg_segment_ptr 1
		.amdhsa_user_sgpr_dispatch_id 0
		.amdhsa_user_sgpr_private_segment_size 0
		.amdhsa_wavefront_size32 1
		.amdhsa_uses_dynamic_stack 0
		.amdhsa_enable_private_segment 1
		.amdhsa_system_sgpr_workgroup_id_x 1
		.amdhsa_system_sgpr_workgroup_id_y 0
		.amdhsa_system_sgpr_workgroup_id_z 0
		.amdhsa_system_sgpr_workgroup_info 0
		.amdhsa_system_vgpr_workitem_id 0
		.amdhsa_next_free_vgpr 38
		.amdhsa_next_free_sgpr 34
		.amdhsa_reserve_vcc 1
		.amdhsa_float_round_mode_32 0
		.amdhsa_float_round_mode_16_64 0
		.amdhsa_float_denorm_mode_32 3
		.amdhsa_float_denorm_mode_16_64 3
		.amdhsa_dx10_clamp 1
		.amdhsa_ieee_mode 1
		.amdhsa_fp16_overflow 0
		.amdhsa_workgroup_processor_mode 1
		.amdhsa_memory_ordered 1
		.amdhsa_forward_progress 0
		.amdhsa_shared_vgpr_count 0
		.amdhsa_exception_fp_ieee_invalid_op 0
		.amdhsa_exception_fp_denorm_src 0
		.amdhsa_exception_fp_ieee_div_zero 0
		.amdhsa_exception_fp_ieee_overflow 0
		.amdhsa_exception_fp_ieee_underflow 0
		.amdhsa_exception_fp_ieee_inexact 0
		.amdhsa_exception_int_div_zero 0
	.end_amdhsa_kernel
	.section	.text._ZL9mul_mat_fI7__half2Li64ELi11ELi6ELb0EEvPKT_PKfPKiPfiiiiiiiiiiiiiiii,"axG",@progbits,_ZL9mul_mat_fI7__half2Li64ELi11ELi6ELb0EEvPKT_PKfPKiPfiiiiiiiiiiiiiiii,comdat
.Lfunc_end116:
	.size	_ZL9mul_mat_fI7__half2Li64ELi11ELi6ELb0EEvPKT_PKfPKiPfiiiiiiiiiiiiiiii, .Lfunc_end116-_ZL9mul_mat_fI7__half2Li64ELi11ELi6ELb0EEvPKT_PKfPKiPfiiiiiiiiiiiiiiii
                                        ; -- End function
	.section	.AMDGPU.csdata,"",@progbits
; Kernel info:
; codeLenInByte = 76
; NumSgprs: 36
; NumVgprs: 38
; ScratchSize: 16
; MemoryBound: 0
; FloatMode: 240
; IeeeMode: 1
; LDSByteSize: 0 bytes/workgroup (compile time only)
; SGPRBlocks: 4
; VGPRBlocks: 4
; NumSGPRsForWavesPerEU: 36
; NumVGPRsForWavesPerEU: 38
; Occupancy: 15
; WaveLimiterHint : 1
; COMPUTE_PGM_RSRC2:SCRATCH_EN: 1
; COMPUTE_PGM_RSRC2:USER_SGPR: 15
; COMPUTE_PGM_RSRC2:TRAP_HANDLER: 0
; COMPUTE_PGM_RSRC2:TGID_X_EN: 1
; COMPUTE_PGM_RSRC2:TGID_Y_EN: 0
; COMPUTE_PGM_RSRC2:TGID_Z_EN: 0
; COMPUTE_PGM_RSRC2:TIDIG_COMP_CNT: 0
	.section	.text._ZL13mul_mat_f_idsI7__half2Li64ELi11ELi7EEvPKT_PKfPKiS7_S7_Pfiiiiiiiiiiiiii15HIP_vector_typeIjLj3EESA_,"axG",@progbits,_ZL13mul_mat_f_idsI7__half2Li64ELi11ELi7EEvPKT_PKfPKiS7_S7_Pfiiiiiiiiiiiiii15HIP_vector_typeIjLj3EESA_,comdat
	.globl	_ZL13mul_mat_f_idsI7__half2Li64ELi11ELi7EEvPKT_PKfPKiS7_S7_Pfiiiiiiiiiiiiii15HIP_vector_typeIjLj3EESA_ ; -- Begin function _ZL13mul_mat_f_idsI7__half2Li64ELi11ELi7EEvPKT_PKfPKiS7_S7_Pfiiiiiiiiiiiiii15HIP_vector_typeIjLj3EESA_
	.p2align	8
	.type	_ZL13mul_mat_f_idsI7__half2Li64ELi11ELi7EEvPKT_PKfPKiS7_S7_Pfiiiiiiiiiiiiii15HIP_vector_typeIjLj3EESA_,@function
_ZL13mul_mat_f_idsI7__half2Li64ELi11ELi7EEvPKT_PKfPKiS7_S7_Pfiiiiiiiiiiiiii15HIP_vector_typeIjLj3EESA_: ; @_ZL13mul_mat_f_idsI7__half2Li64ELi11ELi7EEvPKT_PKfPKiS7_S7_Pfiiiiiiiiiiiiii15HIP_vector_typeIjLj3EESA_
; %bb.0:
	s_add_u32 s8, s0, 0x80
	s_addc_u32 s9, s1, 0
	s_getpc_b64 s[0:1]
	s_add_u32 s0, s0, __FUNCTION__._ZL13mul_mat_f_idsIfLi32ELi11ELi1EEvPKT_PKfPKiS6_S6_Pfiiiiiiiiiiiiii15HIP_vector_typeIjLj3EES9_@rel32@lo+4
	s_addc_u32 s1, s1, __FUNCTION__._ZL13mul_mat_f_idsIfLi32ELi11ELi1EEvPKT_PKfPKiS6_S6_Pfiiiiiiiiiiiiii15HIP_vector_typeIjLj3EES9_@rel32@hi+12
	v_dual_mov_b32 v0, 0x136 :: v_dual_mov_b32 v1, s0
	v_mov_b32_e32 v2, s1
	s_mov_b32 s32, 0
	s_getpc_b64 s[2:3]
	s_add_u32 s2, s2, _ZL14no_device_codePKciS0_iS0_@rel32@lo+4
	s_addc_u32 s3, s3, _ZL14no_device_codePKciS0_iS0_@rel32@hi+12
	s_delay_alu instid0(SALU_CYCLE_1)
	s_swappc_b64 s[30:31], s[2:3]
	.section	.rodata,"a",@progbits
	.p2align	6, 0x0
	.amdhsa_kernel _ZL13mul_mat_f_idsI7__half2Li64ELi11ELi7EEvPKT_PKfPKiS7_S7_Pfiiiiiiiiiiiiii15HIP_vector_typeIjLj3EESA_
		.amdhsa_group_segment_fixed_size 0
		.amdhsa_private_segment_fixed_size 16
		.amdhsa_kernarg_size 384
		.amdhsa_user_sgpr_count 15
		.amdhsa_user_sgpr_dispatch_ptr 0
		.amdhsa_user_sgpr_queue_ptr 0
		.amdhsa_user_sgpr_kernarg_segment_ptr 1
		.amdhsa_user_sgpr_dispatch_id 0
		.amdhsa_user_sgpr_private_segment_size 0
		.amdhsa_wavefront_size32 1
		.amdhsa_uses_dynamic_stack 0
		.amdhsa_enable_private_segment 1
		.amdhsa_system_sgpr_workgroup_id_x 1
		.amdhsa_system_sgpr_workgroup_id_y 0
		.amdhsa_system_sgpr_workgroup_id_z 0
		.amdhsa_system_sgpr_workgroup_info 0
		.amdhsa_system_vgpr_workitem_id 0
		.amdhsa_next_free_vgpr 38
		.amdhsa_next_free_sgpr 34
		.amdhsa_reserve_vcc 1
		.amdhsa_float_round_mode_32 0
		.amdhsa_float_round_mode_16_64 0
		.amdhsa_float_denorm_mode_32 3
		.amdhsa_float_denorm_mode_16_64 3
		.amdhsa_dx10_clamp 1
		.amdhsa_ieee_mode 1
		.amdhsa_fp16_overflow 0
		.amdhsa_workgroup_processor_mode 1
		.amdhsa_memory_ordered 1
		.amdhsa_forward_progress 0
		.amdhsa_shared_vgpr_count 0
		.amdhsa_exception_fp_ieee_invalid_op 0
		.amdhsa_exception_fp_denorm_src 0
		.amdhsa_exception_fp_ieee_div_zero 0
		.amdhsa_exception_fp_ieee_overflow 0
		.amdhsa_exception_fp_ieee_underflow 0
		.amdhsa_exception_fp_ieee_inexact 0
		.amdhsa_exception_int_div_zero 0
	.end_amdhsa_kernel
	.section	.text._ZL13mul_mat_f_idsI7__half2Li64ELi11ELi7EEvPKT_PKfPKiS7_S7_Pfiiiiiiiiiiiiii15HIP_vector_typeIjLj3EESA_,"axG",@progbits,_ZL13mul_mat_f_idsI7__half2Li64ELi11ELi7EEvPKT_PKfPKiS7_S7_Pfiiiiiiiiiiiiii15HIP_vector_typeIjLj3EESA_,comdat
.Lfunc_end117:
	.size	_ZL13mul_mat_f_idsI7__half2Li64ELi11ELi7EEvPKT_PKfPKiS7_S7_Pfiiiiiiiiiiiiii15HIP_vector_typeIjLj3EESA_, .Lfunc_end117-_ZL13mul_mat_f_idsI7__half2Li64ELi11ELi7EEvPKT_PKfPKiS7_S7_Pfiiiiiiiiiiiiii15HIP_vector_typeIjLj3EESA_
                                        ; -- End function
	.section	.AMDGPU.csdata,"",@progbits
; Kernel info:
; codeLenInByte = 80
; NumSgprs: 36
; NumVgprs: 38
; ScratchSize: 16
; MemoryBound: 0
; FloatMode: 240
; IeeeMode: 1
; LDSByteSize: 0 bytes/workgroup (compile time only)
; SGPRBlocks: 4
; VGPRBlocks: 4
; NumSGPRsForWavesPerEU: 36
; NumVGPRsForWavesPerEU: 38
; Occupancy: 16
; WaveLimiterHint : 1
; COMPUTE_PGM_RSRC2:SCRATCH_EN: 1
; COMPUTE_PGM_RSRC2:USER_SGPR: 15
; COMPUTE_PGM_RSRC2:TRAP_HANDLER: 0
; COMPUTE_PGM_RSRC2:TGID_X_EN: 1
; COMPUTE_PGM_RSRC2:TGID_Y_EN: 0
; COMPUTE_PGM_RSRC2:TGID_Z_EN: 0
; COMPUTE_PGM_RSRC2:TIDIG_COMP_CNT: 0
	.section	.text._ZL9mul_mat_fI7__half2Li64ELi11ELi7ELb1EEvPKT_PKfPKiPfiiiiiiiiiiiiiiii,"axG",@progbits,_ZL9mul_mat_fI7__half2Li64ELi11ELi7ELb1EEvPKT_PKfPKiPfiiiiiiiiiiiiiiii,comdat
	.globl	_ZL9mul_mat_fI7__half2Li64ELi11ELi7ELb1EEvPKT_PKfPKiPfiiiiiiiiiiiiiiii ; -- Begin function _ZL9mul_mat_fI7__half2Li64ELi11ELi7ELb1EEvPKT_PKfPKiPfiiiiiiiiiiiiiiii
	.p2align	8
	.type	_ZL9mul_mat_fI7__half2Li64ELi11ELi7ELb1EEvPKT_PKfPKiPfiiiiiiiiiiiiiiii,@function
_ZL9mul_mat_fI7__half2Li64ELi11ELi7ELb1EEvPKT_PKfPKiPfiiiiiiiiiiiiiiii: ; @_ZL9mul_mat_fI7__half2Li64ELi11ELi7ELb1EEvPKT_PKfPKiPfiiiiiiiiiiiiiiii
; %bb.0:
	s_add_u32 s8, s0, 0x60
	s_addc_u32 s9, s1, 0
	s_getpc_b64 s[0:1]
	s_add_u32 s0, s0, __FUNCTION__._ZL9mul_mat_fIfLi32ELi11ELi1ELb1EEvPKT_PKfPKiPfiiiiiiiiiiiiiiii@rel32@lo+4
	s_addc_u32 s1, s1, __FUNCTION__._ZL9mul_mat_fIfLi32ELi11ELi1ELb1EEvPKT_PKfPKiPfiiiiiiiiiiiiiiii@rel32@hi+12
	v_dual_mov_b32 v0, 59 :: v_dual_mov_b32 v1, s0
	v_mov_b32_e32 v2, s1
	s_mov_b32 s32, 0
	s_getpc_b64 s[2:3]
	s_add_u32 s2, s2, _ZL14no_device_codePKciS0_iS0_@rel32@lo+4
	s_addc_u32 s3, s3, _ZL14no_device_codePKciS0_iS0_@rel32@hi+12
	s_delay_alu instid0(SALU_CYCLE_1)
	s_swappc_b64 s[30:31], s[2:3]
	.section	.rodata,"a",@progbits
	.p2align	6, 0x0
	.amdhsa_kernel _ZL9mul_mat_fI7__half2Li64ELi11ELi7ELb1EEvPKT_PKfPKiPfiiiiiiiiiiiiiiii
		.amdhsa_group_segment_fixed_size 0
		.amdhsa_private_segment_fixed_size 16
		.amdhsa_kernarg_size 352
		.amdhsa_user_sgpr_count 15
		.amdhsa_user_sgpr_dispatch_ptr 0
		.amdhsa_user_sgpr_queue_ptr 0
		.amdhsa_user_sgpr_kernarg_segment_ptr 1
		.amdhsa_user_sgpr_dispatch_id 0
		.amdhsa_user_sgpr_private_segment_size 0
		.amdhsa_wavefront_size32 1
		.amdhsa_uses_dynamic_stack 0
		.amdhsa_enable_private_segment 1
		.amdhsa_system_sgpr_workgroup_id_x 1
		.amdhsa_system_sgpr_workgroup_id_y 0
		.amdhsa_system_sgpr_workgroup_id_z 0
		.amdhsa_system_sgpr_workgroup_info 0
		.amdhsa_system_vgpr_workitem_id 0
		.amdhsa_next_free_vgpr 38
		.amdhsa_next_free_sgpr 34
		.amdhsa_reserve_vcc 1
		.amdhsa_float_round_mode_32 0
		.amdhsa_float_round_mode_16_64 0
		.amdhsa_float_denorm_mode_32 3
		.amdhsa_float_denorm_mode_16_64 3
		.amdhsa_dx10_clamp 1
		.amdhsa_ieee_mode 1
		.amdhsa_fp16_overflow 0
		.amdhsa_workgroup_processor_mode 1
		.amdhsa_memory_ordered 1
		.amdhsa_forward_progress 0
		.amdhsa_shared_vgpr_count 0
		.amdhsa_exception_fp_ieee_invalid_op 0
		.amdhsa_exception_fp_denorm_src 0
		.amdhsa_exception_fp_ieee_div_zero 0
		.amdhsa_exception_fp_ieee_overflow 0
		.amdhsa_exception_fp_ieee_underflow 0
		.amdhsa_exception_fp_ieee_inexact 0
		.amdhsa_exception_int_div_zero 0
	.end_amdhsa_kernel
	.section	.text._ZL9mul_mat_fI7__half2Li64ELi11ELi7ELb1EEvPKT_PKfPKiPfiiiiiiiiiiiiiiii,"axG",@progbits,_ZL9mul_mat_fI7__half2Li64ELi11ELi7ELb1EEvPKT_PKfPKiPfiiiiiiiiiiiiiiii,comdat
.Lfunc_end118:
	.size	_ZL9mul_mat_fI7__half2Li64ELi11ELi7ELb1EEvPKT_PKfPKiPfiiiiiiiiiiiiiiii, .Lfunc_end118-_ZL9mul_mat_fI7__half2Li64ELi11ELi7ELb1EEvPKT_PKfPKiPfiiiiiiiiiiiiiiii
                                        ; -- End function
	.section	.AMDGPU.csdata,"",@progbits
; Kernel info:
; codeLenInByte = 76
; NumSgprs: 36
; NumVgprs: 38
; ScratchSize: 16
; MemoryBound: 0
; FloatMode: 240
; IeeeMode: 1
; LDSByteSize: 0 bytes/workgroup (compile time only)
; SGPRBlocks: 4
; VGPRBlocks: 4
; NumSGPRsForWavesPerEU: 36
; NumVGPRsForWavesPerEU: 38
; Occupancy: 16
; WaveLimiterHint : 1
; COMPUTE_PGM_RSRC2:SCRATCH_EN: 1
; COMPUTE_PGM_RSRC2:USER_SGPR: 15
; COMPUTE_PGM_RSRC2:TRAP_HANDLER: 0
; COMPUTE_PGM_RSRC2:TGID_X_EN: 1
; COMPUTE_PGM_RSRC2:TGID_Y_EN: 0
; COMPUTE_PGM_RSRC2:TGID_Z_EN: 0
; COMPUTE_PGM_RSRC2:TIDIG_COMP_CNT: 0
	.section	.text._ZL9mul_mat_fI7__half2Li64ELi11ELi7ELb0EEvPKT_PKfPKiPfiiiiiiiiiiiiiiii,"axG",@progbits,_ZL9mul_mat_fI7__half2Li64ELi11ELi7ELb0EEvPKT_PKfPKiPfiiiiiiiiiiiiiiii,comdat
	.globl	_ZL9mul_mat_fI7__half2Li64ELi11ELi7ELb0EEvPKT_PKfPKiPfiiiiiiiiiiiiiiii ; -- Begin function _ZL9mul_mat_fI7__half2Li64ELi11ELi7ELb0EEvPKT_PKfPKiPfiiiiiiiiiiiiiiii
	.p2align	8
	.type	_ZL9mul_mat_fI7__half2Li64ELi11ELi7ELb0EEvPKT_PKfPKiPfiiiiiiiiiiiiiiii,@function
_ZL9mul_mat_fI7__half2Li64ELi11ELi7ELb0EEvPKT_PKfPKiPfiiiiiiiiiiiiiiii: ; @_ZL9mul_mat_fI7__half2Li64ELi11ELi7ELb0EEvPKT_PKfPKiPfiiiiiiiiiiiiiiii
; %bb.0:
	s_add_u32 s8, s0, 0x60
	s_addc_u32 s9, s1, 0
	s_getpc_b64 s[0:1]
	s_add_u32 s0, s0, __FUNCTION__._ZL9mul_mat_fIfLi32ELi11ELi1ELb1EEvPKT_PKfPKiPfiiiiiiiiiiiiiiii@rel32@lo+4
	s_addc_u32 s1, s1, __FUNCTION__._ZL9mul_mat_fIfLi32ELi11ELi1ELb1EEvPKT_PKfPKiPfiiiiiiiiiiiiiiii@rel32@hi+12
	v_dual_mov_b32 v0, 59 :: v_dual_mov_b32 v1, s0
	v_mov_b32_e32 v2, s1
	s_mov_b32 s32, 0
	s_getpc_b64 s[2:3]
	s_add_u32 s2, s2, _ZL14no_device_codePKciS0_iS0_@rel32@lo+4
	s_addc_u32 s3, s3, _ZL14no_device_codePKciS0_iS0_@rel32@hi+12
	s_delay_alu instid0(SALU_CYCLE_1)
	s_swappc_b64 s[30:31], s[2:3]
	.section	.rodata,"a",@progbits
	.p2align	6, 0x0
	.amdhsa_kernel _ZL9mul_mat_fI7__half2Li64ELi11ELi7ELb0EEvPKT_PKfPKiPfiiiiiiiiiiiiiiii
		.amdhsa_group_segment_fixed_size 0
		.amdhsa_private_segment_fixed_size 16
		.amdhsa_kernarg_size 352
		.amdhsa_user_sgpr_count 15
		.amdhsa_user_sgpr_dispatch_ptr 0
		.amdhsa_user_sgpr_queue_ptr 0
		.amdhsa_user_sgpr_kernarg_segment_ptr 1
		.amdhsa_user_sgpr_dispatch_id 0
		.amdhsa_user_sgpr_private_segment_size 0
		.amdhsa_wavefront_size32 1
		.amdhsa_uses_dynamic_stack 0
		.amdhsa_enable_private_segment 1
		.amdhsa_system_sgpr_workgroup_id_x 1
		.amdhsa_system_sgpr_workgroup_id_y 0
		.amdhsa_system_sgpr_workgroup_id_z 0
		.amdhsa_system_sgpr_workgroup_info 0
		.amdhsa_system_vgpr_workitem_id 0
		.amdhsa_next_free_vgpr 38
		.amdhsa_next_free_sgpr 34
		.amdhsa_reserve_vcc 1
		.amdhsa_float_round_mode_32 0
		.amdhsa_float_round_mode_16_64 0
		.amdhsa_float_denorm_mode_32 3
		.amdhsa_float_denorm_mode_16_64 3
		.amdhsa_dx10_clamp 1
		.amdhsa_ieee_mode 1
		.amdhsa_fp16_overflow 0
		.amdhsa_workgroup_processor_mode 1
		.amdhsa_memory_ordered 1
		.amdhsa_forward_progress 0
		.amdhsa_shared_vgpr_count 0
		.amdhsa_exception_fp_ieee_invalid_op 0
		.amdhsa_exception_fp_denorm_src 0
		.amdhsa_exception_fp_ieee_div_zero 0
		.amdhsa_exception_fp_ieee_overflow 0
		.amdhsa_exception_fp_ieee_underflow 0
		.amdhsa_exception_fp_ieee_inexact 0
		.amdhsa_exception_int_div_zero 0
	.end_amdhsa_kernel
	.section	.text._ZL9mul_mat_fI7__half2Li64ELi11ELi7ELb0EEvPKT_PKfPKiPfiiiiiiiiiiiiiiii,"axG",@progbits,_ZL9mul_mat_fI7__half2Li64ELi11ELi7ELb0EEvPKT_PKfPKiPfiiiiiiiiiiiiiiii,comdat
.Lfunc_end119:
	.size	_ZL9mul_mat_fI7__half2Li64ELi11ELi7ELb0EEvPKT_PKfPKiPfiiiiiiiiiiiiiiii, .Lfunc_end119-_ZL9mul_mat_fI7__half2Li64ELi11ELi7ELb0EEvPKT_PKfPKiPfiiiiiiiiiiiiiiii
                                        ; -- End function
	.section	.AMDGPU.csdata,"",@progbits
; Kernel info:
; codeLenInByte = 76
; NumSgprs: 36
; NumVgprs: 38
; ScratchSize: 16
; MemoryBound: 0
; FloatMode: 240
; IeeeMode: 1
; LDSByteSize: 0 bytes/workgroup (compile time only)
; SGPRBlocks: 4
; VGPRBlocks: 4
; NumSGPRsForWavesPerEU: 36
; NumVGPRsForWavesPerEU: 38
; Occupancy: 16
; WaveLimiterHint : 1
; COMPUTE_PGM_RSRC2:SCRATCH_EN: 1
; COMPUTE_PGM_RSRC2:USER_SGPR: 15
; COMPUTE_PGM_RSRC2:TRAP_HANDLER: 0
; COMPUTE_PGM_RSRC2:TGID_X_EN: 1
; COMPUTE_PGM_RSRC2:TGID_Y_EN: 0
; COMPUTE_PGM_RSRC2:TGID_Z_EN: 0
; COMPUTE_PGM_RSRC2:TIDIG_COMP_CNT: 0
	.section	.text._ZL13mul_mat_f_idsI7__half2Li64ELi11ELi8EEvPKT_PKfPKiS7_S7_Pfiiiiiiiiiiiiii15HIP_vector_typeIjLj3EESA_,"axG",@progbits,_ZL13mul_mat_f_idsI7__half2Li64ELi11ELi8EEvPKT_PKfPKiS7_S7_Pfiiiiiiiiiiiiii15HIP_vector_typeIjLj3EESA_,comdat
	.globl	_ZL13mul_mat_f_idsI7__half2Li64ELi11ELi8EEvPKT_PKfPKiS7_S7_Pfiiiiiiiiiiiiii15HIP_vector_typeIjLj3EESA_ ; -- Begin function _ZL13mul_mat_f_idsI7__half2Li64ELi11ELi8EEvPKT_PKfPKiS7_S7_Pfiiiiiiiiiiiiii15HIP_vector_typeIjLj3EESA_
	.p2align	8
	.type	_ZL13mul_mat_f_idsI7__half2Li64ELi11ELi8EEvPKT_PKfPKiS7_S7_Pfiiiiiiiiiiiiii15HIP_vector_typeIjLj3EESA_,@function
_ZL13mul_mat_f_idsI7__half2Li64ELi11ELi8EEvPKT_PKfPKiS7_S7_Pfiiiiiiiiiiiiii15HIP_vector_typeIjLj3EESA_: ; @_ZL13mul_mat_f_idsI7__half2Li64ELi11ELi8EEvPKT_PKfPKiS7_S7_Pfiiiiiiiiiiiiii15HIP_vector_typeIjLj3EESA_
; %bb.0:
	s_add_u32 s8, s0, 0x80
	s_addc_u32 s9, s1, 0
	s_getpc_b64 s[0:1]
	s_add_u32 s0, s0, __FUNCTION__._ZL13mul_mat_f_idsIfLi32ELi11ELi1EEvPKT_PKfPKiS6_S6_Pfiiiiiiiiiiiiii15HIP_vector_typeIjLj3EES9_@rel32@lo+4
	s_addc_u32 s1, s1, __FUNCTION__._ZL13mul_mat_f_idsIfLi32ELi11ELi1EEvPKT_PKfPKiS6_S6_Pfiiiiiiiiiiiiii15HIP_vector_typeIjLj3EES9_@rel32@hi+12
	v_dual_mov_b32 v0, 0x136 :: v_dual_mov_b32 v1, s0
	v_mov_b32_e32 v2, s1
	s_mov_b32 s32, 0
	s_getpc_b64 s[2:3]
	s_add_u32 s2, s2, _ZL14no_device_codePKciS0_iS0_@rel32@lo+4
	s_addc_u32 s3, s3, _ZL14no_device_codePKciS0_iS0_@rel32@hi+12
	s_delay_alu instid0(SALU_CYCLE_1)
	s_swappc_b64 s[30:31], s[2:3]
	.section	.rodata,"a",@progbits
	.p2align	6, 0x0
	.amdhsa_kernel _ZL13mul_mat_f_idsI7__half2Li64ELi11ELi8EEvPKT_PKfPKiS7_S7_Pfiiiiiiiiiiiiii15HIP_vector_typeIjLj3EESA_
		.amdhsa_group_segment_fixed_size 0
		.amdhsa_private_segment_fixed_size 16
		.amdhsa_kernarg_size 384
		.amdhsa_user_sgpr_count 15
		.amdhsa_user_sgpr_dispatch_ptr 0
		.amdhsa_user_sgpr_queue_ptr 0
		.amdhsa_user_sgpr_kernarg_segment_ptr 1
		.amdhsa_user_sgpr_dispatch_id 0
		.amdhsa_user_sgpr_private_segment_size 0
		.amdhsa_wavefront_size32 1
		.amdhsa_uses_dynamic_stack 0
		.amdhsa_enable_private_segment 1
		.amdhsa_system_sgpr_workgroup_id_x 1
		.amdhsa_system_sgpr_workgroup_id_y 0
		.amdhsa_system_sgpr_workgroup_id_z 0
		.amdhsa_system_sgpr_workgroup_info 0
		.amdhsa_system_vgpr_workitem_id 0
		.amdhsa_next_free_vgpr 38
		.amdhsa_next_free_sgpr 34
		.amdhsa_reserve_vcc 1
		.amdhsa_float_round_mode_32 0
		.amdhsa_float_round_mode_16_64 0
		.amdhsa_float_denorm_mode_32 3
		.amdhsa_float_denorm_mode_16_64 3
		.amdhsa_dx10_clamp 1
		.amdhsa_ieee_mode 1
		.amdhsa_fp16_overflow 0
		.amdhsa_workgroup_processor_mode 1
		.amdhsa_memory_ordered 1
		.amdhsa_forward_progress 0
		.amdhsa_shared_vgpr_count 0
		.amdhsa_exception_fp_ieee_invalid_op 0
		.amdhsa_exception_fp_denorm_src 0
		.amdhsa_exception_fp_ieee_div_zero 0
		.amdhsa_exception_fp_ieee_overflow 0
		.amdhsa_exception_fp_ieee_underflow 0
		.amdhsa_exception_fp_ieee_inexact 0
		.amdhsa_exception_int_div_zero 0
	.end_amdhsa_kernel
	.section	.text._ZL13mul_mat_f_idsI7__half2Li64ELi11ELi8EEvPKT_PKfPKiS7_S7_Pfiiiiiiiiiiiiii15HIP_vector_typeIjLj3EESA_,"axG",@progbits,_ZL13mul_mat_f_idsI7__half2Li64ELi11ELi8EEvPKT_PKfPKiS7_S7_Pfiiiiiiiiiiiiii15HIP_vector_typeIjLj3EESA_,comdat
.Lfunc_end120:
	.size	_ZL13mul_mat_f_idsI7__half2Li64ELi11ELi8EEvPKT_PKfPKiS7_S7_Pfiiiiiiiiiiiiii15HIP_vector_typeIjLj3EESA_, .Lfunc_end120-_ZL13mul_mat_f_idsI7__half2Li64ELi11ELi8EEvPKT_PKfPKiS7_S7_Pfiiiiiiiiiiiiii15HIP_vector_typeIjLj3EESA_
                                        ; -- End function
	.section	.AMDGPU.csdata,"",@progbits
; Kernel info:
; codeLenInByte = 80
; NumSgprs: 36
; NumVgprs: 38
; ScratchSize: 16
; MemoryBound: 0
; FloatMode: 240
; IeeeMode: 1
; LDSByteSize: 0 bytes/workgroup (compile time only)
; SGPRBlocks: 4
; VGPRBlocks: 4
; NumSGPRsForWavesPerEU: 36
; NumVGPRsForWavesPerEU: 38
; Occupancy: 16
; WaveLimiterHint : 1
; COMPUTE_PGM_RSRC2:SCRATCH_EN: 1
; COMPUTE_PGM_RSRC2:USER_SGPR: 15
; COMPUTE_PGM_RSRC2:TRAP_HANDLER: 0
; COMPUTE_PGM_RSRC2:TGID_X_EN: 1
; COMPUTE_PGM_RSRC2:TGID_Y_EN: 0
; COMPUTE_PGM_RSRC2:TGID_Z_EN: 0
; COMPUTE_PGM_RSRC2:TIDIG_COMP_CNT: 0
	.section	.text._ZL9mul_mat_fI7__half2Li64ELi11ELi8ELb1EEvPKT_PKfPKiPfiiiiiiiiiiiiiiii,"axG",@progbits,_ZL9mul_mat_fI7__half2Li64ELi11ELi8ELb1EEvPKT_PKfPKiPfiiiiiiiiiiiiiiii,comdat
	.globl	_ZL9mul_mat_fI7__half2Li64ELi11ELi8ELb1EEvPKT_PKfPKiPfiiiiiiiiiiiiiiii ; -- Begin function _ZL9mul_mat_fI7__half2Li64ELi11ELi8ELb1EEvPKT_PKfPKiPfiiiiiiiiiiiiiiii
	.p2align	8
	.type	_ZL9mul_mat_fI7__half2Li64ELi11ELi8ELb1EEvPKT_PKfPKiPfiiiiiiiiiiiiiiii,@function
_ZL9mul_mat_fI7__half2Li64ELi11ELi8ELb1EEvPKT_PKfPKiPfiiiiiiiiiiiiiiii: ; @_ZL9mul_mat_fI7__half2Li64ELi11ELi8ELb1EEvPKT_PKfPKiPfiiiiiiiiiiiiiiii
; %bb.0:
	s_add_u32 s8, s0, 0x60
	s_addc_u32 s9, s1, 0
	s_getpc_b64 s[0:1]
	s_add_u32 s0, s0, __FUNCTION__._ZL9mul_mat_fIfLi32ELi11ELi1ELb1EEvPKT_PKfPKiPfiiiiiiiiiiiiiiii@rel32@lo+4
	s_addc_u32 s1, s1, __FUNCTION__._ZL9mul_mat_fIfLi32ELi11ELi1ELb1EEvPKT_PKfPKiPfiiiiiiiiiiiiiiii@rel32@hi+12
	v_dual_mov_b32 v0, 59 :: v_dual_mov_b32 v1, s0
	v_mov_b32_e32 v2, s1
	s_mov_b32 s32, 0
	s_getpc_b64 s[2:3]
	s_add_u32 s2, s2, _ZL14no_device_codePKciS0_iS0_@rel32@lo+4
	s_addc_u32 s3, s3, _ZL14no_device_codePKciS0_iS0_@rel32@hi+12
	s_delay_alu instid0(SALU_CYCLE_1)
	s_swappc_b64 s[30:31], s[2:3]
	.section	.rodata,"a",@progbits
	.p2align	6, 0x0
	.amdhsa_kernel _ZL9mul_mat_fI7__half2Li64ELi11ELi8ELb1EEvPKT_PKfPKiPfiiiiiiiiiiiiiiii
		.amdhsa_group_segment_fixed_size 0
		.amdhsa_private_segment_fixed_size 16
		.amdhsa_kernarg_size 352
		.amdhsa_user_sgpr_count 15
		.amdhsa_user_sgpr_dispatch_ptr 0
		.amdhsa_user_sgpr_queue_ptr 0
		.amdhsa_user_sgpr_kernarg_segment_ptr 1
		.amdhsa_user_sgpr_dispatch_id 0
		.amdhsa_user_sgpr_private_segment_size 0
		.amdhsa_wavefront_size32 1
		.amdhsa_uses_dynamic_stack 0
		.amdhsa_enable_private_segment 1
		.amdhsa_system_sgpr_workgroup_id_x 1
		.amdhsa_system_sgpr_workgroup_id_y 0
		.amdhsa_system_sgpr_workgroup_id_z 0
		.amdhsa_system_sgpr_workgroup_info 0
		.amdhsa_system_vgpr_workitem_id 0
		.amdhsa_next_free_vgpr 38
		.amdhsa_next_free_sgpr 34
		.amdhsa_reserve_vcc 1
		.amdhsa_float_round_mode_32 0
		.amdhsa_float_round_mode_16_64 0
		.amdhsa_float_denorm_mode_32 3
		.amdhsa_float_denorm_mode_16_64 3
		.amdhsa_dx10_clamp 1
		.amdhsa_ieee_mode 1
		.amdhsa_fp16_overflow 0
		.amdhsa_workgroup_processor_mode 1
		.amdhsa_memory_ordered 1
		.amdhsa_forward_progress 0
		.amdhsa_shared_vgpr_count 0
		.amdhsa_exception_fp_ieee_invalid_op 0
		.amdhsa_exception_fp_denorm_src 0
		.amdhsa_exception_fp_ieee_div_zero 0
		.amdhsa_exception_fp_ieee_overflow 0
		.amdhsa_exception_fp_ieee_underflow 0
		.amdhsa_exception_fp_ieee_inexact 0
		.amdhsa_exception_int_div_zero 0
	.end_amdhsa_kernel
	.section	.text._ZL9mul_mat_fI7__half2Li64ELi11ELi8ELb1EEvPKT_PKfPKiPfiiiiiiiiiiiiiiii,"axG",@progbits,_ZL9mul_mat_fI7__half2Li64ELi11ELi8ELb1EEvPKT_PKfPKiPfiiiiiiiiiiiiiiii,comdat
.Lfunc_end121:
	.size	_ZL9mul_mat_fI7__half2Li64ELi11ELi8ELb1EEvPKT_PKfPKiPfiiiiiiiiiiiiiiii, .Lfunc_end121-_ZL9mul_mat_fI7__half2Li64ELi11ELi8ELb1EEvPKT_PKfPKiPfiiiiiiiiiiiiiiii
                                        ; -- End function
	.section	.AMDGPU.csdata,"",@progbits
; Kernel info:
; codeLenInByte = 76
; NumSgprs: 36
; NumVgprs: 38
; ScratchSize: 16
; MemoryBound: 0
; FloatMode: 240
; IeeeMode: 1
; LDSByteSize: 0 bytes/workgroup (compile time only)
; SGPRBlocks: 4
; VGPRBlocks: 4
; NumSGPRsForWavesPerEU: 36
; NumVGPRsForWavesPerEU: 38
; Occupancy: 16
; WaveLimiterHint : 1
; COMPUTE_PGM_RSRC2:SCRATCH_EN: 1
; COMPUTE_PGM_RSRC2:USER_SGPR: 15
; COMPUTE_PGM_RSRC2:TRAP_HANDLER: 0
; COMPUTE_PGM_RSRC2:TGID_X_EN: 1
; COMPUTE_PGM_RSRC2:TGID_Y_EN: 0
; COMPUTE_PGM_RSRC2:TGID_Z_EN: 0
; COMPUTE_PGM_RSRC2:TIDIG_COMP_CNT: 0
	.section	.text._ZL9mul_mat_fI7__half2Li64ELi11ELi8ELb0EEvPKT_PKfPKiPfiiiiiiiiiiiiiiii,"axG",@progbits,_ZL9mul_mat_fI7__half2Li64ELi11ELi8ELb0EEvPKT_PKfPKiPfiiiiiiiiiiiiiiii,comdat
	.globl	_ZL9mul_mat_fI7__half2Li64ELi11ELi8ELb0EEvPKT_PKfPKiPfiiiiiiiiiiiiiiii ; -- Begin function _ZL9mul_mat_fI7__half2Li64ELi11ELi8ELb0EEvPKT_PKfPKiPfiiiiiiiiiiiiiiii
	.p2align	8
	.type	_ZL9mul_mat_fI7__half2Li64ELi11ELi8ELb0EEvPKT_PKfPKiPfiiiiiiiiiiiiiiii,@function
_ZL9mul_mat_fI7__half2Li64ELi11ELi8ELb0EEvPKT_PKfPKiPfiiiiiiiiiiiiiiii: ; @_ZL9mul_mat_fI7__half2Li64ELi11ELi8ELb0EEvPKT_PKfPKiPfiiiiiiiiiiiiiiii
; %bb.0:
	s_add_u32 s8, s0, 0x60
	s_addc_u32 s9, s1, 0
	s_getpc_b64 s[0:1]
	s_add_u32 s0, s0, __FUNCTION__._ZL9mul_mat_fIfLi32ELi11ELi1ELb1EEvPKT_PKfPKiPfiiiiiiiiiiiiiiii@rel32@lo+4
	s_addc_u32 s1, s1, __FUNCTION__._ZL9mul_mat_fIfLi32ELi11ELi1ELb1EEvPKT_PKfPKiPfiiiiiiiiiiiiiiii@rel32@hi+12
	v_dual_mov_b32 v0, 59 :: v_dual_mov_b32 v1, s0
	v_mov_b32_e32 v2, s1
	s_mov_b32 s32, 0
	s_getpc_b64 s[2:3]
	s_add_u32 s2, s2, _ZL14no_device_codePKciS0_iS0_@rel32@lo+4
	s_addc_u32 s3, s3, _ZL14no_device_codePKciS0_iS0_@rel32@hi+12
	s_delay_alu instid0(SALU_CYCLE_1)
	s_swappc_b64 s[30:31], s[2:3]
	.section	.rodata,"a",@progbits
	.p2align	6, 0x0
	.amdhsa_kernel _ZL9mul_mat_fI7__half2Li64ELi11ELi8ELb0EEvPKT_PKfPKiPfiiiiiiiiiiiiiiii
		.amdhsa_group_segment_fixed_size 0
		.amdhsa_private_segment_fixed_size 16
		.amdhsa_kernarg_size 352
		.amdhsa_user_sgpr_count 15
		.amdhsa_user_sgpr_dispatch_ptr 0
		.amdhsa_user_sgpr_queue_ptr 0
		.amdhsa_user_sgpr_kernarg_segment_ptr 1
		.amdhsa_user_sgpr_dispatch_id 0
		.amdhsa_user_sgpr_private_segment_size 0
		.amdhsa_wavefront_size32 1
		.amdhsa_uses_dynamic_stack 0
		.amdhsa_enable_private_segment 1
		.amdhsa_system_sgpr_workgroup_id_x 1
		.amdhsa_system_sgpr_workgroup_id_y 0
		.amdhsa_system_sgpr_workgroup_id_z 0
		.amdhsa_system_sgpr_workgroup_info 0
		.amdhsa_system_vgpr_workitem_id 0
		.amdhsa_next_free_vgpr 38
		.amdhsa_next_free_sgpr 34
		.amdhsa_reserve_vcc 1
		.amdhsa_float_round_mode_32 0
		.amdhsa_float_round_mode_16_64 0
		.amdhsa_float_denorm_mode_32 3
		.amdhsa_float_denorm_mode_16_64 3
		.amdhsa_dx10_clamp 1
		.amdhsa_ieee_mode 1
		.amdhsa_fp16_overflow 0
		.amdhsa_workgroup_processor_mode 1
		.amdhsa_memory_ordered 1
		.amdhsa_forward_progress 0
		.amdhsa_shared_vgpr_count 0
		.amdhsa_exception_fp_ieee_invalid_op 0
		.amdhsa_exception_fp_denorm_src 0
		.amdhsa_exception_fp_ieee_div_zero 0
		.amdhsa_exception_fp_ieee_overflow 0
		.amdhsa_exception_fp_ieee_underflow 0
		.amdhsa_exception_fp_ieee_inexact 0
		.amdhsa_exception_int_div_zero 0
	.end_amdhsa_kernel
	.section	.text._ZL9mul_mat_fI7__half2Li64ELi11ELi8ELb0EEvPKT_PKfPKiPfiiiiiiiiiiiiiiii,"axG",@progbits,_ZL9mul_mat_fI7__half2Li64ELi11ELi8ELb0EEvPKT_PKfPKiPfiiiiiiiiiiiiiiii,comdat
.Lfunc_end122:
	.size	_ZL9mul_mat_fI7__half2Li64ELi11ELi8ELb0EEvPKT_PKfPKiPfiiiiiiiiiiiiiiii, .Lfunc_end122-_ZL9mul_mat_fI7__half2Li64ELi11ELi8ELb0EEvPKT_PKfPKiPfiiiiiiiiiiiiiiii
                                        ; -- End function
	.section	.AMDGPU.csdata,"",@progbits
; Kernel info:
; codeLenInByte = 76
; NumSgprs: 36
; NumVgprs: 38
; ScratchSize: 16
; MemoryBound: 0
; FloatMode: 240
; IeeeMode: 1
; LDSByteSize: 0 bytes/workgroup (compile time only)
; SGPRBlocks: 4
; VGPRBlocks: 4
; NumSGPRsForWavesPerEU: 36
; NumVGPRsForWavesPerEU: 38
; Occupancy: 16
; WaveLimiterHint : 1
; COMPUTE_PGM_RSRC2:SCRATCH_EN: 1
; COMPUTE_PGM_RSRC2:USER_SGPR: 15
; COMPUTE_PGM_RSRC2:TRAP_HANDLER: 0
; COMPUTE_PGM_RSRC2:TGID_X_EN: 1
; COMPUTE_PGM_RSRC2:TGID_Y_EN: 0
; COMPUTE_PGM_RSRC2:TGID_Z_EN: 0
; COMPUTE_PGM_RSRC2:TIDIG_COMP_CNT: 0
	.section	.text._ZL13mul_mat_f_idsI15__hip_bfloat162Li64ELi11ELi1EEvPKT_PKfPKiS7_S7_Pfiiiiiiiiiiiiii15HIP_vector_typeIjLj3EESA_,"axG",@progbits,_ZL13mul_mat_f_idsI15__hip_bfloat162Li64ELi11ELi1EEvPKT_PKfPKiS7_S7_Pfiiiiiiiiiiiiii15HIP_vector_typeIjLj3EESA_,comdat
	.globl	_ZL13mul_mat_f_idsI15__hip_bfloat162Li64ELi11ELi1EEvPKT_PKfPKiS7_S7_Pfiiiiiiiiiiiiii15HIP_vector_typeIjLj3EESA_ ; -- Begin function _ZL13mul_mat_f_idsI15__hip_bfloat162Li64ELi11ELi1EEvPKT_PKfPKiS7_S7_Pfiiiiiiiiiiiiii15HIP_vector_typeIjLj3EESA_
	.p2align	8
	.type	_ZL13mul_mat_f_idsI15__hip_bfloat162Li64ELi11ELi1EEvPKT_PKfPKiS7_S7_Pfiiiiiiiiiiiiii15HIP_vector_typeIjLj3EESA_,@function
_ZL13mul_mat_f_idsI15__hip_bfloat162Li64ELi11ELi1EEvPKT_PKfPKiS7_S7_Pfiiiiiiiiiiiiii15HIP_vector_typeIjLj3EESA_: ; @_ZL13mul_mat_f_idsI15__hip_bfloat162Li64ELi11ELi1EEvPKT_PKfPKiS7_S7_Pfiiiiiiiiiiiiii15HIP_vector_typeIjLj3EESA_
; %bb.0:
	s_add_u32 s8, s0, 0x80
	s_addc_u32 s9, s1, 0
	s_getpc_b64 s[0:1]
	s_add_u32 s0, s0, __FUNCTION__._ZL13mul_mat_f_idsIfLi32ELi11ELi1EEvPKT_PKfPKiS6_S6_Pfiiiiiiiiiiiiii15HIP_vector_typeIjLj3EES9_@rel32@lo+4
	s_addc_u32 s1, s1, __FUNCTION__._ZL13mul_mat_f_idsIfLi32ELi11ELi1EEvPKT_PKfPKiS6_S6_Pfiiiiiiiiiiiiii15HIP_vector_typeIjLj3EES9_@rel32@hi+12
	v_dual_mov_b32 v0, 0x136 :: v_dual_mov_b32 v1, s0
	v_mov_b32_e32 v2, s1
	s_mov_b32 s32, 0
	s_getpc_b64 s[2:3]
	s_add_u32 s2, s2, _ZL14no_device_codePKciS0_iS0_@rel32@lo+4
	s_addc_u32 s3, s3, _ZL14no_device_codePKciS0_iS0_@rel32@hi+12
	s_delay_alu instid0(SALU_CYCLE_1)
	s_swappc_b64 s[30:31], s[2:3]
	.section	.rodata,"a",@progbits
	.p2align	6, 0x0
	.amdhsa_kernel _ZL13mul_mat_f_idsI15__hip_bfloat162Li64ELi11ELi1EEvPKT_PKfPKiS7_S7_Pfiiiiiiiiiiiiii15HIP_vector_typeIjLj3EESA_
		.amdhsa_group_segment_fixed_size 0
		.amdhsa_private_segment_fixed_size 16
		.amdhsa_kernarg_size 384
		.amdhsa_user_sgpr_count 15
		.amdhsa_user_sgpr_dispatch_ptr 0
		.amdhsa_user_sgpr_queue_ptr 0
		.amdhsa_user_sgpr_kernarg_segment_ptr 1
		.amdhsa_user_sgpr_dispatch_id 0
		.amdhsa_user_sgpr_private_segment_size 0
		.amdhsa_wavefront_size32 1
		.amdhsa_uses_dynamic_stack 0
		.amdhsa_enable_private_segment 1
		.amdhsa_system_sgpr_workgroup_id_x 1
		.amdhsa_system_sgpr_workgroup_id_y 0
		.amdhsa_system_sgpr_workgroup_id_z 0
		.amdhsa_system_sgpr_workgroup_info 0
		.amdhsa_system_vgpr_workitem_id 0
		.amdhsa_next_free_vgpr 38
		.amdhsa_next_free_sgpr 34
		.amdhsa_reserve_vcc 1
		.amdhsa_float_round_mode_32 0
		.amdhsa_float_round_mode_16_64 0
		.amdhsa_float_denorm_mode_32 3
		.amdhsa_float_denorm_mode_16_64 3
		.amdhsa_dx10_clamp 1
		.amdhsa_ieee_mode 1
		.amdhsa_fp16_overflow 0
		.amdhsa_workgroup_processor_mode 1
		.amdhsa_memory_ordered 1
		.amdhsa_forward_progress 0
		.amdhsa_shared_vgpr_count 0
		.amdhsa_exception_fp_ieee_invalid_op 0
		.amdhsa_exception_fp_denorm_src 0
		.amdhsa_exception_fp_ieee_div_zero 0
		.amdhsa_exception_fp_ieee_overflow 0
		.amdhsa_exception_fp_ieee_underflow 0
		.amdhsa_exception_fp_ieee_inexact 0
		.amdhsa_exception_int_div_zero 0
	.end_amdhsa_kernel
	.section	.text._ZL13mul_mat_f_idsI15__hip_bfloat162Li64ELi11ELi1EEvPKT_PKfPKiS7_S7_Pfiiiiiiiiiiiiii15HIP_vector_typeIjLj3EESA_,"axG",@progbits,_ZL13mul_mat_f_idsI15__hip_bfloat162Li64ELi11ELi1EEvPKT_PKfPKiS7_S7_Pfiiiiiiiiiiiiii15HIP_vector_typeIjLj3EESA_,comdat
.Lfunc_end123:
	.size	_ZL13mul_mat_f_idsI15__hip_bfloat162Li64ELi11ELi1EEvPKT_PKfPKiS7_S7_Pfiiiiiiiiiiiiii15HIP_vector_typeIjLj3EESA_, .Lfunc_end123-_ZL13mul_mat_f_idsI15__hip_bfloat162Li64ELi11ELi1EEvPKT_PKfPKiS7_S7_Pfiiiiiiiiiiiiii15HIP_vector_typeIjLj3EESA_
                                        ; -- End function
	.section	.AMDGPU.csdata,"",@progbits
; Kernel info:
; codeLenInByte = 80
; NumSgprs: 36
; NumVgprs: 38
; ScratchSize: 16
; MemoryBound: 0
; FloatMode: 240
; IeeeMode: 1
; LDSByteSize: 0 bytes/workgroup (compile time only)
; SGPRBlocks: 4
; VGPRBlocks: 4
; NumSGPRsForWavesPerEU: 36
; NumVGPRsForWavesPerEU: 38
; Occupancy: 16
; WaveLimiterHint : 1
; COMPUTE_PGM_RSRC2:SCRATCH_EN: 1
; COMPUTE_PGM_RSRC2:USER_SGPR: 15
; COMPUTE_PGM_RSRC2:TRAP_HANDLER: 0
; COMPUTE_PGM_RSRC2:TGID_X_EN: 1
; COMPUTE_PGM_RSRC2:TGID_Y_EN: 0
; COMPUTE_PGM_RSRC2:TGID_Z_EN: 0
; COMPUTE_PGM_RSRC2:TIDIG_COMP_CNT: 0
	.section	.text._ZL9mul_mat_fI15__hip_bfloat162Li64ELi11ELi1ELb1EEvPKT_PKfPKiPfiiiiiiiiiiiiiiii,"axG",@progbits,_ZL9mul_mat_fI15__hip_bfloat162Li64ELi11ELi1ELb1EEvPKT_PKfPKiPfiiiiiiiiiiiiiiii,comdat
	.globl	_ZL9mul_mat_fI15__hip_bfloat162Li64ELi11ELi1ELb1EEvPKT_PKfPKiPfiiiiiiiiiiiiiiii ; -- Begin function _ZL9mul_mat_fI15__hip_bfloat162Li64ELi11ELi1ELb1EEvPKT_PKfPKiPfiiiiiiiiiiiiiiii
	.p2align	8
	.type	_ZL9mul_mat_fI15__hip_bfloat162Li64ELi11ELi1ELb1EEvPKT_PKfPKiPfiiiiiiiiiiiiiiii,@function
_ZL9mul_mat_fI15__hip_bfloat162Li64ELi11ELi1ELb1EEvPKT_PKfPKiPfiiiiiiiiiiiiiiii: ; @_ZL9mul_mat_fI15__hip_bfloat162Li64ELi11ELi1ELb1EEvPKT_PKfPKiPfiiiiiiiiiiiiiiii
; %bb.0:
	s_add_u32 s8, s0, 0x60
	s_addc_u32 s9, s1, 0
	s_getpc_b64 s[0:1]
	s_add_u32 s0, s0, __FUNCTION__._ZL9mul_mat_fIfLi32ELi11ELi1ELb1EEvPKT_PKfPKiPfiiiiiiiiiiiiiiii@rel32@lo+4
	s_addc_u32 s1, s1, __FUNCTION__._ZL9mul_mat_fIfLi32ELi11ELi1ELb1EEvPKT_PKfPKiPfiiiiiiiiiiiiiiii@rel32@hi+12
	v_dual_mov_b32 v0, 59 :: v_dual_mov_b32 v1, s0
	v_mov_b32_e32 v2, s1
	s_mov_b32 s32, 0
	s_getpc_b64 s[2:3]
	s_add_u32 s2, s2, _ZL14no_device_codePKciS0_iS0_@rel32@lo+4
	s_addc_u32 s3, s3, _ZL14no_device_codePKciS0_iS0_@rel32@hi+12
	s_delay_alu instid0(SALU_CYCLE_1)
	s_swappc_b64 s[30:31], s[2:3]
	.section	.rodata,"a",@progbits
	.p2align	6, 0x0
	.amdhsa_kernel _ZL9mul_mat_fI15__hip_bfloat162Li64ELi11ELi1ELb1EEvPKT_PKfPKiPfiiiiiiiiiiiiiiii
		.amdhsa_group_segment_fixed_size 0
		.amdhsa_private_segment_fixed_size 16
		.amdhsa_kernarg_size 352
		.amdhsa_user_sgpr_count 15
		.amdhsa_user_sgpr_dispatch_ptr 0
		.amdhsa_user_sgpr_queue_ptr 0
		.amdhsa_user_sgpr_kernarg_segment_ptr 1
		.amdhsa_user_sgpr_dispatch_id 0
		.amdhsa_user_sgpr_private_segment_size 0
		.amdhsa_wavefront_size32 1
		.amdhsa_uses_dynamic_stack 0
		.amdhsa_enable_private_segment 1
		.amdhsa_system_sgpr_workgroup_id_x 1
		.amdhsa_system_sgpr_workgroup_id_y 0
		.amdhsa_system_sgpr_workgroup_id_z 0
		.amdhsa_system_sgpr_workgroup_info 0
		.amdhsa_system_vgpr_workitem_id 0
		.amdhsa_next_free_vgpr 38
		.amdhsa_next_free_sgpr 34
		.amdhsa_reserve_vcc 1
		.amdhsa_float_round_mode_32 0
		.amdhsa_float_round_mode_16_64 0
		.amdhsa_float_denorm_mode_32 3
		.amdhsa_float_denorm_mode_16_64 3
		.amdhsa_dx10_clamp 1
		.amdhsa_ieee_mode 1
		.amdhsa_fp16_overflow 0
		.amdhsa_workgroup_processor_mode 1
		.amdhsa_memory_ordered 1
		.amdhsa_forward_progress 0
		.amdhsa_shared_vgpr_count 0
		.amdhsa_exception_fp_ieee_invalid_op 0
		.amdhsa_exception_fp_denorm_src 0
		.amdhsa_exception_fp_ieee_div_zero 0
		.amdhsa_exception_fp_ieee_overflow 0
		.amdhsa_exception_fp_ieee_underflow 0
		.amdhsa_exception_fp_ieee_inexact 0
		.amdhsa_exception_int_div_zero 0
	.end_amdhsa_kernel
	.section	.text._ZL9mul_mat_fI15__hip_bfloat162Li64ELi11ELi1ELb1EEvPKT_PKfPKiPfiiiiiiiiiiiiiiii,"axG",@progbits,_ZL9mul_mat_fI15__hip_bfloat162Li64ELi11ELi1ELb1EEvPKT_PKfPKiPfiiiiiiiiiiiiiiii,comdat
.Lfunc_end124:
	.size	_ZL9mul_mat_fI15__hip_bfloat162Li64ELi11ELi1ELb1EEvPKT_PKfPKiPfiiiiiiiiiiiiiiii, .Lfunc_end124-_ZL9mul_mat_fI15__hip_bfloat162Li64ELi11ELi1ELb1EEvPKT_PKfPKiPfiiiiiiiiiiiiiiii
                                        ; -- End function
	.section	.AMDGPU.csdata,"",@progbits
; Kernel info:
; codeLenInByte = 76
; NumSgprs: 36
; NumVgprs: 38
; ScratchSize: 16
; MemoryBound: 0
; FloatMode: 240
; IeeeMode: 1
; LDSByteSize: 0 bytes/workgroup (compile time only)
; SGPRBlocks: 4
; VGPRBlocks: 4
; NumSGPRsForWavesPerEU: 36
; NumVGPRsForWavesPerEU: 38
; Occupancy: 16
; WaveLimiterHint : 1
; COMPUTE_PGM_RSRC2:SCRATCH_EN: 1
; COMPUTE_PGM_RSRC2:USER_SGPR: 15
; COMPUTE_PGM_RSRC2:TRAP_HANDLER: 0
; COMPUTE_PGM_RSRC2:TGID_X_EN: 1
; COMPUTE_PGM_RSRC2:TGID_Y_EN: 0
; COMPUTE_PGM_RSRC2:TGID_Z_EN: 0
; COMPUTE_PGM_RSRC2:TIDIG_COMP_CNT: 0
	.section	.text._ZL9mul_mat_fI15__hip_bfloat162Li64ELi11ELi1ELb0EEvPKT_PKfPKiPfiiiiiiiiiiiiiiii,"axG",@progbits,_ZL9mul_mat_fI15__hip_bfloat162Li64ELi11ELi1ELb0EEvPKT_PKfPKiPfiiiiiiiiiiiiiiii,comdat
	.globl	_ZL9mul_mat_fI15__hip_bfloat162Li64ELi11ELi1ELb0EEvPKT_PKfPKiPfiiiiiiiiiiiiiiii ; -- Begin function _ZL9mul_mat_fI15__hip_bfloat162Li64ELi11ELi1ELb0EEvPKT_PKfPKiPfiiiiiiiiiiiiiiii
	.p2align	8
	.type	_ZL9mul_mat_fI15__hip_bfloat162Li64ELi11ELi1ELb0EEvPKT_PKfPKiPfiiiiiiiiiiiiiiii,@function
_ZL9mul_mat_fI15__hip_bfloat162Li64ELi11ELi1ELb0EEvPKT_PKfPKiPfiiiiiiiiiiiiiiii: ; @_ZL9mul_mat_fI15__hip_bfloat162Li64ELi11ELi1ELb0EEvPKT_PKfPKiPfiiiiiiiiiiiiiiii
; %bb.0:
	s_add_u32 s8, s0, 0x60
	s_addc_u32 s9, s1, 0
	s_getpc_b64 s[0:1]
	s_add_u32 s0, s0, __FUNCTION__._ZL9mul_mat_fIfLi32ELi11ELi1ELb1EEvPKT_PKfPKiPfiiiiiiiiiiiiiiii@rel32@lo+4
	s_addc_u32 s1, s1, __FUNCTION__._ZL9mul_mat_fIfLi32ELi11ELi1ELb1EEvPKT_PKfPKiPfiiiiiiiiiiiiiiii@rel32@hi+12
	v_dual_mov_b32 v0, 59 :: v_dual_mov_b32 v1, s0
	v_mov_b32_e32 v2, s1
	s_mov_b32 s32, 0
	s_getpc_b64 s[2:3]
	s_add_u32 s2, s2, _ZL14no_device_codePKciS0_iS0_@rel32@lo+4
	s_addc_u32 s3, s3, _ZL14no_device_codePKciS0_iS0_@rel32@hi+12
	s_delay_alu instid0(SALU_CYCLE_1)
	s_swappc_b64 s[30:31], s[2:3]
	.section	.rodata,"a",@progbits
	.p2align	6, 0x0
	.amdhsa_kernel _ZL9mul_mat_fI15__hip_bfloat162Li64ELi11ELi1ELb0EEvPKT_PKfPKiPfiiiiiiiiiiiiiiii
		.amdhsa_group_segment_fixed_size 0
		.amdhsa_private_segment_fixed_size 16
		.amdhsa_kernarg_size 352
		.amdhsa_user_sgpr_count 15
		.amdhsa_user_sgpr_dispatch_ptr 0
		.amdhsa_user_sgpr_queue_ptr 0
		.amdhsa_user_sgpr_kernarg_segment_ptr 1
		.amdhsa_user_sgpr_dispatch_id 0
		.amdhsa_user_sgpr_private_segment_size 0
		.amdhsa_wavefront_size32 1
		.amdhsa_uses_dynamic_stack 0
		.amdhsa_enable_private_segment 1
		.amdhsa_system_sgpr_workgroup_id_x 1
		.amdhsa_system_sgpr_workgroup_id_y 0
		.amdhsa_system_sgpr_workgroup_id_z 0
		.amdhsa_system_sgpr_workgroup_info 0
		.amdhsa_system_vgpr_workitem_id 0
		.amdhsa_next_free_vgpr 38
		.amdhsa_next_free_sgpr 34
		.amdhsa_reserve_vcc 1
		.amdhsa_float_round_mode_32 0
		.amdhsa_float_round_mode_16_64 0
		.amdhsa_float_denorm_mode_32 3
		.amdhsa_float_denorm_mode_16_64 3
		.amdhsa_dx10_clamp 1
		.amdhsa_ieee_mode 1
		.amdhsa_fp16_overflow 0
		.amdhsa_workgroup_processor_mode 1
		.amdhsa_memory_ordered 1
		.amdhsa_forward_progress 0
		.amdhsa_shared_vgpr_count 0
		.amdhsa_exception_fp_ieee_invalid_op 0
		.amdhsa_exception_fp_denorm_src 0
		.amdhsa_exception_fp_ieee_div_zero 0
		.amdhsa_exception_fp_ieee_overflow 0
		.amdhsa_exception_fp_ieee_underflow 0
		.amdhsa_exception_fp_ieee_inexact 0
		.amdhsa_exception_int_div_zero 0
	.end_amdhsa_kernel
	.section	.text._ZL9mul_mat_fI15__hip_bfloat162Li64ELi11ELi1ELb0EEvPKT_PKfPKiPfiiiiiiiiiiiiiiii,"axG",@progbits,_ZL9mul_mat_fI15__hip_bfloat162Li64ELi11ELi1ELb0EEvPKT_PKfPKiPfiiiiiiiiiiiiiiii,comdat
.Lfunc_end125:
	.size	_ZL9mul_mat_fI15__hip_bfloat162Li64ELi11ELi1ELb0EEvPKT_PKfPKiPfiiiiiiiiiiiiiiii, .Lfunc_end125-_ZL9mul_mat_fI15__hip_bfloat162Li64ELi11ELi1ELb0EEvPKT_PKfPKiPfiiiiiiiiiiiiiiii
                                        ; -- End function
	.section	.AMDGPU.csdata,"",@progbits
; Kernel info:
; codeLenInByte = 76
; NumSgprs: 36
; NumVgprs: 38
; ScratchSize: 16
; MemoryBound: 0
; FloatMode: 240
; IeeeMode: 1
; LDSByteSize: 0 bytes/workgroup (compile time only)
; SGPRBlocks: 4
; VGPRBlocks: 4
; NumSGPRsForWavesPerEU: 36
; NumVGPRsForWavesPerEU: 38
; Occupancy: 16
; WaveLimiterHint : 1
; COMPUTE_PGM_RSRC2:SCRATCH_EN: 1
; COMPUTE_PGM_RSRC2:USER_SGPR: 15
; COMPUTE_PGM_RSRC2:TRAP_HANDLER: 0
; COMPUTE_PGM_RSRC2:TGID_X_EN: 1
; COMPUTE_PGM_RSRC2:TGID_Y_EN: 0
; COMPUTE_PGM_RSRC2:TGID_Z_EN: 0
; COMPUTE_PGM_RSRC2:TIDIG_COMP_CNT: 0
	.section	.text._ZL13mul_mat_f_idsI15__hip_bfloat162Li64ELi11ELi2EEvPKT_PKfPKiS7_S7_Pfiiiiiiiiiiiiii15HIP_vector_typeIjLj3EESA_,"axG",@progbits,_ZL13mul_mat_f_idsI15__hip_bfloat162Li64ELi11ELi2EEvPKT_PKfPKiS7_S7_Pfiiiiiiiiiiiiii15HIP_vector_typeIjLj3EESA_,comdat
	.globl	_ZL13mul_mat_f_idsI15__hip_bfloat162Li64ELi11ELi2EEvPKT_PKfPKiS7_S7_Pfiiiiiiiiiiiiii15HIP_vector_typeIjLj3EESA_ ; -- Begin function _ZL13mul_mat_f_idsI15__hip_bfloat162Li64ELi11ELi2EEvPKT_PKfPKiS7_S7_Pfiiiiiiiiiiiiii15HIP_vector_typeIjLj3EESA_
	.p2align	8
	.type	_ZL13mul_mat_f_idsI15__hip_bfloat162Li64ELi11ELi2EEvPKT_PKfPKiS7_S7_Pfiiiiiiiiiiiiii15HIP_vector_typeIjLj3EESA_,@function
_ZL13mul_mat_f_idsI15__hip_bfloat162Li64ELi11ELi2EEvPKT_PKfPKiS7_S7_Pfiiiiiiiiiiiiii15HIP_vector_typeIjLj3EESA_: ; @_ZL13mul_mat_f_idsI15__hip_bfloat162Li64ELi11ELi2EEvPKT_PKfPKiS7_S7_Pfiiiiiiiiiiiiii15HIP_vector_typeIjLj3EESA_
; %bb.0:
	s_add_u32 s8, s0, 0x80
	s_addc_u32 s9, s1, 0
	s_getpc_b64 s[0:1]
	s_add_u32 s0, s0, __FUNCTION__._ZL13mul_mat_f_idsIfLi32ELi11ELi1EEvPKT_PKfPKiS6_S6_Pfiiiiiiiiiiiiii15HIP_vector_typeIjLj3EES9_@rel32@lo+4
	s_addc_u32 s1, s1, __FUNCTION__._ZL13mul_mat_f_idsIfLi32ELi11ELi1EEvPKT_PKfPKiS6_S6_Pfiiiiiiiiiiiiii15HIP_vector_typeIjLj3EES9_@rel32@hi+12
	v_dual_mov_b32 v0, 0x136 :: v_dual_mov_b32 v1, s0
	v_mov_b32_e32 v2, s1
	s_mov_b32 s32, 0
	s_getpc_b64 s[2:3]
	s_add_u32 s2, s2, _ZL14no_device_codePKciS0_iS0_@rel32@lo+4
	s_addc_u32 s3, s3, _ZL14no_device_codePKciS0_iS0_@rel32@hi+12
	s_delay_alu instid0(SALU_CYCLE_1)
	s_swappc_b64 s[30:31], s[2:3]
	.section	.rodata,"a",@progbits
	.p2align	6, 0x0
	.amdhsa_kernel _ZL13mul_mat_f_idsI15__hip_bfloat162Li64ELi11ELi2EEvPKT_PKfPKiS7_S7_Pfiiiiiiiiiiiiii15HIP_vector_typeIjLj3EESA_
		.amdhsa_group_segment_fixed_size 0
		.amdhsa_private_segment_fixed_size 16
		.amdhsa_kernarg_size 384
		.amdhsa_user_sgpr_count 15
		.amdhsa_user_sgpr_dispatch_ptr 0
		.amdhsa_user_sgpr_queue_ptr 0
		.amdhsa_user_sgpr_kernarg_segment_ptr 1
		.amdhsa_user_sgpr_dispatch_id 0
		.amdhsa_user_sgpr_private_segment_size 0
		.amdhsa_wavefront_size32 1
		.amdhsa_uses_dynamic_stack 0
		.amdhsa_enable_private_segment 1
		.amdhsa_system_sgpr_workgroup_id_x 1
		.amdhsa_system_sgpr_workgroup_id_y 0
		.amdhsa_system_sgpr_workgroup_id_z 0
		.amdhsa_system_sgpr_workgroup_info 0
		.amdhsa_system_vgpr_workitem_id 0
		.amdhsa_next_free_vgpr 38
		.amdhsa_next_free_sgpr 34
		.amdhsa_reserve_vcc 1
		.amdhsa_float_round_mode_32 0
		.amdhsa_float_round_mode_16_64 0
		.amdhsa_float_denorm_mode_32 3
		.amdhsa_float_denorm_mode_16_64 3
		.amdhsa_dx10_clamp 1
		.amdhsa_ieee_mode 1
		.amdhsa_fp16_overflow 0
		.amdhsa_workgroup_processor_mode 1
		.amdhsa_memory_ordered 1
		.amdhsa_forward_progress 0
		.amdhsa_shared_vgpr_count 0
		.amdhsa_exception_fp_ieee_invalid_op 0
		.amdhsa_exception_fp_denorm_src 0
		.amdhsa_exception_fp_ieee_div_zero 0
		.amdhsa_exception_fp_ieee_overflow 0
		.amdhsa_exception_fp_ieee_underflow 0
		.amdhsa_exception_fp_ieee_inexact 0
		.amdhsa_exception_int_div_zero 0
	.end_amdhsa_kernel
	.section	.text._ZL13mul_mat_f_idsI15__hip_bfloat162Li64ELi11ELi2EEvPKT_PKfPKiS7_S7_Pfiiiiiiiiiiiiii15HIP_vector_typeIjLj3EESA_,"axG",@progbits,_ZL13mul_mat_f_idsI15__hip_bfloat162Li64ELi11ELi2EEvPKT_PKfPKiS7_S7_Pfiiiiiiiiiiiiii15HIP_vector_typeIjLj3EESA_,comdat
.Lfunc_end126:
	.size	_ZL13mul_mat_f_idsI15__hip_bfloat162Li64ELi11ELi2EEvPKT_PKfPKiS7_S7_Pfiiiiiiiiiiiiii15HIP_vector_typeIjLj3EESA_, .Lfunc_end126-_ZL13mul_mat_f_idsI15__hip_bfloat162Li64ELi11ELi2EEvPKT_PKfPKiS7_S7_Pfiiiiiiiiiiiiii15HIP_vector_typeIjLj3EESA_
                                        ; -- End function
	.section	.AMDGPU.csdata,"",@progbits
; Kernel info:
; codeLenInByte = 80
; NumSgprs: 36
; NumVgprs: 38
; ScratchSize: 16
; MemoryBound: 0
; FloatMode: 240
; IeeeMode: 1
; LDSByteSize: 0 bytes/workgroup (compile time only)
; SGPRBlocks: 4
; VGPRBlocks: 4
; NumSGPRsForWavesPerEU: 36
; NumVGPRsForWavesPerEU: 38
; Occupancy: 16
; WaveLimiterHint : 1
; COMPUTE_PGM_RSRC2:SCRATCH_EN: 1
; COMPUTE_PGM_RSRC2:USER_SGPR: 15
; COMPUTE_PGM_RSRC2:TRAP_HANDLER: 0
; COMPUTE_PGM_RSRC2:TGID_X_EN: 1
; COMPUTE_PGM_RSRC2:TGID_Y_EN: 0
; COMPUTE_PGM_RSRC2:TGID_Z_EN: 0
; COMPUTE_PGM_RSRC2:TIDIG_COMP_CNT: 0
	.section	.text._ZL9mul_mat_fI15__hip_bfloat162Li64ELi11ELi2ELb1EEvPKT_PKfPKiPfiiiiiiiiiiiiiiii,"axG",@progbits,_ZL9mul_mat_fI15__hip_bfloat162Li64ELi11ELi2ELb1EEvPKT_PKfPKiPfiiiiiiiiiiiiiiii,comdat
	.globl	_ZL9mul_mat_fI15__hip_bfloat162Li64ELi11ELi2ELb1EEvPKT_PKfPKiPfiiiiiiiiiiiiiiii ; -- Begin function _ZL9mul_mat_fI15__hip_bfloat162Li64ELi11ELi2ELb1EEvPKT_PKfPKiPfiiiiiiiiiiiiiiii
	.p2align	8
	.type	_ZL9mul_mat_fI15__hip_bfloat162Li64ELi11ELi2ELb1EEvPKT_PKfPKiPfiiiiiiiiiiiiiiii,@function
_ZL9mul_mat_fI15__hip_bfloat162Li64ELi11ELi2ELb1EEvPKT_PKfPKiPfiiiiiiiiiiiiiiii: ; @_ZL9mul_mat_fI15__hip_bfloat162Li64ELi11ELi2ELb1EEvPKT_PKfPKiPfiiiiiiiiiiiiiiii
; %bb.0:
	s_add_u32 s8, s0, 0x60
	s_addc_u32 s9, s1, 0
	s_getpc_b64 s[0:1]
	s_add_u32 s0, s0, __FUNCTION__._ZL9mul_mat_fIfLi32ELi11ELi1ELb1EEvPKT_PKfPKiPfiiiiiiiiiiiiiiii@rel32@lo+4
	s_addc_u32 s1, s1, __FUNCTION__._ZL9mul_mat_fIfLi32ELi11ELi1ELb1EEvPKT_PKfPKiPfiiiiiiiiiiiiiiii@rel32@hi+12
	v_dual_mov_b32 v0, 59 :: v_dual_mov_b32 v1, s0
	v_mov_b32_e32 v2, s1
	s_mov_b32 s32, 0
	s_getpc_b64 s[2:3]
	s_add_u32 s2, s2, _ZL14no_device_codePKciS0_iS0_@rel32@lo+4
	s_addc_u32 s3, s3, _ZL14no_device_codePKciS0_iS0_@rel32@hi+12
	s_delay_alu instid0(SALU_CYCLE_1)
	s_swappc_b64 s[30:31], s[2:3]
	.section	.rodata,"a",@progbits
	.p2align	6, 0x0
	.amdhsa_kernel _ZL9mul_mat_fI15__hip_bfloat162Li64ELi11ELi2ELb1EEvPKT_PKfPKiPfiiiiiiiiiiiiiiii
		.amdhsa_group_segment_fixed_size 0
		.amdhsa_private_segment_fixed_size 16
		.amdhsa_kernarg_size 352
		.amdhsa_user_sgpr_count 15
		.amdhsa_user_sgpr_dispatch_ptr 0
		.amdhsa_user_sgpr_queue_ptr 0
		.amdhsa_user_sgpr_kernarg_segment_ptr 1
		.amdhsa_user_sgpr_dispatch_id 0
		.amdhsa_user_sgpr_private_segment_size 0
		.amdhsa_wavefront_size32 1
		.amdhsa_uses_dynamic_stack 0
		.amdhsa_enable_private_segment 1
		.amdhsa_system_sgpr_workgroup_id_x 1
		.amdhsa_system_sgpr_workgroup_id_y 0
		.amdhsa_system_sgpr_workgroup_id_z 0
		.amdhsa_system_sgpr_workgroup_info 0
		.amdhsa_system_vgpr_workitem_id 0
		.amdhsa_next_free_vgpr 38
		.amdhsa_next_free_sgpr 34
		.amdhsa_reserve_vcc 1
		.amdhsa_float_round_mode_32 0
		.amdhsa_float_round_mode_16_64 0
		.amdhsa_float_denorm_mode_32 3
		.amdhsa_float_denorm_mode_16_64 3
		.amdhsa_dx10_clamp 1
		.amdhsa_ieee_mode 1
		.amdhsa_fp16_overflow 0
		.amdhsa_workgroup_processor_mode 1
		.amdhsa_memory_ordered 1
		.amdhsa_forward_progress 0
		.amdhsa_shared_vgpr_count 0
		.amdhsa_exception_fp_ieee_invalid_op 0
		.amdhsa_exception_fp_denorm_src 0
		.amdhsa_exception_fp_ieee_div_zero 0
		.amdhsa_exception_fp_ieee_overflow 0
		.amdhsa_exception_fp_ieee_underflow 0
		.amdhsa_exception_fp_ieee_inexact 0
		.amdhsa_exception_int_div_zero 0
	.end_amdhsa_kernel
	.section	.text._ZL9mul_mat_fI15__hip_bfloat162Li64ELi11ELi2ELb1EEvPKT_PKfPKiPfiiiiiiiiiiiiiiii,"axG",@progbits,_ZL9mul_mat_fI15__hip_bfloat162Li64ELi11ELi2ELb1EEvPKT_PKfPKiPfiiiiiiiiiiiiiiii,comdat
.Lfunc_end127:
	.size	_ZL9mul_mat_fI15__hip_bfloat162Li64ELi11ELi2ELb1EEvPKT_PKfPKiPfiiiiiiiiiiiiiiii, .Lfunc_end127-_ZL9mul_mat_fI15__hip_bfloat162Li64ELi11ELi2ELb1EEvPKT_PKfPKiPfiiiiiiiiiiiiiiii
                                        ; -- End function
	.section	.AMDGPU.csdata,"",@progbits
; Kernel info:
; codeLenInByte = 76
; NumSgprs: 36
; NumVgprs: 38
; ScratchSize: 16
; MemoryBound: 0
; FloatMode: 240
; IeeeMode: 1
; LDSByteSize: 0 bytes/workgroup (compile time only)
; SGPRBlocks: 4
; VGPRBlocks: 4
; NumSGPRsForWavesPerEU: 36
; NumVGPRsForWavesPerEU: 38
; Occupancy: 16
; WaveLimiterHint : 1
; COMPUTE_PGM_RSRC2:SCRATCH_EN: 1
; COMPUTE_PGM_RSRC2:USER_SGPR: 15
; COMPUTE_PGM_RSRC2:TRAP_HANDLER: 0
; COMPUTE_PGM_RSRC2:TGID_X_EN: 1
; COMPUTE_PGM_RSRC2:TGID_Y_EN: 0
; COMPUTE_PGM_RSRC2:TGID_Z_EN: 0
; COMPUTE_PGM_RSRC2:TIDIG_COMP_CNT: 0
	.section	.text._ZL9mul_mat_fI15__hip_bfloat162Li64ELi11ELi2ELb0EEvPKT_PKfPKiPfiiiiiiiiiiiiiiii,"axG",@progbits,_ZL9mul_mat_fI15__hip_bfloat162Li64ELi11ELi2ELb0EEvPKT_PKfPKiPfiiiiiiiiiiiiiiii,comdat
	.globl	_ZL9mul_mat_fI15__hip_bfloat162Li64ELi11ELi2ELb0EEvPKT_PKfPKiPfiiiiiiiiiiiiiiii ; -- Begin function _ZL9mul_mat_fI15__hip_bfloat162Li64ELi11ELi2ELb0EEvPKT_PKfPKiPfiiiiiiiiiiiiiiii
	.p2align	8
	.type	_ZL9mul_mat_fI15__hip_bfloat162Li64ELi11ELi2ELb0EEvPKT_PKfPKiPfiiiiiiiiiiiiiiii,@function
_ZL9mul_mat_fI15__hip_bfloat162Li64ELi11ELi2ELb0EEvPKT_PKfPKiPfiiiiiiiiiiiiiiii: ; @_ZL9mul_mat_fI15__hip_bfloat162Li64ELi11ELi2ELb0EEvPKT_PKfPKiPfiiiiiiiiiiiiiiii
; %bb.0:
	s_add_u32 s8, s0, 0x60
	s_addc_u32 s9, s1, 0
	s_getpc_b64 s[0:1]
	s_add_u32 s0, s0, __FUNCTION__._ZL9mul_mat_fIfLi32ELi11ELi1ELb1EEvPKT_PKfPKiPfiiiiiiiiiiiiiiii@rel32@lo+4
	s_addc_u32 s1, s1, __FUNCTION__._ZL9mul_mat_fIfLi32ELi11ELi1ELb1EEvPKT_PKfPKiPfiiiiiiiiiiiiiiii@rel32@hi+12
	v_dual_mov_b32 v0, 59 :: v_dual_mov_b32 v1, s0
	v_mov_b32_e32 v2, s1
	s_mov_b32 s32, 0
	s_getpc_b64 s[2:3]
	s_add_u32 s2, s2, _ZL14no_device_codePKciS0_iS0_@rel32@lo+4
	s_addc_u32 s3, s3, _ZL14no_device_codePKciS0_iS0_@rel32@hi+12
	s_delay_alu instid0(SALU_CYCLE_1)
	s_swappc_b64 s[30:31], s[2:3]
	.section	.rodata,"a",@progbits
	.p2align	6, 0x0
	.amdhsa_kernel _ZL9mul_mat_fI15__hip_bfloat162Li64ELi11ELi2ELb0EEvPKT_PKfPKiPfiiiiiiiiiiiiiiii
		.amdhsa_group_segment_fixed_size 0
		.amdhsa_private_segment_fixed_size 16
		.amdhsa_kernarg_size 352
		.amdhsa_user_sgpr_count 15
		.amdhsa_user_sgpr_dispatch_ptr 0
		.amdhsa_user_sgpr_queue_ptr 0
		.amdhsa_user_sgpr_kernarg_segment_ptr 1
		.amdhsa_user_sgpr_dispatch_id 0
		.amdhsa_user_sgpr_private_segment_size 0
		.amdhsa_wavefront_size32 1
		.amdhsa_uses_dynamic_stack 0
		.amdhsa_enable_private_segment 1
		.amdhsa_system_sgpr_workgroup_id_x 1
		.amdhsa_system_sgpr_workgroup_id_y 0
		.amdhsa_system_sgpr_workgroup_id_z 0
		.amdhsa_system_sgpr_workgroup_info 0
		.amdhsa_system_vgpr_workitem_id 0
		.amdhsa_next_free_vgpr 38
		.amdhsa_next_free_sgpr 34
		.amdhsa_reserve_vcc 1
		.amdhsa_float_round_mode_32 0
		.amdhsa_float_round_mode_16_64 0
		.amdhsa_float_denorm_mode_32 3
		.amdhsa_float_denorm_mode_16_64 3
		.amdhsa_dx10_clamp 1
		.amdhsa_ieee_mode 1
		.amdhsa_fp16_overflow 0
		.amdhsa_workgroup_processor_mode 1
		.amdhsa_memory_ordered 1
		.amdhsa_forward_progress 0
		.amdhsa_shared_vgpr_count 0
		.amdhsa_exception_fp_ieee_invalid_op 0
		.amdhsa_exception_fp_denorm_src 0
		.amdhsa_exception_fp_ieee_div_zero 0
		.amdhsa_exception_fp_ieee_overflow 0
		.amdhsa_exception_fp_ieee_underflow 0
		.amdhsa_exception_fp_ieee_inexact 0
		.amdhsa_exception_int_div_zero 0
	.end_amdhsa_kernel
	.section	.text._ZL9mul_mat_fI15__hip_bfloat162Li64ELi11ELi2ELb0EEvPKT_PKfPKiPfiiiiiiiiiiiiiiii,"axG",@progbits,_ZL9mul_mat_fI15__hip_bfloat162Li64ELi11ELi2ELb0EEvPKT_PKfPKiPfiiiiiiiiiiiiiiii,comdat
.Lfunc_end128:
	.size	_ZL9mul_mat_fI15__hip_bfloat162Li64ELi11ELi2ELb0EEvPKT_PKfPKiPfiiiiiiiiiiiiiiii, .Lfunc_end128-_ZL9mul_mat_fI15__hip_bfloat162Li64ELi11ELi2ELb0EEvPKT_PKfPKiPfiiiiiiiiiiiiiiii
                                        ; -- End function
	.section	.AMDGPU.csdata,"",@progbits
; Kernel info:
; codeLenInByte = 76
; NumSgprs: 36
; NumVgprs: 38
; ScratchSize: 16
; MemoryBound: 0
; FloatMode: 240
; IeeeMode: 1
; LDSByteSize: 0 bytes/workgroup (compile time only)
; SGPRBlocks: 4
; VGPRBlocks: 4
; NumSGPRsForWavesPerEU: 36
; NumVGPRsForWavesPerEU: 38
; Occupancy: 16
; WaveLimiterHint : 1
; COMPUTE_PGM_RSRC2:SCRATCH_EN: 1
; COMPUTE_PGM_RSRC2:USER_SGPR: 15
; COMPUTE_PGM_RSRC2:TRAP_HANDLER: 0
; COMPUTE_PGM_RSRC2:TGID_X_EN: 1
; COMPUTE_PGM_RSRC2:TGID_Y_EN: 0
; COMPUTE_PGM_RSRC2:TGID_Z_EN: 0
; COMPUTE_PGM_RSRC2:TIDIG_COMP_CNT: 0
	.section	.text._ZL13mul_mat_f_idsI15__hip_bfloat162Li64ELi11ELi3EEvPKT_PKfPKiS7_S7_Pfiiiiiiiiiiiiii15HIP_vector_typeIjLj3EESA_,"axG",@progbits,_ZL13mul_mat_f_idsI15__hip_bfloat162Li64ELi11ELi3EEvPKT_PKfPKiS7_S7_Pfiiiiiiiiiiiiii15HIP_vector_typeIjLj3EESA_,comdat
	.globl	_ZL13mul_mat_f_idsI15__hip_bfloat162Li64ELi11ELi3EEvPKT_PKfPKiS7_S7_Pfiiiiiiiiiiiiii15HIP_vector_typeIjLj3EESA_ ; -- Begin function _ZL13mul_mat_f_idsI15__hip_bfloat162Li64ELi11ELi3EEvPKT_PKfPKiS7_S7_Pfiiiiiiiiiiiiii15HIP_vector_typeIjLj3EESA_
	.p2align	8
	.type	_ZL13mul_mat_f_idsI15__hip_bfloat162Li64ELi11ELi3EEvPKT_PKfPKiS7_S7_Pfiiiiiiiiiiiiii15HIP_vector_typeIjLj3EESA_,@function
_ZL13mul_mat_f_idsI15__hip_bfloat162Li64ELi11ELi3EEvPKT_PKfPKiS7_S7_Pfiiiiiiiiiiiiii15HIP_vector_typeIjLj3EESA_: ; @_ZL13mul_mat_f_idsI15__hip_bfloat162Li64ELi11ELi3EEvPKT_PKfPKiS7_S7_Pfiiiiiiiiiiiiii15HIP_vector_typeIjLj3EESA_
; %bb.0:
	s_add_u32 s8, s0, 0x80
	s_addc_u32 s9, s1, 0
	s_getpc_b64 s[0:1]
	s_add_u32 s0, s0, __FUNCTION__._ZL13mul_mat_f_idsIfLi32ELi11ELi1EEvPKT_PKfPKiS6_S6_Pfiiiiiiiiiiiiii15HIP_vector_typeIjLj3EES9_@rel32@lo+4
	s_addc_u32 s1, s1, __FUNCTION__._ZL13mul_mat_f_idsIfLi32ELi11ELi1EEvPKT_PKfPKiS6_S6_Pfiiiiiiiiiiiiii15HIP_vector_typeIjLj3EES9_@rel32@hi+12
	v_dual_mov_b32 v0, 0x136 :: v_dual_mov_b32 v1, s0
	v_mov_b32_e32 v2, s1
	s_mov_b32 s32, 0
	s_getpc_b64 s[2:3]
	s_add_u32 s2, s2, _ZL14no_device_codePKciS0_iS0_@rel32@lo+4
	s_addc_u32 s3, s3, _ZL14no_device_codePKciS0_iS0_@rel32@hi+12
	s_delay_alu instid0(SALU_CYCLE_1)
	s_swappc_b64 s[30:31], s[2:3]
	.section	.rodata,"a",@progbits
	.p2align	6, 0x0
	.amdhsa_kernel _ZL13mul_mat_f_idsI15__hip_bfloat162Li64ELi11ELi3EEvPKT_PKfPKiS7_S7_Pfiiiiiiiiiiiiii15HIP_vector_typeIjLj3EESA_
		.amdhsa_group_segment_fixed_size 0
		.amdhsa_private_segment_fixed_size 16
		.amdhsa_kernarg_size 384
		.amdhsa_user_sgpr_count 15
		.amdhsa_user_sgpr_dispatch_ptr 0
		.amdhsa_user_sgpr_queue_ptr 0
		.amdhsa_user_sgpr_kernarg_segment_ptr 1
		.amdhsa_user_sgpr_dispatch_id 0
		.amdhsa_user_sgpr_private_segment_size 0
		.amdhsa_wavefront_size32 1
		.amdhsa_uses_dynamic_stack 0
		.amdhsa_enable_private_segment 1
		.amdhsa_system_sgpr_workgroup_id_x 1
		.amdhsa_system_sgpr_workgroup_id_y 0
		.amdhsa_system_sgpr_workgroup_id_z 0
		.amdhsa_system_sgpr_workgroup_info 0
		.amdhsa_system_vgpr_workitem_id 0
		.amdhsa_next_free_vgpr 38
		.amdhsa_next_free_sgpr 34
		.amdhsa_reserve_vcc 1
		.amdhsa_float_round_mode_32 0
		.amdhsa_float_round_mode_16_64 0
		.amdhsa_float_denorm_mode_32 3
		.amdhsa_float_denorm_mode_16_64 3
		.amdhsa_dx10_clamp 1
		.amdhsa_ieee_mode 1
		.amdhsa_fp16_overflow 0
		.amdhsa_workgroup_processor_mode 1
		.amdhsa_memory_ordered 1
		.amdhsa_forward_progress 0
		.amdhsa_shared_vgpr_count 0
		.amdhsa_exception_fp_ieee_invalid_op 0
		.amdhsa_exception_fp_denorm_src 0
		.amdhsa_exception_fp_ieee_div_zero 0
		.amdhsa_exception_fp_ieee_overflow 0
		.amdhsa_exception_fp_ieee_underflow 0
		.amdhsa_exception_fp_ieee_inexact 0
		.amdhsa_exception_int_div_zero 0
	.end_amdhsa_kernel
	.section	.text._ZL13mul_mat_f_idsI15__hip_bfloat162Li64ELi11ELi3EEvPKT_PKfPKiS7_S7_Pfiiiiiiiiiiiiii15HIP_vector_typeIjLj3EESA_,"axG",@progbits,_ZL13mul_mat_f_idsI15__hip_bfloat162Li64ELi11ELi3EEvPKT_PKfPKiS7_S7_Pfiiiiiiiiiiiiii15HIP_vector_typeIjLj3EESA_,comdat
.Lfunc_end129:
	.size	_ZL13mul_mat_f_idsI15__hip_bfloat162Li64ELi11ELi3EEvPKT_PKfPKiS7_S7_Pfiiiiiiiiiiiiii15HIP_vector_typeIjLj3EESA_, .Lfunc_end129-_ZL13mul_mat_f_idsI15__hip_bfloat162Li64ELi11ELi3EEvPKT_PKfPKiS7_S7_Pfiiiiiiiiiiiiii15HIP_vector_typeIjLj3EESA_
                                        ; -- End function
	.section	.AMDGPU.csdata,"",@progbits
; Kernel info:
; codeLenInByte = 80
; NumSgprs: 36
; NumVgprs: 38
; ScratchSize: 16
; MemoryBound: 0
; FloatMode: 240
; IeeeMode: 1
; LDSByteSize: 0 bytes/workgroup (compile time only)
; SGPRBlocks: 4
; VGPRBlocks: 4
; NumSGPRsForWavesPerEU: 36
; NumVGPRsForWavesPerEU: 38
; Occupancy: 16
; WaveLimiterHint : 1
; COMPUTE_PGM_RSRC2:SCRATCH_EN: 1
; COMPUTE_PGM_RSRC2:USER_SGPR: 15
; COMPUTE_PGM_RSRC2:TRAP_HANDLER: 0
; COMPUTE_PGM_RSRC2:TGID_X_EN: 1
; COMPUTE_PGM_RSRC2:TGID_Y_EN: 0
; COMPUTE_PGM_RSRC2:TGID_Z_EN: 0
; COMPUTE_PGM_RSRC2:TIDIG_COMP_CNT: 0
	.section	.text._ZL9mul_mat_fI15__hip_bfloat162Li64ELi11ELi3ELb1EEvPKT_PKfPKiPfiiiiiiiiiiiiiiii,"axG",@progbits,_ZL9mul_mat_fI15__hip_bfloat162Li64ELi11ELi3ELb1EEvPKT_PKfPKiPfiiiiiiiiiiiiiiii,comdat
	.globl	_ZL9mul_mat_fI15__hip_bfloat162Li64ELi11ELi3ELb1EEvPKT_PKfPKiPfiiiiiiiiiiiiiiii ; -- Begin function _ZL9mul_mat_fI15__hip_bfloat162Li64ELi11ELi3ELb1EEvPKT_PKfPKiPfiiiiiiiiiiiiiiii
	.p2align	8
	.type	_ZL9mul_mat_fI15__hip_bfloat162Li64ELi11ELi3ELb1EEvPKT_PKfPKiPfiiiiiiiiiiiiiiii,@function
_ZL9mul_mat_fI15__hip_bfloat162Li64ELi11ELi3ELb1EEvPKT_PKfPKiPfiiiiiiiiiiiiiiii: ; @_ZL9mul_mat_fI15__hip_bfloat162Li64ELi11ELi3ELb1EEvPKT_PKfPKiPfiiiiiiiiiiiiiiii
; %bb.0:
	s_add_u32 s8, s0, 0x60
	s_addc_u32 s9, s1, 0
	s_getpc_b64 s[0:1]
	s_add_u32 s0, s0, __FUNCTION__._ZL9mul_mat_fIfLi32ELi11ELi1ELb1EEvPKT_PKfPKiPfiiiiiiiiiiiiiiii@rel32@lo+4
	s_addc_u32 s1, s1, __FUNCTION__._ZL9mul_mat_fIfLi32ELi11ELi1ELb1EEvPKT_PKfPKiPfiiiiiiiiiiiiiiii@rel32@hi+12
	v_dual_mov_b32 v0, 59 :: v_dual_mov_b32 v1, s0
	v_mov_b32_e32 v2, s1
	s_mov_b32 s32, 0
	s_getpc_b64 s[2:3]
	s_add_u32 s2, s2, _ZL14no_device_codePKciS0_iS0_@rel32@lo+4
	s_addc_u32 s3, s3, _ZL14no_device_codePKciS0_iS0_@rel32@hi+12
	s_delay_alu instid0(SALU_CYCLE_1)
	s_swappc_b64 s[30:31], s[2:3]
	.section	.rodata,"a",@progbits
	.p2align	6, 0x0
	.amdhsa_kernel _ZL9mul_mat_fI15__hip_bfloat162Li64ELi11ELi3ELb1EEvPKT_PKfPKiPfiiiiiiiiiiiiiiii
		.amdhsa_group_segment_fixed_size 0
		.amdhsa_private_segment_fixed_size 16
		.amdhsa_kernarg_size 352
		.amdhsa_user_sgpr_count 15
		.amdhsa_user_sgpr_dispatch_ptr 0
		.amdhsa_user_sgpr_queue_ptr 0
		.amdhsa_user_sgpr_kernarg_segment_ptr 1
		.amdhsa_user_sgpr_dispatch_id 0
		.amdhsa_user_sgpr_private_segment_size 0
		.amdhsa_wavefront_size32 1
		.amdhsa_uses_dynamic_stack 0
		.amdhsa_enable_private_segment 1
		.amdhsa_system_sgpr_workgroup_id_x 1
		.amdhsa_system_sgpr_workgroup_id_y 0
		.amdhsa_system_sgpr_workgroup_id_z 0
		.amdhsa_system_sgpr_workgroup_info 0
		.amdhsa_system_vgpr_workitem_id 0
		.amdhsa_next_free_vgpr 38
		.amdhsa_next_free_sgpr 34
		.amdhsa_reserve_vcc 1
		.amdhsa_float_round_mode_32 0
		.amdhsa_float_round_mode_16_64 0
		.amdhsa_float_denorm_mode_32 3
		.amdhsa_float_denorm_mode_16_64 3
		.amdhsa_dx10_clamp 1
		.amdhsa_ieee_mode 1
		.amdhsa_fp16_overflow 0
		.amdhsa_workgroup_processor_mode 1
		.amdhsa_memory_ordered 1
		.amdhsa_forward_progress 0
		.amdhsa_shared_vgpr_count 0
		.amdhsa_exception_fp_ieee_invalid_op 0
		.amdhsa_exception_fp_denorm_src 0
		.amdhsa_exception_fp_ieee_div_zero 0
		.amdhsa_exception_fp_ieee_overflow 0
		.amdhsa_exception_fp_ieee_underflow 0
		.amdhsa_exception_fp_ieee_inexact 0
		.amdhsa_exception_int_div_zero 0
	.end_amdhsa_kernel
	.section	.text._ZL9mul_mat_fI15__hip_bfloat162Li64ELi11ELi3ELb1EEvPKT_PKfPKiPfiiiiiiiiiiiiiiii,"axG",@progbits,_ZL9mul_mat_fI15__hip_bfloat162Li64ELi11ELi3ELb1EEvPKT_PKfPKiPfiiiiiiiiiiiiiiii,comdat
.Lfunc_end130:
	.size	_ZL9mul_mat_fI15__hip_bfloat162Li64ELi11ELi3ELb1EEvPKT_PKfPKiPfiiiiiiiiiiiiiiii, .Lfunc_end130-_ZL9mul_mat_fI15__hip_bfloat162Li64ELi11ELi3ELb1EEvPKT_PKfPKiPfiiiiiiiiiiiiiiii
                                        ; -- End function
	.section	.AMDGPU.csdata,"",@progbits
; Kernel info:
; codeLenInByte = 76
; NumSgprs: 36
; NumVgprs: 38
; ScratchSize: 16
; MemoryBound: 0
; FloatMode: 240
; IeeeMode: 1
; LDSByteSize: 0 bytes/workgroup (compile time only)
; SGPRBlocks: 4
; VGPRBlocks: 4
; NumSGPRsForWavesPerEU: 36
; NumVGPRsForWavesPerEU: 38
; Occupancy: 16
; WaveLimiterHint : 1
; COMPUTE_PGM_RSRC2:SCRATCH_EN: 1
; COMPUTE_PGM_RSRC2:USER_SGPR: 15
; COMPUTE_PGM_RSRC2:TRAP_HANDLER: 0
; COMPUTE_PGM_RSRC2:TGID_X_EN: 1
; COMPUTE_PGM_RSRC2:TGID_Y_EN: 0
; COMPUTE_PGM_RSRC2:TGID_Z_EN: 0
; COMPUTE_PGM_RSRC2:TIDIG_COMP_CNT: 0
	.section	.text._ZL9mul_mat_fI15__hip_bfloat162Li64ELi11ELi3ELb0EEvPKT_PKfPKiPfiiiiiiiiiiiiiiii,"axG",@progbits,_ZL9mul_mat_fI15__hip_bfloat162Li64ELi11ELi3ELb0EEvPKT_PKfPKiPfiiiiiiiiiiiiiiii,comdat
	.globl	_ZL9mul_mat_fI15__hip_bfloat162Li64ELi11ELi3ELb0EEvPKT_PKfPKiPfiiiiiiiiiiiiiiii ; -- Begin function _ZL9mul_mat_fI15__hip_bfloat162Li64ELi11ELi3ELb0EEvPKT_PKfPKiPfiiiiiiiiiiiiiiii
	.p2align	8
	.type	_ZL9mul_mat_fI15__hip_bfloat162Li64ELi11ELi3ELb0EEvPKT_PKfPKiPfiiiiiiiiiiiiiiii,@function
_ZL9mul_mat_fI15__hip_bfloat162Li64ELi11ELi3ELb0EEvPKT_PKfPKiPfiiiiiiiiiiiiiiii: ; @_ZL9mul_mat_fI15__hip_bfloat162Li64ELi11ELi3ELb0EEvPKT_PKfPKiPfiiiiiiiiiiiiiiii
; %bb.0:
	s_add_u32 s8, s0, 0x60
	s_addc_u32 s9, s1, 0
	s_getpc_b64 s[0:1]
	s_add_u32 s0, s0, __FUNCTION__._ZL9mul_mat_fIfLi32ELi11ELi1ELb1EEvPKT_PKfPKiPfiiiiiiiiiiiiiiii@rel32@lo+4
	s_addc_u32 s1, s1, __FUNCTION__._ZL9mul_mat_fIfLi32ELi11ELi1ELb1EEvPKT_PKfPKiPfiiiiiiiiiiiiiiii@rel32@hi+12
	v_dual_mov_b32 v0, 59 :: v_dual_mov_b32 v1, s0
	v_mov_b32_e32 v2, s1
	s_mov_b32 s32, 0
	s_getpc_b64 s[2:3]
	s_add_u32 s2, s2, _ZL14no_device_codePKciS0_iS0_@rel32@lo+4
	s_addc_u32 s3, s3, _ZL14no_device_codePKciS0_iS0_@rel32@hi+12
	s_delay_alu instid0(SALU_CYCLE_1)
	s_swappc_b64 s[30:31], s[2:3]
	.section	.rodata,"a",@progbits
	.p2align	6, 0x0
	.amdhsa_kernel _ZL9mul_mat_fI15__hip_bfloat162Li64ELi11ELi3ELb0EEvPKT_PKfPKiPfiiiiiiiiiiiiiiii
		.amdhsa_group_segment_fixed_size 0
		.amdhsa_private_segment_fixed_size 16
		.amdhsa_kernarg_size 352
		.amdhsa_user_sgpr_count 15
		.amdhsa_user_sgpr_dispatch_ptr 0
		.amdhsa_user_sgpr_queue_ptr 0
		.amdhsa_user_sgpr_kernarg_segment_ptr 1
		.amdhsa_user_sgpr_dispatch_id 0
		.amdhsa_user_sgpr_private_segment_size 0
		.amdhsa_wavefront_size32 1
		.amdhsa_uses_dynamic_stack 0
		.amdhsa_enable_private_segment 1
		.amdhsa_system_sgpr_workgroup_id_x 1
		.amdhsa_system_sgpr_workgroup_id_y 0
		.amdhsa_system_sgpr_workgroup_id_z 0
		.amdhsa_system_sgpr_workgroup_info 0
		.amdhsa_system_vgpr_workitem_id 0
		.amdhsa_next_free_vgpr 38
		.amdhsa_next_free_sgpr 34
		.amdhsa_reserve_vcc 1
		.amdhsa_float_round_mode_32 0
		.amdhsa_float_round_mode_16_64 0
		.amdhsa_float_denorm_mode_32 3
		.amdhsa_float_denorm_mode_16_64 3
		.amdhsa_dx10_clamp 1
		.amdhsa_ieee_mode 1
		.amdhsa_fp16_overflow 0
		.amdhsa_workgroup_processor_mode 1
		.amdhsa_memory_ordered 1
		.amdhsa_forward_progress 0
		.amdhsa_shared_vgpr_count 0
		.amdhsa_exception_fp_ieee_invalid_op 0
		.amdhsa_exception_fp_denorm_src 0
		.amdhsa_exception_fp_ieee_div_zero 0
		.amdhsa_exception_fp_ieee_overflow 0
		.amdhsa_exception_fp_ieee_underflow 0
		.amdhsa_exception_fp_ieee_inexact 0
		.amdhsa_exception_int_div_zero 0
	.end_amdhsa_kernel
	.section	.text._ZL9mul_mat_fI15__hip_bfloat162Li64ELi11ELi3ELb0EEvPKT_PKfPKiPfiiiiiiiiiiiiiiii,"axG",@progbits,_ZL9mul_mat_fI15__hip_bfloat162Li64ELi11ELi3ELb0EEvPKT_PKfPKiPfiiiiiiiiiiiiiiii,comdat
.Lfunc_end131:
	.size	_ZL9mul_mat_fI15__hip_bfloat162Li64ELi11ELi3ELb0EEvPKT_PKfPKiPfiiiiiiiiiiiiiiii, .Lfunc_end131-_ZL9mul_mat_fI15__hip_bfloat162Li64ELi11ELi3ELb0EEvPKT_PKfPKiPfiiiiiiiiiiiiiiii
                                        ; -- End function
	.section	.AMDGPU.csdata,"",@progbits
; Kernel info:
; codeLenInByte = 76
; NumSgprs: 36
; NumVgprs: 38
; ScratchSize: 16
; MemoryBound: 0
; FloatMode: 240
; IeeeMode: 1
; LDSByteSize: 0 bytes/workgroup (compile time only)
; SGPRBlocks: 4
; VGPRBlocks: 4
; NumSGPRsForWavesPerEU: 36
; NumVGPRsForWavesPerEU: 38
; Occupancy: 16
; WaveLimiterHint : 1
; COMPUTE_PGM_RSRC2:SCRATCH_EN: 1
; COMPUTE_PGM_RSRC2:USER_SGPR: 15
; COMPUTE_PGM_RSRC2:TRAP_HANDLER: 0
; COMPUTE_PGM_RSRC2:TGID_X_EN: 1
; COMPUTE_PGM_RSRC2:TGID_Y_EN: 0
; COMPUTE_PGM_RSRC2:TGID_Z_EN: 0
; COMPUTE_PGM_RSRC2:TIDIG_COMP_CNT: 0
	.section	.text._ZL13mul_mat_f_idsI15__hip_bfloat162Li64ELi11ELi4EEvPKT_PKfPKiS7_S7_Pfiiiiiiiiiiiiii15HIP_vector_typeIjLj3EESA_,"axG",@progbits,_ZL13mul_mat_f_idsI15__hip_bfloat162Li64ELi11ELi4EEvPKT_PKfPKiS7_S7_Pfiiiiiiiiiiiiii15HIP_vector_typeIjLj3EESA_,comdat
	.globl	_ZL13mul_mat_f_idsI15__hip_bfloat162Li64ELi11ELi4EEvPKT_PKfPKiS7_S7_Pfiiiiiiiiiiiiii15HIP_vector_typeIjLj3EESA_ ; -- Begin function _ZL13mul_mat_f_idsI15__hip_bfloat162Li64ELi11ELi4EEvPKT_PKfPKiS7_S7_Pfiiiiiiiiiiiiii15HIP_vector_typeIjLj3EESA_
	.p2align	8
	.type	_ZL13mul_mat_f_idsI15__hip_bfloat162Li64ELi11ELi4EEvPKT_PKfPKiS7_S7_Pfiiiiiiiiiiiiii15HIP_vector_typeIjLj3EESA_,@function
_ZL13mul_mat_f_idsI15__hip_bfloat162Li64ELi11ELi4EEvPKT_PKfPKiS7_S7_Pfiiiiiiiiiiiiii15HIP_vector_typeIjLj3EESA_: ; @_ZL13mul_mat_f_idsI15__hip_bfloat162Li64ELi11ELi4EEvPKT_PKfPKiS7_S7_Pfiiiiiiiiiiiiii15HIP_vector_typeIjLj3EESA_
; %bb.0:
	s_add_u32 s8, s0, 0x80
	s_addc_u32 s9, s1, 0
	s_getpc_b64 s[0:1]
	s_add_u32 s0, s0, __FUNCTION__._ZL13mul_mat_f_idsIfLi32ELi11ELi1EEvPKT_PKfPKiS6_S6_Pfiiiiiiiiiiiiii15HIP_vector_typeIjLj3EES9_@rel32@lo+4
	s_addc_u32 s1, s1, __FUNCTION__._ZL13mul_mat_f_idsIfLi32ELi11ELi1EEvPKT_PKfPKiS6_S6_Pfiiiiiiiiiiiiii15HIP_vector_typeIjLj3EES9_@rel32@hi+12
	v_dual_mov_b32 v0, 0x136 :: v_dual_mov_b32 v1, s0
	v_mov_b32_e32 v2, s1
	s_mov_b32 s32, 0
	s_getpc_b64 s[2:3]
	s_add_u32 s2, s2, _ZL14no_device_codePKciS0_iS0_@rel32@lo+4
	s_addc_u32 s3, s3, _ZL14no_device_codePKciS0_iS0_@rel32@hi+12
	s_delay_alu instid0(SALU_CYCLE_1)
	s_swappc_b64 s[30:31], s[2:3]
	.section	.rodata,"a",@progbits
	.p2align	6, 0x0
	.amdhsa_kernel _ZL13mul_mat_f_idsI15__hip_bfloat162Li64ELi11ELi4EEvPKT_PKfPKiS7_S7_Pfiiiiiiiiiiiiii15HIP_vector_typeIjLj3EESA_
		.amdhsa_group_segment_fixed_size 0
		.amdhsa_private_segment_fixed_size 16
		.amdhsa_kernarg_size 384
		.amdhsa_user_sgpr_count 15
		.amdhsa_user_sgpr_dispatch_ptr 0
		.amdhsa_user_sgpr_queue_ptr 0
		.amdhsa_user_sgpr_kernarg_segment_ptr 1
		.amdhsa_user_sgpr_dispatch_id 0
		.amdhsa_user_sgpr_private_segment_size 0
		.amdhsa_wavefront_size32 1
		.amdhsa_uses_dynamic_stack 0
		.amdhsa_enable_private_segment 1
		.amdhsa_system_sgpr_workgroup_id_x 1
		.amdhsa_system_sgpr_workgroup_id_y 0
		.amdhsa_system_sgpr_workgroup_id_z 0
		.amdhsa_system_sgpr_workgroup_info 0
		.amdhsa_system_vgpr_workitem_id 0
		.amdhsa_next_free_vgpr 38
		.amdhsa_next_free_sgpr 34
		.amdhsa_reserve_vcc 1
		.amdhsa_float_round_mode_32 0
		.amdhsa_float_round_mode_16_64 0
		.amdhsa_float_denorm_mode_32 3
		.amdhsa_float_denorm_mode_16_64 3
		.amdhsa_dx10_clamp 1
		.amdhsa_ieee_mode 1
		.amdhsa_fp16_overflow 0
		.amdhsa_workgroup_processor_mode 1
		.amdhsa_memory_ordered 1
		.amdhsa_forward_progress 0
		.amdhsa_shared_vgpr_count 0
		.amdhsa_exception_fp_ieee_invalid_op 0
		.amdhsa_exception_fp_denorm_src 0
		.amdhsa_exception_fp_ieee_div_zero 0
		.amdhsa_exception_fp_ieee_overflow 0
		.amdhsa_exception_fp_ieee_underflow 0
		.amdhsa_exception_fp_ieee_inexact 0
		.amdhsa_exception_int_div_zero 0
	.end_amdhsa_kernel
	.section	.text._ZL13mul_mat_f_idsI15__hip_bfloat162Li64ELi11ELi4EEvPKT_PKfPKiS7_S7_Pfiiiiiiiiiiiiii15HIP_vector_typeIjLj3EESA_,"axG",@progbits,_ZL13mul_mat_f_idsI15__hip_bfloat162Li64ELi11ELi4EEvPKT_PKfPKiS7_S7_Pfiiiiiiiiiiiiii15HIP_vector_typeIjLj3EESA_,comdat
.Lfunc_end132:
	.size	_ZL13mul_mat_f_idsI15__hip_bfloat162Li64ELi11ELi4EEvPKT_PKfPKiS7_S7_Pfiiiiiiiiiiiiii15HIP_vector_typeIjLj3EESA_, .Lfunc_end132-_ZL13mul_mat_f_idsI15__hip_bfloat162Li64ELi11ELi4EEvPKT_PKfPKiS7_S7_Pfiiiiiiiiiiiiii15HIP_vector_typeIjLj3EESA_
                                        ; -- End function
	.section	.AMDGPU.csdata,"",@progbits
; Kernel info:
; codeLenInByte = 80
; NumSgprs: 36
; NumVgprs: 38
; ScratchSize: 16
; MemoryBound: 0
; FloatMode: 240
; IeeeMode: 1
; LDSByteSize: 0 bytes/workgroup (compile time only)
; SGPRBlocks: 4
; VGPRBlocks: 4
; NumSGPRsForWavesPerEU: 36
; NumVGPRsForWavesPerEU: 38
; Occupancy: 16
; WaveLimiterHint : 1
; COMPUTE_PGM_RSRC2:SCRATCH_EN: 1
; COMPUTE_PGM_RSRC2:USER_SGPR: 15
; COMPUTE_PGM_RSRC2:TRAP_HANDLER: 0
; COMPUTE_PGM_RSRC2:TGID_X_EN: 1
; COMPUTE_PGM_RSRC2:TGID_Y_EN: 0
; COMPUTE_PGM_RSRC2:TGID_Z_EN: 0
; COMPUTE_PGM_RSRC2:TIDIG_COMP_CNT: 0
	.section	.text._ZL9mul_mat_fI15__hip_bfloat162Li64ELi11ELi4ELb1EEvPKT_PKfPKiPfiiiiiiiiiiiiiiii,"axG",@progbits,_ZL9mul_mat_fI15__hip_bfloat162Li64ELi11ELi4ELb1EEvPKT_PKfPKiPfiiiiiiiiiiiiiiii,comdat
	.globl	_ZL9mul_mat_fI15__hip_bfloat162Li64ELi11ELi4ELb1EEvPKT_PKfPKiPfiiiiiiiiiiiiiiii ; -- Begin function _ZL9mul_mat_fI15__hip_bfloat162Li64ELi11ELi4ELb1EEvPKT_PKfPKiPfiiiiiiiiiiiiiiii
	.p2align	8
	.type	_ZL9mul_mat_fI15__hip_bfloat162Li64ELi11ELi4ELb1EEvPKT_PKfPKiPfiiiiiiiiiiiiiiii,@function
_ZL9mul_mat_fI15__hip_bfloat162Li64ELi11ELi4ELb1EEvPKT_PKfPKiPfiiiiiiiiiiiiiiii: ; @_ZL9mul_mat_fI15__hip_bfloat162Li64ELi11ELi4ELb1EEvPKT_PKfPKiPfiiiiiiiiiiiiiiii
; %bb.0:
	s_add_u32 s8, s0, 0x60
	s_addc_u32 s9, s1, 0
	s_getpc_b64 s[0:1]
	s_add_u32 s0, s0, __FUNCTION__._ZL9mul_mat_fIfLi32ELi11ELi1ELb1EEvPKT_PKfPKiPfiiiiiiiiiiiiiiii@rel32@lo+4
	s_addc_u32 s1, s1, __FUNCTION__._ZL9mul_mat_fIfLi32ELi11ELi1ELb1EEvPKT_PKfPKiPfiiiiiiiiiiiiiiii@rel32@hi+12
	v_dual_mov_b32 v0, 59 :: v_dual_mov_b32 v1, s0
	v_mov_b32_e32 v2, s1
	s_mov_b32 s32, 0
	s_getpc_b64 s[2:3]
	s_add_u32 s2, s2, _ZL14no_device_codePKciS0_iS0_@rel32@lo+4
	s_addc_u32 s3, s3, _ZL14no_device_codePKciS0_iS0_@rel32@hi+12
	s_delay_alu instid0(SALU_CYCLE_1)
	s_swappc_b64 s[30:31], s[2:3]
	.section	.rodata,"a",@progbits
	.p2align	6, 0x0
	.amdhsa_kernel _ZL9mul_mat_fI15__hip_bfloat162Li64ELi11ELi4ELb1EEvPKT_PKfPKiPfiiiiiiiiiiiiiiii
		.amdhsa_group_segment_fixed_size 0
		.amdhsa_private_segment_fixed_size 16
		.amdhsa_kernarg_size 352
		.amdhsa_user_sgpr_count 15
		.amdhsa_user_sgpr_dispatch_ptr 0
		.amdhsa_user_sgpr_queue_ptr 0
		.amdhsa_user_sgpr_kernarg_segment_ptr 1
		.amdhsa_user_sgpr_dispatch_id 0
		.amdhsa_user_sgpr_private_segment_size 0
		.amdhsa_wavefront_size32 1
		.amdhsa_uses_dynamic_stack 0
		.amdhsa_enable_private_segment 1
		.amdhsa_system_sgpr_workgroup_id_x 1
		.amdhsa_system_sgpr_workgroup_id_y 0
		.amdhsa_system_sgpr_workgroup_id_z 0
		.amdhsa_system_sgpr_workgroup_info 0
		.amdhsa_system_vgpr_workitem_id 0
		.amdhsa_next_free_vgpr 38
		.amdhsa_next_free_sgpr 34
		.amdhsa_reserve_vcc 1
		.amdhsa_float_round_mode_32 0
		.amdhsa_float_round_mode_16_64 0
		.amdhsa_float_denorm_mode_32 3
		.amdhsa_float_denorm_mode_16_64 3
		.amdhsa_dx10_clamp 1
		.amdhsa_ieee_mode 1
		.amdhsa_fp16_overflow 0
		.amdhsa_workgroup_processor_mode 1
		.amdhsa_memory_ordered 1
		.amdhsa_forward_progress 0
		.amdhsa_shared_vgpr_count 0
		.amdhsa_exception_fp_ieee_invalid_op 0
		.amdhsa_exception_fp_denorm_src 0
		.amdhsa_exception_fp_ieee_div_zero 0
		.amdhsa_exception_fp_ieee_overflow 0
		.amdhsa_exception_fp_ieee_underflow 0
		.amdhsa_exception_fp_ieee_inexact 0
		.amdhsa_exception_int_div_zero 0
	.end_amdhsa_kernel
	.section	.text._ZL9mul_mat_fI15__hip_bfloat162Li64ELi11ELi4ELb1EEvPKT_PKfPKiPfiiiiiiiiiiiiiiii,"axG",@progbits,_ZL9mul_mat_fI15__hip_bfloat162Li64ELi11ELi4ELb1EEvPKT_PKfPKiPfiiiiiiiiiiiiiiii,comdat
.Lfunc_end133:
	.size	_ZL9mul_mat_fI15__hip_bfloat162Li64ELi11ELi4ELb1EEvPKT_PKfPKiPfiiiiiiiiiiiiiiii, .Lfunc_end133-_ZL9mul_mat_fI15__hip_bfloat162Li64ELi11ELi4ELb1EEvPKT_PKfPKiPfiiiiiiiiiiiiiiii
                                        ; -- End function
	.section	.AMDGPU.csdata,"",@progbits
; Kernel info:
; codeLenInByte = 76
; NumSgprs: 36
; NumVgprs: 38
; ScratchSize: 16
; MemoryBound: 0
; FloatMode: 240
; IeeeMode: 1
; LDSByteSize: 0 bytes/workgroup (compile time only)
; SGPRBlocks: 4
; VGPRBlocks: 4
; NumSGPRsForWavesPerEU: 36
; NumVGPRsForWavesPerEU: 38
; Occupancy: 16
; WaveLimiterHint : 1
; COMPUTE_PGM_RSRC2:SCRATCH_EN: 1
; COMPUTE_PGM_RSRC2:USER_SGPR: 15
; COMPUTE_PGM_RSRC2:TRAP_HANDLER: 0
; COMPUTE_PGM_RSRC2:TGID_X_EN: 1
; COMPUTE_PGM_RSRC2:TGID_Y_EN: 0
; COMPUTE_PGM_RSRC2:TGID_Z_EN: 0
; COMPUTE_PGM_RSRC2:TIDIG_COMP_CNT: 0
	.section	.text._ZL9mul_mat_fI15__hip_bfloat162Li64ELi11ELi4ELb0EEvPKT_PKfPKiPfiiiiiiiiiiiiiiii,"axG",@progbits,_ZL9mul_mat_fI15__hip_bfloat162Li64ELi11ELi4ELb0EEvPKT_PKfPKiPfiiiiiiiiiiiiiiii,comdat
	.globl	_ZL9mul_mat_fI15__hip_bfloat162Li64ELi11ELi4ELb0EEvPKT_PKfPKiPfiiiiiiiiiiiiiiii ; -- Begin function _ZL9mul_mat_fI15__hip_bfloat162Li64ELi11ELi4ELb0EEvPKT_PKfPKiPfiiiiiiiiiiiiiiii
	.p2align	8
	.type	_ZL9mul_mat_fI15__hip_bfloat162Li64ELi11ELi4ELb0EEvPKT_PKfPKiPfiiiiiiiiiiiiiiii,@function
_ZL9mul_mat_fI15__hip_bfloat162Li64ELi11ELi4ELb0EEvPKT_PKfPKiPfiiiiiiiiiiiiiiii: ; @_ZL9mul_mat_fI15__hip_bfloat162Li64ELi11ELi4ELb0EEvPKT_PKfPKiPfiiiiiiiiiiiiiiii
; %bb.0:
	s_add_u32 s8, s0, 0x60
	s_addc_u32 s9, s1, 0
	s_getpc_b64 s[0:1]
	s_add_u32 s0, s0, __FUNCTION__._ZL9mul_mat_fIfLi32ELi11ELi1ELb1EEvPKT_PKfPKiPfiiiiiiiiiiiiiiii@rel32@lo+4
	s_addc_u32 s1, s1, __FUNCTION__._ZL9mul_mat_fIfLi32ELi11ELi1ELb1EEvPKT_PKfPKiPfiiiiiiiiiiiiiiii@rel32@hi+12
	v_dual_mov_b32 v0, 59 :: v_dual_mov_b32 v1, s0
	v_mov_b32_e32 v2, s1
	s_mov_b32 s32, 0
	s_getpc_b64 s[2:3]
	s_add_u32 s2, s2, _ZL14no_device_codePKciS0_iS0_@rel32@lo+4
	s_addc_u32 s3, s3, _ZL14no_device_codePKciS0_iS0_@rel32@hi+12
	s_delay_alu instid0(SALU_CYCLE_1)
	s_swappc_b64 s[30:31], s[2:3]
	.section	.rodata,"a",@progbits
	.p2align	6, 0x0
	.amdhsa_kernel _ZL9mul_mat_fI15__hip_bfloat162Li64ELi11ELi4ELb0EEvPKT_PKfPKiPfiiiiiiiiiiiiiiii
		.amdhsa_group_segment_fixed_size 0
		.amdhsa_private_segment_fixed_size 16
		.amdhsa_kernarg_size 352
		.amdhsa_user_sgpr_count 15
		.amdhsa_user_sgpr_dispatch_ptr 0
		.amdhsa_user_sgpr_queue_ptr 0
		.amdhsa_user_sgpr_kernarg_segment_ptr 1
		.amdhsa_user_sgpr_dispatch_id 0
		.amdhsa_user_sgpr_private_segment_size 0
		.amdhsa_wavefront_size32 1
		.amdhsa_uses_dynamic_stack 0
		.amdhsa_enable_private_segment 1
		.amdhsa_system_sgpr_workgroup_id_x 1
		.amdhsa_system_sgpr_workgroup_id_y 0
		.amdhsa_system_sgpr_workgroup_id_z 0
		.amdhsa_system_sgpr_workgroup_info 0
		.amdhsa_system_vgpr_workitem_id 0
		.amdhsa_next_free_vgpr 38
		.amdhsa_next_free_sgpr 34
		.amdhsa_reserve_vcc 1
		.amdhsa_float_round_mode_32 0
		.amdhsa_float_round_mode_16_64 0
		.amdhsa_float_denorm_mode_32 3
		.amdhsa_float_denorm_mode_16_64 3
		.amdhsa_dx10_clamp 1
		.amdhsa_ieee_mode 1
		.amdhsa_fp16_overflow 0
		.amdhsa_workgroup_processor_mode 1
		.amdhsa_memory_ordered 1
		.amdhsa_forward_progress 0
		.amdhsa_shared_vgpr_count 0
		.amdhsa_exception_fp_ieee_invalid_op 0
		.amdhsa_exception_fp_denorm_src 0
		.amdhsa_exception_fp_ieee_div_zero 0
		.amdhsa_exception_fp_ieee_overflow 0
		.amdhsa_exception_fp_ieee_underflow 0
		.amdhsa_exception_fp_ieee_inexact 0
		.amdhsa_exception_int_div_zero 0
	.end_amdhsa_kernel
	.section	.text._ZL9mul_mat_fI15__hip_bfloat162Li64ELi11ELi4ELb0EEvPKT_PKfPKiPfiiiiiiiiiiiiiiii,"axG",@progbits,_ZL9mul_mat_fI15__hip_bfloat162Li64ELi11ELi4ELb0EEvPKT_PKfPKiPfiiiiiiiiiiiiiiii,comdat
.Lfunc_end134:
	.size	_ZL9mul_mat_fI15__hip_bfloat162Li64ELi11ELi4ELb0EEvPKT_PKfPKiPfiiiiiiiiiiiiiiii, .Lfunc_end134-_ZL9mul_mat_fI15__hip_bfloat162Li64ELi11ELi4ELb0EEvPKT_PKfPKiPfiiiiiiiiiiiiiiii
                                        ; -- End function
	.section	.AMDGPU.csdata,"",@progbits
; Kernel info:
; codeLenInByte = 76
; NumSgprs: 36
; NumVgprs: 38
; ScratchSize: 16
; MemoryBound: 0
; FloatMode: 240
; IeeeMode: 1
; LDSByteSize: 0 bytes/workgroup (compile time only)
; SGPRBlocks: 4
; VGPRBlocks: 4
; NumSGPRsForWavesPerEU: 36
; NumVGPRsForWavesPerEU: 38
; Occupancy: 16
; WaveLimiterHint : 1
; COMPUTE_PGM_RSRC2:SCRATCH_EN: 1
; COMPUTE_PGM_RSRC2:USER_SGPR: 15
; COMPUTE_PGM_RSRC2:TRAP_HANDLER: 0
; COMPUTE_PGM_RSRC2:TGID_X_EN: 1
; COMPUTE_PGM_RSRC2:TGID_Y_EN: 0
; COMPUTE_PGM_RSRC2:TGID_Z_EN: 0
; COMPUTE_PGM_RSRC2:TIDIG_COMP_CNT: 0
	.section	.text._ZL13mul_mat_f_idsI15__hip_bfloat162Li64ELi11ELi5EEvPKT_PKfPKiS7_S7_Pfiiiiiiiiiiiiii15HIP_vector_typeIjLj3EESA_,"axG",@progbits,_ZL13mul_mat_f_idsI15__hip_bfloat162Li64ELi11ELi5EEvPKT_PKfPKiS7_S7_Pfiiiiiiiiiiiiii15HIP_vector_typeIjLj3EESA_,comdat
	.globl	_ZL13mul_mat_f_idsI15__hip_bfloat162Li64ELi11ELi5EEvPKT_PKfPKiS7_S7_Pfiiiiiiiiiiiiii15HIP_vector_typeIjLj3EESA_ ; -- Begin function _ZL13mul_mat_f_idsI15__hip_bfloat162Li64ELi11ELi5EEvPKT_PKfPKiS7_S7_Pfiiiiiiiiiiiiii15HIP_vector_typeIjLj3EESA_
	.p2align	8
	.type	_ZL13mul_mat_f_idsI15__hip_bfloat162Li64ELi11ELi5EEvPKT_PKfPKiS7_S7_Pfiiiiiiiiiiiiii15HIP_vector_typeIjLj3EESA_,@function
_ZL13mul_mat_f_idsI15__hip_bfloat162Li64ELi11ELi5EEvPKT_PKfPKiS7_S7_Pfiiiiiiiiiiiiii15HIP_vector_typeIjLj3EESA_: ; @_ZL13mul_mat_f_idsI15__hip_bfloat162Li64ELi11ELi5EEvPKT_PKfPKiS7_S7_Pfiiiiiiiiiiiiii15HIP_vector_typeIjLj3EESA_
; %bb.0:
	s_add_u32 s8, s0, 0x80
	s_addc_u32 s9, s1, 0
	s_getpc_b64 s[0:1]
	s_add_u32 s0, s0, __FUNCTION__._ZL13mul_mat_f_idsIfLi32ELi11ELi1EEvPKT_PKfPKiS6_S6_Pfiiiiiiiiiiiiii15HIP_vector_typeIjLj3EES9_@rel32@lo+4
	s_addc_u32 s1, s1, __FUNCTION__._ZL13mul_mat_f_idsIfLi32ELi11ELi1EEvPKT_PKfPKiS6_S6_Pfiiiiiiiiiiiiii15HIP_vector_typeIjLj3EES9_@rel32@hi+12
	v_dual_mov_b32 v0, 0x136 :: v_dual_mov_b32 v1, s0
	v_mov_b32_e32 v2, s1
	s_mov_b32 s32, 0
	s_getpc_b64 s[2:3]
	s_add_u32 s2, s2, _ZL14no_device_codePKciS0_iS0_@rel32@lo+4
	s_addc_u32 s3, s3, _ZL14no_device_codePKciS0_iS0_@rel32@hi+12
	s_delay_alu instid0(SALU_CYCLE_1)
	s_swappc_b64 s[30:31], s[2:3]
	.section	.rodata,"a",@progbits
	.p2align	6, 0x0
	.amdhsa_kernel _ZL13mul_mat_f_idsI15__hip_bfloat162Li64ELi11ELi5EEvPKT_PKfPKiS7_S7_Pfiiiiiiiiiiiiii15HIP_vector_typeIjLj3EESA_
		.amdhsa_group_segment_fixed_size 0
		.amdhsa_private_segment_fixed_size 16
		.amdhsa_kernarg_size 384
		.amdhsa_user_sgpr_count 15
		.amdhsa_user_sgpr_dispatch_ptr 0
		.amdhsa_user_sgpr_queue_ptr 0
		.amdhsa_user_sgpr_kernarg_segment_ptr 1
		.amdhsa_user_sgpr_dispatch_id 0
		.amdhsa_user_sgpr_private_segment_size 0
		.amdhsa_wavefront_size32 1
		.amdhsa_uses_dynamic_stack 0
		.amdhsa_enable_private_segment 1
		.amdhsa_system_sgpr_workgroup_id_x 1
		.amdhsa_system_sgpr_workgroup_id_y 0
		.amdhsa_system_sgpr_workgroup_id_z 0
		.amdhsa_system_sgpr_workgroup_info 0
		.amdhsa_system_vgpr_workitem_id 0
		.amdhsa_next_free_vgpr 38
		.amdhsa_next_free_sgpr 34
		.amdhsa_reserve_vcc 1
		.amdhsa_float_round_mode_32 0
		.amdhsa_float_round_mode_16_64 0
		.amdhsa_float_denorm_mode_32 3
		.amdhsa_float_denorm_mode_16_64 3
		.amdhsa_dx10_clamp 1
		.amdhsa_ieee_mode 1
		.amdhsa_fp16_overflow 0
		.amdhsa_workgroup_processor_mode 1
		.amdhsa_memory_ordered 1
		.amdhsa_forward_progress 0
		.amdhsa_shared_vgpr_count 0
		.amdhsa_exception_fp_ieee_invalid_op 0
		.amdhsa_exception_fp_denorm_src 0
		.amdhsa_exception_fp_ieee_div_zero 0
		.amdhsa_exception_fp_ieee_overflow 0
		.amdhsa_exception_fp_ieee_underflow 0
		.amdhsa_exception_fp_ieee_inexact 0
		.amdhsa_exception_int_div_zero 0
	.end_amdhsa_kernel
	.section	.text._ZL13mul_mat_f_idsI15__hip_bfloat162Li64ELi11ELi5EEvPKT_PKfPKiS7_S7_Pfiiiiiiiiiiiiii15HIP_vector_typeIjLj3EESA_,"axG",@progbits,_ZL13mul_mat_f_idsI15__hip_bfloat162Li64ELi11ELi5EEvPKT_PKfPKiS7_S7_Pfiiiiiiiiiiiiii15HIP_vector_typeIjLj3EESA_,comdat
.Lfunc_end135:
	.size	_ZL13mul_mat_f_idsI15__hip_bfloat162Li64ELi11ELi5EEvPKT_PKfPKiS7_S7_Pfiiiiiiiiiiiiii15HIP_vector_typeIjLj3EESA_, .Lfunc_end135-_ZL13mul_mat_f_idsI15__hip_bfloat162Li64ELi11ELi5EEvPKT_PKfPKiS7_S7_Pfiiiiiiiiiiiiii15HIP_vector_typeIjLj3EESA_
                                        ; -- End function
	.section	.AMDGPU.csdata,"",@progbits
; Kernel info:
; codeLenInByte = 80
; NumSgprs: 36
; NumVgprs: 38
; ScratchSize: 16
; MemoryBound: 0
; FloatMode: 240
; IeeeMode: 1
; LDSByteSize: 0 bytes/workgroup (compile time only)
; SGPRBlocks: 4
; VGPRBlocks: 4
; NumSGPRsForWavesPerEU: 36
; NumVGPRsForWavesPerEU: 38
; Occupancy: 15
; WaveLimiterHint : 1
; COMPUTE_PGM_RSRC2:SCRATCH_EN: 1
; COMPUTE_PGM_RSRC2:USER_SGPR: 15
; COMPUTE_PGM_RSRC2:TRAP_HANDLER: 0
; COMPUTE_PGM_RSRC2:TGID_X_EN: 1
; COMPUTE_PGM_RSRC2:TGID_Y_EN: 0
; COMPUTE_PGM_RSRC2:TGID_Z_EN: 0
; COMPUTE_PGM_RSRC2:TIDIG_COMP_CNT: 0
	.section	.text._ZL9mul_mat_fI15__hip_bfloat162Li64ELi11ELi5ELb1EEvPKT_PKfPKiPfiiiiiiiiiiiiiiii,"axG",@progbits,_ZL9mul_mat_fI15__hip_bfloat162Li64ELi11ELi5ELb1EEvPKT_PKfPKiPfiiiiiiiiiiiiiiii,comdat
	.globl	_ZL9mul_mat_fI15__hip_bfloat162Li64ELi11ELi5ELb1EEvPKT_PKfPKiPfiiiiiiiiiiiiiiii ; -- Begin function _ZL9mul_mat_fI15__hip_bfloat162Li64ELi11ELi5ELb1EEvPKT_PKfPKiPfiiiiiiiiiiiiiiii
	.p2align	8
	.type	_ZL9mul_mat_fI15__hip_bfloat162Li64ELi11ELi5ELb1EEvPKT_PKfPKiPfiiiiiiiiiiiiiiii,@function
_ZL9mul_mat_fI15__hip_bfloat162Li64ELi11ELi5ELb1EEvPKT_PKfPKiPfiiiiiiiiiiiiiiii: ; @_ZL9mul_mat_fI15__hip_bfloat162Li64ELi11ELi5ELb1EEvPKT_PKfPKiPfiiiiiiiiiiiiiiii
; %bb.0:
	s_add_u32 s8, s0, 0x60
	s_addc_u32 s9, s1, 0
	s_getpc_b64 s[0:1]
	s_add_u32 s0, s0, __FUNCTION__._ZL9mul_mat_fIfLi32ELi11ELi1ELb1EEvPKT_PKfPKiPfiiiiiiiiiiiiiiii@rel32@lo+4
	s_addc_u32 s1, s1, __FUNCTION__._ZL9mul_mat_fIfLi32ELi11ELi1ELb1EEvPKT_PKfPKiPfiiiiiiiiiiiiiiii@rel32@hi+12
	v_dual_mov_b32 v0, 59 :: v_dual_mov_b32 v1, s0
	v_mov_b32_e32 v2, s1
	s_mov_b32 s32, 0
	s_getpc_b64 s[2:3]
	s_add_u32 s2, s2, _ZL14no_device_codePKciS0_iS0_@rel32@lo+4
	s_addc_u32 s3, s3, _ZL14no_device_codePKciS0_iS0_@rel32@hi+12
	s_delay_alu instid0(SALU_CYCLE_1)
	s_swappc_b64 s[30:31], s[2:3]
	.section	.rodata,"a",@progbits
	.p2align	6, 0x0
	.amdhsa_kernel _ZL9mul_mat_fI15__hip_bfloat162Li64ELi11ELi5ELb1EEvPKT_PKfPKiPfiiiiiiiiiiiiiiii
		.amdhsa_group_segment_fixed_size 0
		.amdhsa_private_segment_fixed_size 16
		.amdhsa_kernarg_size 352
		.amdhsa_user_sgpr_count 15
		.amdhsa_user_sgpr_dispatch_ptr 0
		.amdhsa_user_sgpr_queue_ptr 0
		.amdhsa_user_sgpr_kernarg_segment_ptr 1
		.amdhsa_user_sgpr_dispatch_id 0
		.amdhsa_user_sgpr_private_segment_size 0
		.amdhsa_wavefront_size32 1
		.amdhsa_uses_dynamic_stack 0
		.amdhsa_enable_private_segment 1
		.amdhsa_system_sgpr_workgroup_id_x 1
		.amdhsa_system_sgpr_workgroup_id_y 0
		.amdhsa_system_sgpr_workgroup_id_z 0
		.amdhsa_system_sgpr_workgroup_info 0
		.amdhsa_system_vgpr_workitem_id 0
		.amdhsa_next_free_vgpr 38
		.amdhsa_next_free_sgpr 34
		.amdhsa_reserve_vcc 1
		.amdhsa_float_round_mode_32 0
		.amdhsa_float_round_mode_16_64 0
		.amdhsa_float_denorm_mode_32 3
		.amdhsa_float_denorm_mode_16_64 3
		.amdhsa_dx10_clamp 1
		.amdhsa_ieee_mode 1
		.amdhsa_fp16_overflow 0
		.amdhsa_workgroup_processor_mode 1
		.amdhsa_memory_ordered 1
		.amdhsa_forward_progress 0
		.amdhsa_shared_vgpr_count 0
		.amdhsa_exception_fp_ieee_invalid_op 0
		.amdhsa_exception_fp_denorm_src 0
		.amdhsa_exception_fp_ieee_div_zero 0
		.amdhsa_exception_fp_ieee_overflow 0
		.amdhsa_exception_fp_ieee_underflow 0
		.amdhsa_exception_fp_ieee_inexact 0
		.amdhsa_exception_int_div_zero 0
	.end_amdhsa_kernel
	.section	.text._ZL9mul_mat_fI15__hip_bfloat162Li64ELi11ELi5ELb1EEvPKT_PKfPKiPfiiiiiiiiiiiiiiii,"axG",@progbits,_ZL9mul_mat_fI15__hip_bfloat162Li64ELi11ELi5ELb1EEvPKT_PKfPKiPfiiiiiiiiiiiiiiii,comdat
.Lfunc_end136:
	.size	_ZL9mul_mat_fI15__hip_bfloat162Li64ELi11ELi5ELb1EEvPKT_PKfPKiPfiiiiiiiiiiiiiiii, .Lfunc_end136-_ZL9mul_mat_fI15__hip_bfloat162Li64ELi11ELi5ELb1EEvPKT_PKfPKiPfiiiiiiiiiiiiiiii
                                        ; -- End function
	.section	.AMDGPU.csdata,"",@progbits
; Kernel info:
; codeLenInByte = 76
; NumSgprs: 36
; NumVgprs: 38
; ScratchSize: 16
; MemoryBound: 0
; FloatMode: 240
; IeeeMode: 1
; LDSByteSize: 0 bytes/workgroup (compile time only)
; SGPRBlocks: 4
; VGPRBlocks: 4
; NumSGPRsForWavesPerEU: 36
; NumVGPRsForWavesPerEU: 38
; Occupancy: 15
; WaveLimiterHint : 1
; COMPUTE_PGM_RSRC2:SCRATCH_EN: 1
; COMPUTE_PGM_RSRC2:USER_SGPR: 15
; COMPUTE_PGM_RSRC2:TRAP_HANDLER: 0
; COMPUTE_PGM_RSRC2:TGID_X_EN: 1
; COMPUTE_PGM_RSRC2:TGID_Y_EN: 0
; COMPUTE_PGM_RSRC2:TGID_Z_EN: 0
; COMPUTE_PGM_RSRC2:TIDIG_COMP_CNT: 0
	.section	.text._ZL9mul_mat_fI15__hip_bfloat162Li64ELi11ELi5ELb0EEvPKT_PKfPKiPfiiiiiiiiiiiiiiii,"axG",@progbits,_ZL9mul_mat_fI15__hip_bfloat162Li64ELi11ELi5ELb0EEvPKT_PKfPKiPfiiiiiiiiiiiiiiii,comdat
	.globl	_ZL9mul_mat_fI15__hip_bfloat162Li64ELi11ELi5ELb0EEvPKT_PKfPKiPfiiiiiiiiiiiiiiii ; -- Begin function _ZL9mul_mat_fI15__hip_bfloat162Li64ELi11ELi5ELb0EEvPKT_PKfPKiPfiiiiiiiiiiiiiiii
	.p2align	8
	.type	_ZL9mul_mat_fI15__hip_bfloat162Li64ELi11ELi5ELb0EEvPKT_PKfPKiPfiiiiiiiiiiiiiiii,@function
_ZL9mul_mat_fI15__hip_bfloat162Li64ELi11ELi5ELb0EEvPKT_PKfPKiPfiiiiiiiiiiiiiiii: ; @_ZL9mul_mat_fI15__hip_bfloat162Li64ELi11ELi5ELb0EEvPKT_PKfPKiPfiiiiiiiiiiiiiiii
; %bb.0:
	s_add_u32 s8, s0, 0x60
	s_addc_u32 s9, s1, 0
	s_getpc_b64 s[0:1]
	s_add_u32 s0, s0, __FUNCTION__._ZL9mul_mat_fIfLi32ELi11ELi1ELb1EEvPKT_PKfPKiPfiiiiiiiiiiiiiiii@rel32@lo+4
	s_addc_u32 s1, s1, __FUNCTION__._ZL9mul_mat_fIfLi32ELi11ELi1ELb1EEvPKT_PKfPKiPfiiiiiiiiiiiiiiii@rel32@hi+12
	v_dual_mov_b32 v0, 59 :: v_dual_mov_b32 v1, s0
	v_mov_b32_e32 v2, s1
	s_mov_b32 s32, 0
	s_getpc_b64 s[2:3]
	s_add_u32 s2, s2, _ZL14no_device_codePKciS0_iS0_@rel32@lo+4
	s_addc_u32 s3, s3, _ZL14no_device_codePKciS0_iS0_@rel32@hi+12
	s_delay_alu instid0(SALU_CYCLE_1)
	s_swappc_b64 s[30:31], s[2:3]
	.section	.rodata,"a",@progbits
	.p2align	6, 0x0
	.amdhsa_kernel _ZL9mul_mat_fI15__hip_bfloat162Li64ELi11ELi5ELb0EEvPKT_PKfPKiPfiiiiiiiiiiiiiiii
		.amdhsa_group_segment_fixed_size 0
		.amdhsa_private_segment_fixed_size 16
		.amdhsa_kernarg_size 352
		.amdhsa_user_sgpr_count 15
		.amdhsa_user_sgpr_dispatch_ptr 0
		.amdhsa_user_sgpr_queue_ptr 0
		.amdhsa_user_sgpr_kernarg_segment_ptr 1
		.amdhsa_user_sgpr_dispatch_id 0
		.amdhsa_user_sgpr_private_segment_size 0
		.amdhsa_wavefront_size32 1
		.amdhsa_uses_dynamic_stack 0
		.amdhsa_enable_private_segment 1
		.amdhsa_system_sgpr_workgroup_id_x 1
		.amdhsa_system_sgpr_workgroup_id_y 0
		.amdhsa_system_sgpr_workgroup_id_z 0
		.amdhsa_system_sgpr_workgroup_info 0
		.amdhsa_system_vgpr_workitem_id 0
		.amdhsa_next_free_vgpr 38
		.amdhsa_next_free_sgpr 34
		.amdhsa_reserve_vcc 1
		.amdhsa_float_round_mode_32 0
		.amdhsa_float_round_mode_16_64 0
		.amdhsa_float_denorm_mode_32 3
		.amdhsa_float_denorm_mode_16_64 3
		.amdhsa_dx10_clamp 1
		.amdhsa_ieee_mode 1
		.amdhsa_fp16_overflow 0
		.amdhsa_workgroup_processor_mode 1
		.amdhsa_memory_ordered 1
		.amdhsa_forward_progress 0
		.amdhsa_shared_vgpr_count 0
		.amdhsa_exception_fp_ieee_invalid_op 0
		.amdhsa_exception_fp_denorm_src 0
		.amdhsa_exception_fp_ieee_div_zero 0
		.amdhsa_exception_fp_ieee_overflow 0
		.amdhsa_exception_fp_ieee_underflow 0
		.amdhsa_exception_fp_ieee_inexact 0
		.amdhsa_exception_int_div_zero 0
	.end_amdhsa_kernel
	.section	.text._ZL9mul_mat_fI15__hip_bfloat162Li64ELi11ELi5ELb0EEvPKT_PKfPKiPfiiiiiiiiiiiiiiii,"axG",@progbits,_ZL9mul_mat_fI15__hip_bfloat162Li64ELi11ELi5ELb0EEvPKT_PKfPKiPfiiiiiiiiiiiiiiii,comdat
.Lfunc_end137:
	.size	_ZL9mul_mat_fI15__hip_bfloat162Li64ELi11ELi5ELb0EEvPKT_PKfPKiPfiiiiiiiiiiiiiiii, .Lfunc_end137-_ZL9mul_mat_fI15__hip_bfloat162Li64ELi11ELi5ELb0EEvPKT_PKfPKiPfiiiiiiiiiiiiiiii
                                        ; -- End function
	.section	.AMDGPU.csdata,"",@progbits
; Kernel info:
; codeLenInByte = 76
; NumSgprs: 36
; NumVgprs: 38
; ScratchSize: 16
; MemoryBound: 0
; FloatMode: 240
; IeeeMode: 1
; LDSByteSize: 0 bytes/workgroup (compile time only)
; SGPRBlocks: 4
; VGPRBlocks: 4
; NumSGPRsForWavesPerEU: 36
; NumVGPRsForWavesPerEU: 38
; Occupancy: 15
; WaveLimiterHint : 1
; COMPUTE_PGM_RSRC2:SCRATCH_EN: 1
; COMPUTE_PGM_RSRC2:USER_SGPR: 15
; COMPUTE_PGM_RSRC2:TRAP_HANDLER: 0
; COMPUTE_PGM_RSRC2:TGID_X_EN: 1
; COMPUTE_PGM_RSRC2:TGID_Y_EN: 0
; COMPUTE_PGM_RSRC2:TGID_Z_EN: 0
; COMPUTE_PGM_RSRC2:TIDIG_COMP_CNT: 0
	.section	.text._ZL13mul_mat_f_idsI15__hip_bfloat162Li64ELi11ELi6EEvPKT_PKfPKiS7_S7_Pfiiiiiiiiiiiiii15HIP_vector_typeIjLj3EESA_,"axG",@progbits,_ZL13mul_mat_f_idsI15__hip_bfloat162Li64ELi11ELi6EEvPKT_PKfPKiS7_S7_Pfiiiiiiiiiiiiii15HIP_vector_typeIjLj3EESA_,comdat
	.globl	_ZL13mul_mat_f_idsI15__hip_bfloat162Li64ELi11ELi6EEvPKT_PKfPKiS7_S7_Pfiiiiiiiiiiiiii15HIP_vector_typeIjLj3EESA_ ; -- Begin function _ZL13mul_mat_f_idsI15__hip_bfloat162Li64ELi11ELi6EEvPKT_PKfPKiS7_S7_Pfiiiiiiiiiiiiii15HIP_vector_typeIjLj3EESA_
	.p2align	8
	.type	_ZL13mul_mat_f_idsI15__hip_bfloat162Li64ELi11ELi6EEvPKT_PKfPKiS7_S7_Pfiiiiiiiiiiiiii15HIP_vector_typeIjLj3EESA_,@function
_ZL13mul_mat_f_idsI15__hip_bfloat162Li64ELi11ELi6EEvPKT_PKfPKiS7_S7_Pfiiiiiiiiiiiiii15HIP_vector_typeIjLj3EESA_: ; @_ZL13mul_mat_f_idsI15__hip_bfloat162Li64ELi11ELi6EEvPKT_PKfPKiS7_S7_Pfiiiiiiiiiiiiii15HIP_vector_typeIjLj3EESA_
; %bb.0:
	s_add_u32 s8, s0, 0x80
	s_addc_u32 s9, s1, 0
	s_getpc_b64 s[0:1]
	s_add_u32 s0, s0, __FUNCTION__._ZL13mul_mat_f_idsIfLi32ELi11ELi1EEvPKT_PKfPKiS6_S6_Pfiiiiiiiiiiiiii15HIP_vector_typeIjLj3EES9_@rel32@lo+4
	s_addc_u32 s1, s1, __FUNCTION__._ZL13mul_mat_f_idsIfLi32ELi11ELi1EEvPKT_PKfPKiS6_S6_Pfiiiiiiiiiiiiii15HIP_vector_typeIjLj3EES9_@rel32@hi+12
	v_dual_mov_b32 v0, 0x136 :: v_dual_mov_b32 v1, s0
	v_mov_b32_e32 v2, s1
	s_mov_b32 s32, 0
	s_getpc_b64 s[2:3]
	s_add_u32 s2, s2, _ZL14no_device_codePKciS0_iS0_@rel32@lo+4
	s_addc_u32 s3, s3, _ZL14no_device_codePKciS0_iS0_@rel32@hi+12
	s_delay_alu instid0(SALU_CYCLE_1)
	s_swappc_b64 s[30:31], s[2:3]
	.section	.rodata,"a",@progbits
	.p2align	6, 0x0
	.amdhsa_kernel _ZL13mul_mat_f_idsI15__hip_bfloat162Li64ELi11ELi6EEvPKT_PKfPKiS7_S7_Pfiiiiiiiiiiiiii15HIP_vector_typeIjLj3EESA_
		.amdhsa_group_segment_fixed_size 0
		.amdhsa_private_segment_fixed_size 16
		.amdhsa_kernarg_size 384
		.amdhsa_user_sgpr_count 15
		.amdhsa_user_sgpr_dispatch_ptr 0
		.amdhsa_user_sgpr_queue_ptr 0
		.amdhsa_user_sgpr_kernarg_segment_ptr 1
		.amdhsa_user_sgpr_dispatch_id 0
		.amdhsa_user_sgpr_private_segment_size 0
		.amdhsa_wavefront_size32 1
		.amdhsa_uses_dynamic_stack 0
		.amdhsa_enable_private_segment 1
		.amdhsa_system_sgpr_workgroup_id_x 1
		.amdhsa_system_sgpr_workgroup_id_y 0
		.amdhsa_system_sgpr_workgroup_id_z 0
		.amdhsa_system_sgpr_workgroup_info 0
		.amdhsa_system_vgpr_workitem_id 0
		.amdhsa_next_free_vgpr 38
		.amdhsa_next_free_sgpr 34
		.amdhsa_reserve_vcc 1
		.amdhsa_float_round_mode_32 0
		.amdhsa_float_round_mode_16_64 0
		.amdhsa_float_denorm_mode_32 3
		.amdhsa_float_denorm_mode_16_64 3
		.amdhsa_dx10_clamp 1
		.amdhsa_ieee_mode 1
		.amdhsa_fp16_overflow 0
		.amdhsa_workgroup_processor_mode 1
		.amdhsa_memory_ordered 1
		.amdhsa_forward_progress 0
		.amdhsa_shared_vgpr_count 0
		.amdhsa_exception_fp_ieee_invalid_op 0
		.amdhsa_exception_fp_denorm_src 0
		.amdhsa_exception_fp_ieee_div_zero 0
		.amdhsa_exception_fp_ieee_overflow 0
		.amdhsa_exception_fp_ieee_underflow 0
		.amdhsa_exception_fp_ieee_inexact 0
		.amdhsa_exception_int_div_zero 0
	.end_amdhsa_kernel
	.section	.text._ZL13mul_mat_f_idsI15__hip_bfloat162Li64ELi11ELi6EEvPKT_PKfPKiS7_S7_Pfiiiiiiiiiiiiii15HIP_vector_typeIjLj3EESA_,"axG",@progbits,_ZL13mul_mat_f_idsI15__hip_bfloat162Li64ELi11ELi6EEvPKT_PKfPKiS7_S7_Pfiiiiiiiiiiiiii15HIP_vector_typeIjLj3EESA_,comdat
.Lfunc_end138:
	.size	_ZL13mul_mat_f_idsI15__hip_bfloat162Li64ELi11ELi6EEvPKT_PKfPKiS7_S7_Pfiiiiiiiiiiiiii15HIP_vector_typeIjLj3EESA_, .Lfunc_end138-_ZL13mul_mat_f_idsI15__hip_bfloat162Li64ELi11ELi6EEvPKT_PKfPKiS7_S7_Pfiiiiiiiiiiiiii15HIP_vector_typeIjLj3EESA_
                                        ; -- End function
	.section	.AMDGPU.csdata,"",@progbits
; Kernel info:
; codeLenInByte = 80
; NumSgprs: 36
; NumVgprs: 38
; ScratchSize: 16
; MemoryBound: 0
; FloatMode: 240
; IeeeMode: 1
; LDSByteSize: 0 bytes/workgroup (compile time only)
; SGPRBlocks: 4
; VGPRBlocks: 4
; NumSGPRsForWavesPerEU: 36
; NumVGPRsForWavesPerEU: 38
; Occupancy: 15
; WaveLimiterHint : 1
; COMPUTE_PGM_RSRC2:SCRATCH_EN: 1
; COMPUTE_PGM_RSRC2:USER_SGPR: 15
; COMPUTE_PGM_RSRC2:TRAP_HANDLER: 0
; COMPUTE_PGM_RSRC2:TGID_X_EN: 1
; COMPUTE_PGM_RSRC2:TGID_Y_EN: 0
; COMPUTE_PGM_RSRC2:TGID_Z_EN: 0
; COMPUTE_PGM_RSRC2:TIDIG_COMP_CNT: 0
	.section	.text._ZL9mul_mat_fI15__hip_bfloat162Li64ELi11ELi6ELb1EEvPKT_PKfPKiPfiiiiiiiiiiiiiiii,"axG",@progbits,_ZL9mul_mat_fI15__hip_bfloat162Li64ELi11ELi6ELb1EEvPKT_PKfPKiPfiiiiiiiiiiiiiiii,comdat
	.globl	_ZL9mul_mat_fI15__hip_bfloat162Li64ELi11ELi6ELb1EEvPKT_PKfPKiPfiiiiiiiiiiiiiiii ; -- Begin function _ZL9mul_mat_fI15__hip_bfloat162Li64ELi11ELi6ELb1EEvPKT_PKfPKiPfiiiiiiiiiiiiiiii
	.p2align	8
	.type	_ZL9mul_mat_fI15__hip_bfloat162Li64ELi11ELi6ELb1EEvPKT_PKfPKiPfiiiiiiiiiiiiiiii,@function
_ZL9mul_mat_fI15__hip_bfloat162Li64ELi11ELi6ELb1EEvPKT_PKfPKiPfiiiiiiiiiiiiiiii: ; @_ZL9mul_mat_fI15__hip_bfloat162Li64ELi11ELi6ELb1EEvPKT_PKfPKiPfiiiiiiiiiiiiiiii
; %bb.0:
	s_add_u32 s8, s0, 0x60
	s_addc_u32 s9, s1, 0
	s_getpc_b64 s[0:1]
	s_add_u32 s0, s0, __FUNCTION__._ZL9mul_mat_fIfLi32ELi11ELi1ELb1EEvPKT_PKfPKiPfiiiiiiiiiiiiiiii@rel32@lo+4
	s_addc_u32 s1, s1, __FUNCTION__._ZL9mul_mat_fIfLi32ELi11ELi1ELb1EEvPKT_PKfPKiPfiiiiiiiiiiiiiiii@rel32@hi+12
	v_dual_mov_b32 v0, 59 :: v_dual_mov_b32 v1, s0
	v_mov_b32_e32 v2, s1
	s_mov_b32 s32, 0
	s_getpc_b64 s[2:3]
	s_add_u32 s2, s2, _ZL14no_device_codePKciS0_iS0_@rel32@lo+4
	s_addc_u32 s3, s3, _ZL14no_device_codePKciS0_iS0_@rel32@hi+12
	s_delay_alu instid0(SALU_CYCLE_1)
	s_swappc_b64 s[30:31], s[2:3]
	.section	.rodata,"a",@progbits
	.p2align	6, 0x0
	.amdhsa_kernel _ZL9mul_mat_fI15__hip_bfloat162Li64ELi11ELi6ELb1EEvPKT_PKfPKiPfiiiiiiiiiiiiiiii
		.amdhsa_group_segment_fixed_size 0
		.amdhsa_private_segment_fixed_size 16
		.amdhsa_kernarg_size 352
		.amdhsa_user_sgpr_count 15
		.amdhsa_user_sgpr_dispatch_ptr 0
		.amdhsa_user_sgpr_queue_ptr 0
		.amdhsa_user_sgpr_kernarg_segment_ptr 1
		.amdhsa_user_sgpr_dispatch_id 0
		.amdhsa_user_sgpr_private_segment_size 0
		.amdhsa_wavefront_size32 1
		.amdhsa_uses_dynamic_stack 0
		.amdhsa_enable_private_segment 1
		.amdhsa_system_sgpr_workgroup_id_x 1
		.amdhsa_system_sgpr_workgroup_id_y 0
		.amdhsa_system_sgpr_workgroup_id_z 0
		.amdhsa_system_sgpr_workgroup_info 0
		.amdhsa_system_vgpr_workitem_id 0
		.amdhsa_next_free_vgpr 38
		.amdhsa_next_free_sgpr 34
		.amdhsa_reserve_vcc 1
		.amdhsa_float_round_mode_32 0
		.amdhsa_float_round_mode_16_64 0
		.amdhsa_float_denorm_mode_32 3
		.amdhsa_float_denorm_mode_16_64 3
		.amdhsa_dx10_clamp 1
		.amdhsa_ieee_mode 1
		.amdhsa_fp16_overflow 0
		.amdhsa_workgroup_processor_mode 1
		.amdhsa_memory_ordered 1
		.amdhsa_forward_progress 0
		.amdhsa_shared_vgpr_count 0
		.amdhsa_exception_fp_ieee_invalid_op 0
		.amdhsa_exception_fp_denorm_src 0
		.amdhsa_exception_fp_ieee_div_zero 0
		.amdhsa_exception_fp_ieee_overflow 0
		.amdhsa_exception_fp_ieee_underflow 0
		.amdhsa_exception_fp_ieee_inexact 0
		.amdhsa_exception_int_div_zero 0
	.end_amdhsa_kernel
	.section	.text._ZL9mul_mat_fI15__hip_bfloat162Li64ELi11ELi6ELb1EEvPKT_PKfPKiPfiiiiiiiiiiiiiiii,"axG",@progbits,_ZL9mul_mat_fI15__hip_bfloat162Li64ELi11ELi6ELb1EEvPKT_PKfPKiPfiiiiiiiiiiiiiiii,comdat
.Lfunc_end139:
	.size	_ZL9mul_mat_fI15__hip_bfloat162Li64ELi11ELi6ELb1EEvPKT_PKfPKiPfiiiiiiiiiiiiiiii, .Lfunc_end139-_ZL9mul_mat_fI15__hip_bfloat162Li64ELi11ELi6ELb1EEvPKT_PKfPKiPfiiiiiiiiiiiiiiii
                                        ; -- End function
	.section	.AMDGPU.csdata,"",@progbits
; Kernel info:
; codeLenInByte = 76
; NumSgprs: 36
; NumVgprs: 38
; ScratchSize: 16
; MemoryBound: 0
; FloatMode: 240
; IeeeMode: 1
; LDSByteSize: 0 bytes/workgroup (compile time only)
; SGPRBlocks: 4
; VGPRBlocks: 4
; NumSGPRsForWavesPerEU: 36
; NumVGPRsForWavesPerEU: 38
; Occupancy: 15
; WaveLimiterHint : 1
; COMPUTE_PGM_RSRC2:SCRATCH_EN: 1
; COMPUTE_PGM_RSRC2:USER_SGPR: 15
; COMPUTE_PGM_RSRC2:TRAP_HANDLER: 0
; COMPUTE_PGM_RSRC2:TGID_X_EN: 1
; COMPUTE_PGM_RSRC2:TGID_Y_EN: 0
; COMPUTE_PGM_RSRC2:TGID_Z_EN: 0
; COMPUTE_PGM_RSRC2:TIDIG_COMP_CNT: 0
	.section	.text._ZL9mul_mat_fI15__hip_bfloat162Li64ELi11ELi6ELb0EEvPKT_PKfPKiPfiiiiiiiiiiiiiiii,"axG",@progbits,_ZL9mul_mat_fI15__hip_bfloat162Li64ELi11ELi6ELb0EEvPKT_PKfPKiPfiiiiiiiiiiiiiiii,comdat
	.globl	_ZL9mul_mat_fI15__hip_bfloat162Li64ELi11ELi6ELb0EEvPKT_PKfPKiPfiiiiiiiiiiiiiiii ; -- Begin function _ZL9mul_mat_fI15__hip_bfloat162Li64ELi11ELi6ELb0EEvPKT_PKfPKiPfiiiiiiiiiiiiiiii
	.p2align	8
	.type	_ZL9mul_mat_fI15__hip_bfloat162Li64ELi11ELi6ELb0EEvPKT_PKfPKiPfiiiiiiiiiiiiiiii,@function
_ZL9mul_mat_fI15__hip_bfloat162Li64ELi11ELi6ELb0EEvPKT_PKfPKiPfiiiiiiiiiiiiiiii: ; @_ZL9mul_mat_fI15__hip_bfloat162Li64ELi11ELi6ELb0EEvPKT_PKfPKiPfiiiiiiiiiiiiiiii
; %bb.0:
	s_add_u32 s8, s0, 0x60
	s_addc_u32 s9, s1, 0
	s_getpc_b64 s[0:1]
	s_add_u32 s0, s0, __FUNCTION__._ZL9mul_mat_fIfLi32ELi11ELi1ELb1EEvPKT_PKfPKiPfiiiiiiiiiiiiiiii@rel32@lo+4
	s_addc_u32 s1, s1, __FUNCTION__._ZL9mul_mat_fIfLi32ELi11ELi1ELb1EEvPKT_PKfPKiPfiiiiiiiiiiiiiiii@rel32@hi+12
	v_dual_mov_b32 v0, 59 :: v_dual_mov_b32 v1, s0
	v_mov_b32_e32 v2, s1
	s_mov_b32 s32, 0
	s_getpc_b64 s[2:3]
	s_add_u32 s2, s2, _ZL14no_device_codePKciS0_iS0_@rel32@lo+4
	s_addc_u32 s3, s3, _ZL14no_device_codePKciS0_iS0_@rel32@hi+12
	s_delay_alu instid0(SALU_CYCLE_1)
	s_swappc_b64 s[30:31], s[2:3]
	.section	.rodata,"a",@progbits
	.p2align	6, 0x0
	.amdhsa_kernel _ZL9mul_mat_fI15__hip_bfloat162Li64ELi11ELi6ELb0EEvPKT_PKfPKiPfiiiiiiiiiiiiiiii
		.amdhsa_group_segment_fixed_size 0
		.amdhsa_private_segment_fixed_size 16
		.amdhsa_kernarg_size 352
		.amdhsa_user_sgpr_count 15
		.amdhsa_user_sgpr_dispatch_ptr 0
		.amdhsa_user_sgpr_queue_ptr 0
		.amdhsa_user_sgpr_kernarg_segment_ptr 1
		.amdhsa_user_sgpr_dispatch_id 0
		.amdhsa_user_sgpr_private_segment_size 0
		.amdhsa_wavefront_size32 1
		.amdhsa_uses_dynamic_stack 0
		.amdhsa_enable_private_segment 1
		.amdhsa_system_sgpr_workgroup_id_x 1
		.amdhsa_system_sgpr_workgroup_id_y 0
		.amdhsa_system_sgpr_workgroup_id_z 0
		.amdhsa_system_sgpr_workgroup_info 0
		.amdhsa_system_vgpr_workitem_id 0
		.amdhsa_next_free_vgpr 38
		.amdhsa_next_free_sgpr 34
		.amdhsa_reserve_vcc 1
		.amdhsa_float_round_mode_32 0
		.amdhsa_float_round_mode_16_64 0
		.amdhsa_float_denorm_mode_32 3
		.amdhsa_float_denorm_mode_16_64 3
		.amdhsa_dx10_clamp 1
		.amdhsa_ieee_mode 1
		.amdhsa_fp16_overflow 0
		.amdhsa_workgroup_processor_mode 1
		.amdhsa_memory_ordered 1
		.amdhsa_forward_progress 0
		.amdhsa_shared_vgpr_count 0
		.amdhsa_exception_fp_ieee_invalid_op 0
		.amdhsa_exception_fp_denorm_src 0
		.amdhsa_exception_fp_ieee_div_zero 0
		.amdhsa_exception_fp_ieee_overflow 0
		.amdhsa_exception_fp_ieee_underflow 0
		.amdhsa_exception_fp_ieee_inexact 0
		.amdhsa_exception_int_div_zero 0
	.end_amdhsa_kernel
	.section	.text._ZL9mul_mat_fI15__hip_bfloat162Li64ELi11ELi6ELb0EEvPKT_PKfPKiPfiiiiiiiiiiiiiiii,"axG",@progbits,_ZL9mul_mat_fI15__hip_bfloat162Li64ELi11ELi6ELb0EEvPKT_PKfPKiPfiiiiiiiiiiiiiiii,comdat
.Lfunc_end140:
	.size	_ZL9mul_mat_fI15__hip_bfloat162Li64ELi11ELi6ELb0EEvPKT_PKfPKiPfiiiiiiiiiiiiiiii, .Lfunc_end140-_ZL9mul_mat_fI15__hip_bfloat162Li64ELi11ELi6ELb0EEvPKT_PKfPKiPfiiiiiiiiiiiiiiii
                                        ; -- End function
	.section	.AMDGPU.csdata,"",@progbits
; Kernel info:
; codeLenInByte = 76
; NumSgprs: 36
; NumVgprs: 38
; ScratchSize: 16
; MemoryBound: 0
; FloatMode: 240
; IeeeMode: 1
; LDSByteSize: 0 bytes/workgroup (compile time only)
; SGPRBlocks: 4
; VGPRBlocks: 4
; NumSGPRsForWavesPerEU: 36
; NumVGPRsForWavesPerEU: 38
; Occupancy: 15
; WaveLimiterHint : 1
; COMPUTE_PGM_RSRC2:SCRATCH_EN: 1
; COMPUTE_PGM_RSRC2:USER_SGPR: 15
; COMPUTE_PGM_RSRC2:TRAP_HANDLER: 0
; COMPUTE_PGM_RSRC2:TGID_X_EN: 1
; COMPUTE_PGM_RSRC2:TGID_Y_EN: 0
; COMPUTE_PGM_RSRC2:TGID_Z_EN: 0
; COMPUTE_PGM_RSRC2:TIDIG_COMP_CNT: 0
	.section	.text._ZL13mul_mat_f_idsI15__hip_bfloat162Li64ELi11ELi7EEvPKT_PKfPKiS7_S7_Pfiiiiiiiiiiiiii15HIP_vector_typeIjLj3EESA_,"axG",@progbits,_ZL13mul_mat_f_idsI15__hip_bfloat162Li64ELi11ELi7EEvPKT_PKfPKiS7_S7_Pfiiiiiiiiiiiiii15HIP_vector_typeIjLj3EESA_,comdat
	.globl	_ZL13mul_mat_f_idsI15__hip_bfloat162Li64ELi11ELi7EEvPKT_PKfPKiS7_S7_Pfiiiiiiiiiiiiii15HIP_vector_typeIjLj3EESA_ ; -- Begin function _ZL13mul_mat_f_idsI15__hip_bfloat162Li64ELi11ELi7EEvPKT_PKfPKiS7_S7_Pfiiiiiiiiiiiiii15HIP_vector_typeIjLj3EESA_
	.p2align	8
	.type	_ZL13mul_mat_f_idsI15__hip_bfloat162Li64ELi11ELi7EEvPKT_PKfPKiS7_S7_Pfiiiiiiiiiiiiii15HIP_vector_typeIjLj3EESA_,@function
_ZL13mul_mat_f_idsI15__hip_bfloat162Li64ELi11ELi7EEvPKT_PKfPKiS7_S7_Pfiiiiiiiiiiiiii15HIP_vector_typeIjLj3EESA_: ; @_ZL13mul_mat_f_idsI15__hip_bfloat162Li64ELi11ELi7EEvPKT_PKfPKiS7_S7_Pfiiiiiiiiiiiiii15HIP_vector_typeIjLj3EESA_
; %bb.0:
	s_add_u32 s8, s0, 0x80
	s_addc_u32 s9, s1, 0
	s_getpc_b64 s[0:1]
	s_add_u32 s0, s0, __FUNCTION__._ZL13mul_mat_f_idsIfLi32ELi11ELi1EEvPKT_PKfPKiS6_S6_Pfiiiiiiiiiiiiii15HIP_vector_typeIjLj3EES9_@rel32@lo+4
	s_addc_u32 s1, s1, __FUNCTION__._ZL13mul_mat_f_idsIfLi32ELi11ELi1EEvPKT_PKfPKiS6_S6_Pfiiiiiiiiiiiiii15HIP_vector_typeIjLj3EES9_@rel32@hi+12
	v_dual_mov_b32 v0, 0x136 :: v_dual_mov_b32 v1, s0
	v_mov_b32_e32 v2, s1
	s_mov_b32 s32, 0
	s_getpc_b64 s[2:3]
	s_add_u32 s2, s2, _ZL14no_device_codePKciS0_iS0_@rel32@lo+4
	s_addc_u32 s3, s3, _ZL14no_device_codePKciS0_iS0_@rel32@hi+12
	s_delay_alu instid0(SALU_CYCLE_1)
	s_swappc_b64 s[30:31], s[2:3]
	.section	.rodata,"a",@progbits
	.p2align	6, 0x0
	.amdhsa_kernel _ZL13mul_mat_f_idsI15__hip_bfloat162Li64ELi11ELi7EEvPKT_PKfPKiS7_S7_Pfiiiiiiiiiiiiii15HIP_vector_typeIjLj3EESA_
		.amdhsa_group_segment_fixed_size 0
		.amdhsa_private_segment_fixed_size 16
		.amdhsa_kernarg_size 384
		.amdhsa_user_sgpr_count 15
		.amdhsa_user_sgpr_dispatch_ptr 0
		.amdhsa_user_sgpr_queue_ptr 0
		.amdhsa_user_sgpr_kernarg_segment_ptr 1
		.amdhsa_user_sgpr_dispatch_id 0
		.amdhsa_user_sgpr_private_segment_size 0
		.amdhsa_wavefront_size32 1
		.amdhsa_uses_dynamic_stack 0
		.amdhsa_enable_private_segment 1
		.amdhsa_system_sgpr_workgroup_id_x 1
		.amdhsa_system_sgpr_workgroup_id_y 0
		.amdhsa_system_sgpr_workgroup_id_z 0
		.amdhsa_system_sgpr_workgroup_info 0
		.amdhsa_system_vgpr_workitem_id 0
		.amdhsa_next_free_vgpr 38
		.amdhsa_next_free_sgpr 34
		.amdhsa_reserve_vcc 1
		.amdhsa_float_round_mode_32 0
		.amdhsa_float_round_mode_16_64 0
		.amdhsa_float_denorm_mode_32 3
		.amdhsa_float_denorm_mode_16_64 3
		.amdhsa_dx10_clamp 1
		.amdhsa_ieee_mode 1
		.amdhsa_fp16_overflow 0
		.amdhsa_workgroup_processor_mode 1
		.amdhsa_memory_ordered 1
		.amdhsa_forward_progress 0
		.amdhsa_shared_vgpr_count 0
		.amdhsa_exception_fp_ieee_invalid_op 0
		.amdhsa_exception_fp_denorm_src 0
		.amdhsa_exception_fp_ieee_div_zero 0
		.amdhsa_exception_fp_ieee_overflow 0
		.amdhsa_exception_fp_ieee_underflow 0
		.amdhsa_exception_fp_ieee_inexact 0
		.amdhsa_exception_int_div_zero 0
	.end_amdhsa_kernel
	.section	.text._ZL13mul_mat_f_idsI15__hip_bfloat162Li64ELi11ELi7EEvPKT_PKfPKiS7_S7_Pfiiiiiiiiiiiiii15HIP_vector_typeIjLj3EESA_,"axG",@progbits,_ZL13mul_mat_f_idsI15__hip_bfloat162Li64ELi11ELi7EEvPKT_PKfPKiS7_S7_Pfiiiiiiiiiiiiii15HIP_vector_typeIjLj3EESA_,comdat
.Lfunc_end141:
	.size	_ZL13mul_mat_f_idsI15__hip_bfloat162Li64ELi11ELi7EEvPKT_PKfPKiS7_S7_Pfiiiiiiiiiiiiii15HIP_vector_typeIjLj3EESA_, .Lfunc_end141-_ZL13mul_mat_f_idsI15__hip_bfloat162Li64ELi11ELi7EEvPKT_PKfPKiS7_S7_Pfiiiiiiiiiiiiii15HIP_vector_typeIjLj3EESA_
                                        ; -- End function
	.section	.AMDGPU.csdata,"",@progbits
; Kernel info:
; codeLenInByte = 80
; NumSgprs: 36
; NumVgprs: 38
; ScratchSize: 16
; MemoryBound: 0
; FloatMode: 240
; IeeeMode: 1
; LDSByteSize: 0 bytes/workgroup (compile time only)
; SGPRBlocks: 4
; VGPRBlocks: 4
; NumSGPRsForWavesPerEU: 36
; NumVGPRsForWavesPerEU: 38
; Occupancy: 16
; WaveLimiterHint : 1
; COMPUTE_PGM_RSRC2:SCRATCH_EN: 1
; COMPUTE_PGM_RSRC2:USER_SGPR: 15
; COMPUTE_PGM_RSRC2:TRAP_HANDLER: 0
; COMPUTE_PGM_RSRC2:TGID_X_EN: 1
; COMPUTE_PGM_RSRC2:TGID_Y_EN: 0
; COMPUTE_PGM_RSRC2:TGID_Z_EN: 0
; COMPUTE_PGM_RSRC2:TIDIG_COMP_CNT: 0
	.section	.text._ZL9mul_mat_fI15__hip_bfloat162Li64ELi11ELi7ELb1EEvPKT_PKfPKiPfiiiiiiiiiiiiiiii,"axG",@progbits,_ZL9mul_mat_fI15__hip_bfloat162Li64ELi11ELi7ELb1EEvPKT_PKfPKiPfiiiiiiiiiiiiiiii,comdat
	.globl	_ZL9mul_mat_fI15__hip_bfloat162Li64ELi11ELi7ELb1EEvPKT_PKfPKiPfiiiiiiiiiiiiiiii ; -- Begin function _ZL9mul_mat_fI15__hip_bfloat162Li64ELi11ELi7ELb1EEvPKT_PKfPKiPfiiiiiiiiiiiiiiii
	.p2align	8
	.type	_ZL9mul_mat_fI15__hip_bfloat162Li64ELi11ELi7ELb1EEvPKT_PKfPKiPfiiiiiiiiiiiiiiii,@function
_ZL9mul_mat_fI15__hip_bfloat162Li64ELi11ELi7ELb1EEvPKT_PKfPKiPfiiiiiiiiiiiiiiii: ; @_ZL9mul_mat_fI15__hip_bfloat162Li64ELi11ELi7ELb1EEvPKT_PKfPKiPfiiiiiiiiiiiiiiii
; %bb.0:
	s_add_u32 s8, s0, 0x60
	s_addc_u32 s9, s1, 0
	s_getpc_b64 s[0:1]
	s_add_u32 s0, s0, __FUNCTION__._ZL9mul_mat_fIfLi32ELi11ELi1ELb1EEvPKT_PKfPKiPfiiiiiiiiiiiiiiii@rel32@lo+4
	s_addc_u32 s1, s1, __FUNCTION__._ZL9mul_mat_fIfLi32ELi11ELi1ELb1EEvPKT_PKfPKiPfiiiiiiiiiiiiiiii@rel32@hi+12
	v_dual_mov_b32 v0, 59 :: v_dual_mov_b32 v1, s0
	v_mov_b32_e32 v2, s1
	s_mov_b32 s32, 0
	s_getpc_b64 s[2:3]
	s_add_u32 s2, s2, _ZL14no_device_codePKciS0_iS0_@rel32@lo+4
	s_addc_u32 s3, s3, _ZL14no_device_codePKciS0_iS0_@rel32@hi+12
	s_delay_alu instid0(SALU_CYCLE_1)
	s_swappc_b64 s[30:31], s[2:3]
	.section	.rodata,"a",@progbits
	.p2align	6, 0x0
	.amdhsa_kernel _ZL9mul_mat_fI15__hip_bfloat162Li64ELi11ELi7ELb1EEvPKT_PKfPKiPfiiiiiiiiiiiiiiii
		.amdhsa_group_segment_fixed_size 0
		.amdhsa_private_segment_fixed_size 16
		.amdhsa_kernarg_size 352
		.amdhsa_user_sgpr_count 15
		.amdhsa_user_sgpr_dispatch_ptr 0
		.amdhsa_user_sgpr_queue_ptr 0
		.amdhsa_user_sgpr_kernarg_segment_ptr 1
		.amdhsa_user_sgpr_dispatch_id 0
		.amdhsa_user_sgpr_private_segment_size 0
		.amdhsa_wavefront_size32 1
		.amdhsa_uses_dynamic_stack 0
		.amdhsa_enable_private_segment 1
		.amdhsa_system_sgpr_workgroup_id_x 1
		.amdhsa_system_sgpr_workgroup_id_y 0
		.amdhsa_system_sgpr_workgroup_id_z 0
		.amdhsa_system_sgpr_workgroup_info 0
		.amdhsa_system_vgpr_workitem_id 0
		.amdhsa_next_free_vgpr 38
		.amdhsa_next_free_sgpr 34
		.amdhsa_reserve_vcc 1
		.amdhsa_float_round_mode_32 0
		.amdhsa_float_round_mode_16_64 0
		.amdhsa_float_denorm_mode_32 3
		.amdhsa_float_denorm_mode_16_64 3
		.amdhsa_dx10_clamp 1
		.amdhsa_ieee_mode 1
		.amdhsa_fp16_overflow 0
		.amdhsa_workgroup_processor_mode 1
		.amdhsa_memory_ordered 1
		.amdhsa_forward_progress 0
		.amdhsa_shared_vgpr_count 0
		.amdhsa_exception_fp_ieee_invalid_op 0
		.amdhsa_exception_fp_denorm_src 0
		.amdhsa_exception_fp_ieee_div_zero 0
		.amdhsa_exception_fp_ieee_overflow 0
		.amdhsa_exception_fp_ieee_underflow 0
		.amdhsa_exception_fp_ieee_inexact 0
		.amdhsa_exception_int_div_zero 0
	.end_amdhsa_kernel
	.section	.text._ZL9mul_mat_fI15__hip_bfloat162Li64ELi11ELi7ELb1EEvPKT_PKfPKiPfiiiiiiiiiiiiiiii,"axG",@progbits,_ZL9mul_mat_fI15__hip_bfloat162Li64ELi11ELi7ELb1EEvPKT_PKfPKiPfiiiiiiiiiiiiiiii,comdat
.Lfunc_end142:
	.size	_ZL9mul_mat_fI15__hip_bfloat162Li64ELi11ELi7ELb1EEvPKT_PKfPKiPfiiiiiiiiiiiiiiii, .Lfunc_end142-_ZL9mul_mat_fI15__hip_bfloat162Li64ELi11ELi7ELb1EEvPKT_PKfPKiPfiiiiiiiiiiiiiiii
                                        ; -- End function
	.section	.AMDGPU.csdata,"",@progbits
; Kernel info:
; codeLenInByte = 76
; NumSgprs: 36
; NumVgprs: 38
; ScratchSize: 16
; MemoryBound: 0
; FloatMode: 240
; IeeeMode: 1
; LDSByteSize: 0 bytes/workgroup (compile time only)
; SGPRBlocks: 4
; VGPRBlocks: 4
; NumSGPRsForWavesPerEU: 36
; NumVGPRsForWavesPerEU: 38
; Occupancy: 16
; WaveLimiterHint : 1
; COMPUTE_PGM_RSRC2:SCRATCH_EN: 1
; COMPUTE_PGM_RSRC2:USER_SGPR: 15
; COMPUTE_PGM_RSRC2:TRAP_HANDLER: 0
; COMPUTE_PGM_RSRC2:TGID_X_EN: 1
; COMPUTE_PGM_RSRC2:TGID_Y_EN: 0
; COMPUTE_PGM_RSRC2:TGID_Z_EN: 0
; COMPUTE_PGM_RSRC2:TIDIG_COMP_CNT: 0
	.section	.text._ZL9mul_mat_fI15__hip_bfloat162Li64ELi11ELi7ELb0EEvPKT_PKfPKiPfiiiiiiiiiiiiiiii,"axG",@progbits,_ZL9mul_mat_fI15__hip_bfloat162Li64ELi11ELi7ELb0EEvPKT_PKfPKiPfiiiiiiiiiiiiiiii,comdat
	.globl	_ZL9mul_mat_fI15__hip_bfloat162Li64ELi11ELi7ELb0EEvPKT_PKfPKiPfiiiiiiiiiiiiiiii ; -- Begin function _ZL9mul_mat_fI15__hip_bfloat162Li64ELi11ELi7ELb0EEvPKT_PKfPKiPfiiiiiiiiiiiiiiii
	.p2align	8
	.type	_ZL9mul_mat_fI15__hip_bfloat162Li64ELi11ELi7ELb0EEvPKT_PKfPKiPfiiiiiiiiiiiiiiii,@function
_ZL9mul_mat_fI15__hip_bfloat162Li64ELi11ELi7ELb0EEvPKT_PKfPKiPfiiiiiiiiiiiiiiii: ; @_ZL9mul_mat_fI15__hip_bfloat162Li64ELi11ELi7ELb0EEvPKT_PKfPKiPfiiiiiiiiiiiiiiii
; %bb.0:
	s_add_u32 s8, s0, 0x60
	s_addc_u32 s9, s1, 0
	s_getpc_b64 s[0:1]
	s_add_u32 s0, s0, __FUNCTION__._ZL9mul_mat_fIfLi32ELi11ELi1ELb1EEvPKT_PKfPKiPfiiiiiiiiiiiiiiii@rel32@lo+4
	s_addc_u32 s1, s1, __FUNCTION__._ZL9mul_mat_fIfLi32ELi11ELi1ELb1EEvPKT_PKfPKiPfiiiiiiiiiiiiiiii@rel32@hi+12
	v_dual_mov_b32 v0, 59 :: v_dual_mov_b32 v1, s0
	v_mov_b32_e32 v2, s1
	s_mov_b32 s32, 0
	s_getpc_b64 s[2:3]
	s_add_u32 s2, s2, _ZL14no_device_codePKciS0_iS0_@rel32@lo+4
	s_addc_u32 s3, s3, _ZL14no_device_codePKciS0_iS0_@rel32@hi+12
	s_delay_alu instid0(SALU_CYCLE_1)
	s_swappc_b64 s[30:31], s[2:3]
	.section	.rodata,"a",@progbits
	.p2align	6, 0x0
	.amdhsa_kernel _ZL9mul_mat_fI15__hip_bfloat162Li64ELi11ELi7ELb0EEvPKT_PKfPKiPfiiiiiiiiiiiiiiii
		.amdhsa_group_segment_fixed_size 0
		.amdhsa_private_segment_fixed_size 16
		.amdhsa_kernarg_size 352
		.amdhsa_user_sgpr_count 15
		.amdhsa_user_sgpr_dispatch_ptr 0
		.amdhsa_user_sgpr_queue_ptr 0
		.amdhsa_user_sgpr_kernarg_segment_ptr 1
		.amdhsa_user_sgpr_dispatch_id 0
		.amdhsa_user_sgpr_private_segment_size 0
		.amdhsa_wavefront_size32 1
		.amdhsa_uses_dynamic_stack 0
		.amdhsa_enable_private_segment 1
		.amdhsa_system_sgpr_workgroup_id_x 1
		.amdhsa_system_sgpr_workgroup_id_y 0
		.amdhsa_system_sgpr_workgroup_id_z 0
		.amdhsa_system_sgpr_workgroup_info 0
		.amdhsa_system_vgpr_workitem_id 0
		.amdhsa_next_free_vgpr 38
		.amdhsa_next_free_sgpr 34
		.amdhsa_reserve_vcc 1
		.amdhsa_float_round_mode_32 0
		.amdhsa_float_round_mode_16_64 0
		.amdhsa_float_denorm_mode_32 3
		.amdhsa_float_denorm_mode_16_64 3
		.amdhsa_dx10_clamp 1
		.amdhsa_ieee_mode 1
		.amdhsa_fp16_overflow 0
		.amdhsa_workgroup_processor_mode 1
		.amdhsa_memory_ordered 1
		.amdhsa_forward_progress 0
		.amdhsa_shared_vgpr_count 0
		.amdhsa_exception_fp_ieee_invalid_op 0
		.amdhsa_exception_fp_denorm_src 0
		.amdhsa_exception_fp_ieee_div_zero 0
		.amdhsa_exception_fp_ieee_overflow 0
		.amdhsa_exception_fp_ieee_underflow 0
		.amdhsa_exception_fp_ieee_inexact 0
		.amdhsa_exception_int_div_zero 0
	.end_amdhsa_kernel
	.section	.text._ZL9mul_mat_fI15__hip_bfloat162Li64ELi11ELi7ELb0EEvPKT_PKfPKiPfiiiiiiiiiiiiiiii,"axG",@progbits,_ZL9mul_mat_fI15__hip_bfloat162Li64ELi11ELi7ELb0EEvPKT_PKfPKiPfiiiiiiiiiiiiiiii,comdat
.Lfunc_end143:
	.size	_ZL9mul_mat_fI15__hip_bfloat162Li64ELi11ELi7ELb0EEvPKT_PKfPKiPfiiiiiiiiiiiiiiii, .Lfunc_end143-_ZL9mul_mat_fI15__hip_bfloat162Li64ELi11ELi7ELb0EEvPKT_PKfPKiPfiiiiiiiiiiiiiiii
                                        ; -- End function
	.section	.AMDGPU.csdata,"",@progbits
; Kernel info:
; codeLenInByte = 76
; NumSgprs: 36
; NumVgprs: 38
; ScratchSize: 16
; MemoryBound: 0
; FloatMode: 240
; IeeeMode: 1
; LDSByteSize: 0 bytes/workgroup (compile time only)
; SGPRBlocks: 4
; VGPRBlocks: 4
; NumSGPRsForWavesPerEU: 36
; NumVGPRsForWavesPerEU: 38
; Occupancy: 16
; WaveLimiterHint : 1
; COMPUTE_PGM_RSRC2:SCRATCH_EN: 1
; COMPUTE_PGM_RSRC2:USER_SGPR: 15
; COMPUTE_PGM_RSRC2:TRAP_HANDLER: 0
; COMPUTE_PGM_RSRC2:TGID_X_EN: 1
; COMPUTE_PGM_RSRC2:TGID_Y_EN: 0
; COMPUTE_PGM_RSRC2:TGID_Z_EN: 0
; COMPUTE_PGM_RSRC2:TIDIG_COMP_CNT: 0
	.section	.text._ZL13mul_mat_f_idsI15__hip_bfloat162Li64ELi11ELi8EEvPKT_PKfPKiS7_S7_Pfiiiiiiiiiiiiii15HIP_vector_typeIjLj3EESA_,"axG",@progbits,_ZL13mul_mat_f_idsI15__hip_bfloat162Li64ELi11ELi8EEvPKT_PKfPKiS7_S7_Pfiiiiiiiiiiiiii15HIP_vector_typeIjLj3EESA_,comdat
	.globl	_ZL13mul_mat_f_idsI15__hip_bfloat162Li64ELi11ELi8EEvPKT_PKfPKiS7_S7_Pfiiiiiiiiiiiiii15HIP_vector_typeIjLj3EESA_ ; -- Begin function _ZL13mul_mat_f_idsI15__hip_bfloat162Li64ELi11ELi8EEvPKT_PKfPKiS7_S7_Pfiiiiiiiiiiiiii15HIP_vector_typeIjLj3EESA_
	.p2align	8
	.type	_ZL13mul_mat_f_idsI15__hip_bfloat162Li64ELi11ELi8EEvPKT_PKfPKiS7_S7_Pfiiiiiiiiiiiiii15HIP_vector_typeIjLj3EESA_,@function
_ZL13mul_mat_f_idsI15__hip_bfloat162Li64ELi11ELi8EEvPKT_PKfPKiS7_S7_Pfiiiiiiiiiiiiii15HIP_vector_typeIjLj3EESA_: ; @_ZL13mul_mat_f_idsI15__hip_bfloat162Li64ELi11ELi8EEvPKT_PKfPKiS7_S7_Pfiiiiiiiiiiiiii15HIP_vector_typeIjLj3EESA_
; %bb.0:
	s_add_u32 s8, s0, 0x80
	s_addc_u32 s9, s1, 0
	s_getpc_b64 s[0:1]
	s_add_u32 s0, s0, __FUNCTION__._ZL13mul_mat_f_idsIfLi32ELi11ELi1EEvPKT_PKfPKiS6_S6_Pfiiiiiiiiiiiiii15HIP_vector_typeIjLj3EES9_@rel32@lo+4
	s_addc_u32 s1, s1, __FUNCTION__._ZL13mul_mat_f_idsIfLi32ELi11ELi1EEvPKT_PKfPKiS6_S6_Pfiiiiiiiiiiiiii15HIP_vector_typeIjLj3EES9_@rel32@hi+12
	v_dual_mov_b32 v0, 0x136 :: v_dual_mov_b32 v1, s0
	v_mov_b32_e32 v2, s1
	s_mov_b32 s32, 0
	s_getpc_b64 s[2:3]
	s_add_u32 s2, s2, _ZL14no_device_codePKciS0_iS0_@rel32@lo+4
	s_addc_u32 s3, s3, _ZL14no_device_codePKciS0_iS0_@rel32@hi+12
	s_delay_alu instid0(SALU_CYCLE_1)
	s_swappc_b64 s[30:31], s[2:3]
	.section	.rodata,"a",@progbits
	.p2align	6, 0x0
	.amdhsa_kernel _ZL13mul_mat_f_idsI15__hip_bfloat162Li64ELi11ELi8EEvPKT_PKfPKiS7_S7_Pfiiiiiiiiiiiiii15HIP_vector_typeIjLj3EESA_
		.amdhsa_group_segment_fixed_size 0
		.amdhsa_private_segment_fixed_size 16
		.amdhsa_kernarg_size 384
		.amdhsa_user_sgpr_count 15
		.amdhsa_user_sgpr_dispatch_ptr 0
		.amdhsa_user_sgpr_queue_ptr 0
		.amdhsa_user_sgpr_kernarg_segment_ptr 1
		.amdhsa_user_sgpr_dispatch_id 0
		.amdhsa_user_sgpr_private_segment_size 0
		.amdhsa_wavefront_size32 1
		.amdhsa_uses_dynamic_stack 0
		.amdhsa_enable_private_segment 1
		.amdhsa_system_sgpr_workgroup_id_x 1
		.amdhsa_system_sgpr_workgroup_id_y 0
		.amdhsa_system_sgpr_workgroup_id_z 0
		.amdhsa_system_sgpr_workgroup_info 0
		.amdhsa_system_vgpr_workitem_id 0
		.amdhsa_next_free_vgpr 38
		.amdhsa_next_free_sgpr 34
		.amdhsa_reserve_vcc 1
		.amdhsa_float_round_mode_32 0
		.amdhsa_float_round_mode_16_64 0
		.amdhsa_float_denorm_mode_32 3
		.amdhsa_float_denorm_mode_16_64 3
		.amdhsa_dx10_clamp 1
		.amdhsa_ieee_mode 1
		.amdhsa_fp16_overflow 0
		.amdhsa_workgroup_processor_mode 1
		.amdhsa_memory_ordered 1
		.amdhsa_forward_progress 0
		.amdhsa_shared_vgpr_count 0
		.amdhsa_exception_fp_ieee_invalid_op 0
		.amdhsa_exception_fp_denorm_src 0
		.amdhsa_exception_fp_ieee_div_zero 0
		.amdhsa_exception_fp_ieee_overflow 0
		.amdhsa_exception_fp_ieee_underflow 0
		.amdhsa_exception_fp_ieee_inexact 0
		.amdhsa_exception_int_div_zero 0
	.end_amdhsa_kernel
	.section	.text._ZL13mul_mat_f_idsI15__hip_bfloat162Li64ELi11ELi8EEvPKT_PKfPKiS7_S7_Pfiiiiiiiiiiiiii15HIP_vector_typeIjLj3EESA_,"axG",@progbits,_ZL13mul_mat_f_idsI15__hip_bfloat162Li64ELi11ELi8EEvPKT_PKfPKiS7_S7_Pfiiiiiiiiiiiiii15HIP_vector_typeIjLj3EESA_,comdat
.Lfunc_end144:
	.size	_ZL13mul_mat_f_idsI15__hip_bfloat162Li64ELi11ELi8EEvPKT_PKfPKiS7_S7_Pfiiiiiiiiiiiiii15HIP_vector_typeIjLj3EESA_, .Lfunc_end144-_ZL13mul_mat_f_idsI15__hip_bfloat162Li64ELi11ELi8EEvPKT_PKfPKiS7_S7_Pfiiiiiiiiiiiiii15HIP_vector_typeIjLj3EESA_
                                        ; -- End function
	.section	.AMDGPU.csdata,"",@progbits
; Kernel info:
; codeLenInByte = 80
; NumSgprs: 36
; NumVgprs: 38
; ScratchSize: 16
; MemoryBound: 0
; FloatMode: 240
; IeeeMode: 1
; LDSByteSize: 0 bytes/workgroup (compile time only)
; SGPRBlocks: 4
; VGPRBlocks: 4
; NumSGPRsForWavesPerEU: 36
; NumVGPRsForWavesPerEU: 38
; Occupancy: 16
; WaveLimiterHint : 1
; COMPUTE_PGM_RSRC2:SCRATCH_EN: 1
; COMPUTE_PGM_RSRC2:USER_SGPR: 15
; COMPUTE_PGM_RSRC2:TRAP_HANDLER: 0
; COMPUTE_PGM_RSRC2:TGID_X_EN: 1
; COMPUTE_PGM_RSRC2:TGID_Y_EN: 0
; COMPUTE_PGM_RSRC2:TGID_Z_EN: 0
; COMPUTE_PGM_RSRC2:TIDIG_COMP_CNT: 0
	.section	.text._ZL9mul_mat_fI15__hip_bfloat162Li64ELi11ELi8ELb1EEvPKT_PKfPKiPfiiiiiiiiiiiiiiii,"axG",@progbits,_ZL9mul_mat_fI15__hip_bfloat162Li64ELi11ELi8ELb1EEvPKT_PKfPKiPfiiiiiiiiiiiiiiii,comdat
	.globl	_ZL9mul_mat_fI15__hip_bfloat162Li64ELi11ELi8ELb1EEvPKT_PKfPKiPfiiiiiiiiiiiiiiii ; -- Begin function _ZL9mul_mat_fI15__hip_bfloat162Li64ELi11ELi8ELb1EEvPKT_PKfPKiPfiiiiiiiiiiiiiiii
	.p2align	8
	.type	_ZL9mul_mat_fI15__hip_bfloat162Li64ELi11ELi8ELb1EEvPKT_PKfPKiPfiiiiiiiiiiiiiiii,@function
_ZL9mul_mat_fI15__hip_bfloat162Li64ELi11ELi8ELb1EEvPKT_PKfPKiPfiiiiiiiiiiiiiiii: ; @_ZL9mul_mat_fI15__hip_bfloat162Li64ELi11ELi8ELb1EEvPKT_PKfPKiPfiiiiiiiiiiiiiiii
; %bb.0:
	s_add_u32 s8, s0, 0x60
	s_addc_u32 s9, s1, 0
	s_getpc_b64 s[0:1]
	s_add_u32 s0, s0, __FUNCTION__._ZL9mul_mat_fIfLi32ELi11ELi1ELb1EEvPKT_PKfPKiPfiiiiiiiiiiiiiiii@rel32@lo+4
	s_addc_u32 s1, s1, __FUNCTION__._ZL9mul_mat_fIfLi32ELi11ELi1ELb1EEvPKT_PKfPKiPfiiiiiiiiiiiiiiii@rel32@hi+12
	v_dual_mov_b32 v0, 59 :: v_dual_mov_b32 v1, s0
	v_mov_b32_e32 v2, s1
	s_mov_b32 s32, 0
	s_getpc_b64 s[2:3]
	s_add_u32 s2, s2, _ZL14no_device_codePKciS0_iS0_@rel32@lo+4
	s_addc_u32 s3, s3, _ZL14no_device_codePKciS0_iS0_@rel32@hi+12
	s_delay_alu instid0(SALU_CYCLE_1)
	s_swappc_b64 s[30:31], s[2:3]
	.section	.rodata,"a",@progbits
	.p2align	6, 0x0
	.amdhsa_kernel _ZL9mul_mat_fI15__hip_bfloat162Li64ELi11ELi8ELb1EEvPKT_PKfPKiPfiiiiiiiiiiiiiiii
		.amdhsa_group_segment_fixed_size 0
		.amdhsa_private_segment_fixed_size 16
		.amdhsa_kernarg_size 352
		.amdhsa_user_sgpr_count 15
		.amdhsa_user_sgpr_dispatch_ptr 0
		.amdhsa_user_sgpr_queue_ptr 0
		.amdhsa_user_sgpr_kernarg_segment_ptr 1
		.amdhsa_user_sgpr_dispatch_id 0
		.amdhsa_user_sgpr_private_segment_size 0
		.amdhsa_wavefront_size32 1
		.amdhsa_uses_dynamic_stack 0
		.amdhsa_enable_private_segment 1
		.amdhsa_system_sgpr_workgroup_id_x 1
		.amdhsa_system_sgpr_workgroup_id_y 0
		.amdhsa_system_sgpr_workgroup_id_z 0
		.amdhsa_system_sgpr_workgroup_info 0
		.amdhsa_system_vgpr_workitem_id 0
		.amdhsa_next_free_vgpr 38
		.amdhsa_next_free_sgpr 34
		.amdhsa_reserve_vcc 1
		.amdhsa_float_round_mode_32 0
		.amdhsa_float_round_mode_16_64 0
		.amdhsa_float_denorm_mode_32 3
		.amdhsa_float_denorm_mode_16_64 3
		.amdhsa_dx10_clamp 1
		.amdhsa_ieee_mode 1
		.amdhsa_fp16_overflow 0
		.amdhsa_workgroup_processor_mode 1
		.amdhsa_memory_ordered 1
		.amdhsa_forward_progress 0
		.amdhsa_shared_vgpr_count 0
		.amdhsa_exception_fp_ieee_invalid_op 0
		.amdhsa_exception_fp_denorm_src 0
		.amdhsa_exception_fp_ieee_div_zero 0
		.amdhsa_exception_fp_ieee_overflow 0
		.amdhsa_exception_fp_ieee_underflow 0
		.amdhsa_exception_fp_ieee_inexact 0
		.amdhsa_exception_int_div_zero 0
	.end_amdhsa_kernel
	.section	.text._ZL9mul_mat_fI15__hip_bfloat162Li64ELi11ELi8ELb1EEvPKT_PKfPKiPfiiiiiiiiiiiiiiii,"axG",@progbits,_ZL9mul_mat_fI15__hip_bfloat162Li64ELi11ELi8ELb1EEvPKT_PKfPKiPfiiiiiiiiiiiiiiii,comdat
.Lfunc_end145:
	.size	_ZL9mul_mat_fI15__hip_bfloat162Li64ELi11ELi8ELb1EEvPKT_PKfPKiPfiiiiiiiiiiiiiiii, .Lfunc_end145-_ZL9mul_mat_fI15__hip_bfloat162Li64ELi11ELi8ELb1EEvPKT_PKfPKiPfiiiiiiiiiiiiiiii
                                        ; -- End function
	.section	.AMDGPU.csdata,"",@progbits
; Kernel info:
; codeLenInByte = 76
; NumSgprs: 36
; NumVgprs: 38
; ScratchSize: 16
; MemoryBound: 0
; FloatMode: 240
; IeeeMode: 1
; LDSByteSize: 0 bytes/workgroup (compile time only)
; SGPRBlocks: 4
; VGPRBlocks: 4
; NumSGPRsForWavesPerEU: 36
; NumVGPRsForWavesPerEU: 38
; Occupancy: 16
; WaveLimiterHint : 1
; COMPUTE_PGM_RSRC2:SCRATCH_EN: 1
; COMPUTE_PGM_RSRC2:USER_SGPR: 15
; COMPUTE_PGM_RSRC2:TRAP_HANDLER: 0
; COMPUTE_PGM_RSRC2:TGID_X_EN: 1
; COMPUTE_PGM_RSRC2:TGID_Y_EN: 0
; COMPUTE_PGM_RSRC2:TGID_Z_EN: 0
; COMPUTE_PGM_RSRC2:TIDIG_COMP_CNT: 0
	.section	.text._ZL9mul_mat_fI15__hip_bfloat162Li64ELi11ELi8ELb0EEvPKT_PKfPKiPfiiiiiiiiiiiiiiii,"axG",@progbits,_ZL9mul_mat_fI15__hip_bfloat162Li64ELi11ELi8ELb0EEvPKT_PKfPKiPfiiiiiiiiiiiiiiii,comdat
	.globl	_ZL9mul_mat_fI15__hip_bfloat162Li64ELi11ELi8ELb0EEvPKT_PKfPKiPfiiiiiiiiiiiiiiii ; -- Begin function _ZL9mul_mat_fI15__hip_bfloat162Li64ELi11ELi8ELb0EEvPKT_PKfPKiPfiiiiiiiiiiiiiiii
	.p2align	8
	.type	_ZL9mul_mat_fI15__hip_bfloat162Li64ELi11ELi8ELb0EEvPKT_PKfPKiPfiiiiiiiiiiiiiiii,@function
_ZL9mul_mat_fI15__hip_bfloat162Li64ELi11ELi8ELb0EEvPKT_PKfPKiPfiiiiiiiiiiiiiiii: ; @_ZL9mul_mat_fI15__hip_bfloat162Li64ELi11ELi8ELb0EEvPKT_PKfPKiPfiiiiiiiiiiiiiiii
; %bb.0:
	s_add_u32 s8, s0, 0x60
	s_addc_u32 s9, s1, 0
	s_getpc_b64 s[0:1]
	s_add_u32 s0, s0, __FUNCTION__._ZL9mul_mat_fIfLi32ELi11ELi1ELb1EEvPKT_PKfPKiPfiiiiiiiiiiiiiiii@rel32@lo+4
	s_addc_u32 s1, s1, __FUNCTION__._ZL9mul_mat_fIfLi32ELi11ELi1ELb1EEvPKT_PKfPKiPfiiiiiiiiiiiiiiii@rel32@hi+12
	v_dual_mov_b32 v0, 59 :: v_dual_mov_b32 v1, s0
	v_mov_b32_e32 v2, s1
	s_mov_b32 s32, 0
	s_getpc_b64 s[2:3]
	s_add_u32 s2, s2, _ZL14no_device_codePKciS0_iS0_@rel32@lo+4
	s_addc_u32 s3, s3, _ZL14no_device_codePKciS0_iS0_@rel32@hi+12
	s_delay_alu instid0(SALU_CYCLE_1)
	s_swappc_b64 s[30:31], s[2:3]
	.section	.rodata,"a",@progbits
	.p2align	6, 0x0
	.amdhsa_kernel _ZL9mul_mat_fI15__hip_bfloat162Li64ELi11ELi8ELb0EEvPKT_PKfPKiPfiiiiiiiiiiiiiiii
		.amdhsa_group_segment_fixed_size 0
		.amdhsa_private_segment_fixed_size 16
		.amdhsa_kernarg_size 352
		.amdhsa_user_sgpr_count 15
		.amdhsa_user_sgpr_dispatch_ptr 0
		.amdhsa_user_sgpr_queue_ptr 0
		.amdhsa_user_sgpr_kernarg_segment_ptr 1
		.amdhsa_user_sgpr_dispatch_id 0
		.amdhsa_user_sgpr_private_segment_size 0
		.amdhsa_wavefront_size32 1
		.amdhsa_uses_dynamic_stack 0
		.amdhsa_enable_private_segment 1
		.amdhsa_system_sgpr_workgroup_id_x 1
		.amdhsa_system_sgpr_workgroup_id_y 0
		.amdhsa_system_sgpr_workgroup_id_z 0
		.amdhsa_system_sgpr_workgroup_info 0
		.amdhsa_system_vgpr_workitem_id 0
		.amdhsa_next_free_vgpr 38
		.amdhsa_next_free_sgpr 34
		.amdhsa_reserve_vcc 1
		.amdhsa_float_round_mode_32 0
		.amdhsa_float_round_mode_16_64 0
		.amdhsa_float_denorm_mode_32 3
		.amdhsa_float_denorm_mode_16_64 3
		.amdhsa_dx10_clamp 1
		.amdhsa_ieee_mode 1
		.amdhsa_fp16_overflow 0
		.amdhsa_workgroup_processor_mode 1
		.amdhsa_memory_ordered 1
		.amdhsa_forward_progress 0
		.amdhsa_shared_vgpr_count 0
		.amdhsa_exception_fp_ieee_invalid_op 0
		.amdhsa_exception_fp_denorm_src 0
		.amdhsa_exception_fp_ieee_div_zero 0
		.amdhsa_exception_fp_ieee_overflow 0
		.amdhsa_exception_fp_ieee_underflow 0
		.amdhsa_exception_fp_ieee_inexact 0
		.amdhsa_exception_int_div_zero 0
	.end_amdhsa_kernel
	.section	.text._ZL9mul_mat_fI15__hip_bfloat162Li64ELi11ELi8ELb0EEvPKT_PKfPKiPfiiiiiiiiiiiiiiii,"axG",@progbits,_ZL9mul_mat_fI15__hip_bfloat162Li64ELi11ELi8ELb0EEvPKT_PKfPKiPfiiiiiiiiiiiiiiii,comdat
.Lfunc_end146:
	.size	_ZL9mul_mat_fI15__hip_bfloat162Li64ELi11ELi8ELb0EEvPKT_PKfPKiPfiiiiiiiiiiiiiiii, .Lfunc_end146-_ZL9mul_mat_fI15__hip_bfloat162Li64ELi11ELi8ELb0EEvPKT_PKfPKiPfiiiiiiiiiiiiiiii
                                        ; -- End function
	.section	.AMDGPU.csdata,"",@progbits
; Kernel info:
; codeLenInByte = 76
; NumSgprs: 36
; NumVgprs: 38
; ScratchSize: 16
; MemoryBound: 0
; FloatMode: 240
; IeeeMode: 1
; LDSByteSize: 0 bytes/workgroup (compile time only)
; SGPRBlocks: 4
; VGPRBlocks: 4
; NumSGPRsForWavesPerEU: 36
; NumVGPRsForWavesPerEU: 38
; Occupancy: 16
; WaveLimiterHint : 1
; COMPUTE_PGM_RSRC2:SCRATCH_EN: 1
; COMPUTE_PGM_RSRC2:USER_SGPR: 15
; COMPUTE_PGM_RSRC2:TRAP_HANDLER: 0
; COMPUTE_PGM_RSRC2:TGID_X_EN: 1
; COMPUTE_PGM_RSRC2:TGID_Y_EN: 0
; COMPUTE_PGM_RSRC2:TGID_Z_EN: 0
; COMPUTE_PGM_RSRC2:TIDIG_COMP_CNT: 0
	.text
	.p2alignl 7, 3214868480
	.fill 96, 4, 3214868480
	.type	.str,@object                    ; @.str
	.section	.rodata.str1.1,"aMS",@progbits,1
.str:
	.asciz	"/root/src/amdgpu-assembly/repos/ggml-org__llama.cpp/ggml/src/ggml-cuda/template-instances/../mmf.cuh"
	.size	.str, 101

	.type	__FUNCTION__._ZL13mul_mat_f_idsIfLi32ELi11ELi1EEvPKT_PKfPKiS6_S6_Pfiiiiiiiiiiiiii15HIP_vector_typeIjLj3EES9_,@object ; @__FUNCTION__._ZL13mul_mat_f_idsIfLi32ELi11ELi1EEvPKT_PKfPKiS6_S6_Pfiiiiiiiiiiiiii15HIP_vector_typeIjLj3EES9_
__FUNCTION__._ZL13mul_mat_f_idsIfLi32ELi11ELi1EEvPKT_PKfPKiS6_S6_Pfiiiiiiiiiiiiii15HIP_vector_typeIjLj3EES9_:
	.asciz	"mul_mat_f_ids"
	.size	__FUNCTION__._ZL13mul_mat_f_idsIfLi32ELi11ELi1EEvPKT_PKfPKiS6_S6_Pfiiiiiiiiiiiiii15HIP_vector_typeIjLj3EES9_, 14

	.type	.str.2,@object                  ; @.str.2
.str.2:
	.asciz	"%s:%d: ERROR: HIP kernel %s has no device code compatible with HIP arch %d.\n"
	.size	.str.2, 77

	.type	__FUNCTION__._ZL9mul_mat_fIfLi32ELi11ELi1ELb1EEvPKT_PKfPKiPfiiiiiiiiiiiiiiii,@object ; @__FUNCTION__._ZL9mul_mat_fIfLi32ELi11ELi1ELb1EEvPKT_PKfPKiPfiiiiiiiiiiiiiiii
__FUNCTION__._ZL9mul_mat_fIfLi32ELi11ELi1ELb1EEvPKT_PKfPKiPfiiiiiiiiiiiiiiii:
	.asciz	"mul_mat_f"
	.size	__FUNCTION__._ZL9mul_mat_fIfLi32ELi11ELi1ELb1EEvPKT_PKfPKiPfiiiiiiiiiiiiiiii, 10

	.type	__hip_cuid_3e4f4182379b56f,@object ; @__hip_cuid_3e4f4182379b56f
	.section	.bss,"aw",@nobits
	.globl	__hip_cuid_3e4f4182379b56f
__hip_cuid_3e4f4182379b56f:
	.byte	0                               ; 0x0
	.size	__hip_cuid_3e4f4182379b56f, 1

	.ident	"AMD clang version 19.0.0git (https://github.com/RadeonOpenCompute/llvm-project roc-6.4.0 25133 c7fe45cf4b819c5991fe208aaa96edf142730f1d)"
	.section	".note.GNU-stack","",@progbits
	.addrsig
	.addrsig_sym __hip_cuid_3e4f4182379b56f
	.amdgpu_metadata
---
amdhsa.kernels:
  - .args:
      - .actual_access:  read_only
        .address_space:  global
        .offset:         0
        .size:           8
        .value_kind:     global_buffer
      - .actual_access:  read_only
        .address_space:  global
        .offset:         8
        .size:           8
        .value_kind:     global_buffer
      - .actual_access:  read_only
        .address_space:  global
        .offset:         16
        .size:           8
        .value_kind:     global_buffer
      - .actual_access:  read_only
        .address_space:  global
        .offset:         24
        .size:           8
        .value_kind:     global_buffer
      - .actual_access:  read_only
        .address_space:  global
        .offset:         32
        .size:           8
        .value_kind:     global_buffer
      - .actual_access:  read_only
        .address_space:  global
        .offset:         40
        .size:           8
        .value_kind:     global_buffer
      - .offset:         48
        .size:           4
        .value_kind:     by_value
      - .offset:         52
        .size:           4
        .value_kind:     by_value
      - .offset:         56
        .size:           4
        .value_kind:     by_value
      - .offset:         60
        .size:           4
        .value_kind:     by_value
      - .offset:         64
        .size:           4
        .value_kind:     by_value
      - .offset:         68
        .size:           4
        .value_kind:     by_value
      - .offset:         72
        .size:           4
        .value_kind:     by_value
      - .offset:         76
        .size:           4
        .value_kind:     by_value
      - .offset:         80
        .size:           4
        .value_kind:     by_value
      - .offset:         84
        .size:           4
        .value_kind:     by_value
      - .offset:         88
        .size:           4
        .value_kind:     by_value
      - .offset:         92
        .size:           4
        .value_kind:     by_value
      - .offset:         96
        .size:           4
        .value_kind:     by_value
      - .offset:         100
        .size:           4
        .value_kind:     by_value
      - .offset:         104
        .size:           12
        .value_kind:     by_value
      - .offset:         116
        .size:           12
        .value_kind:     by_value
      - .offset:         128
        .size:           4
        .value_kind:     hidden_block_count_x
      - .offset:         132
        .size:           4
        .value_kind:     hidden_block_count_y
      - .offset:         136
        .size:           4
        .value_kind:     hidden_block_count_z
      - .offset:         140
        .size:           2
        .value_kind:     hidden_group_size_x
      - .offset:         142
        .size:           2
        .value_kind:     hidden_group_size_y
      - .offset:         144
        .size:           2
        .value_kind:     hidden_group_size_z
      - .offset:         146
        .size:           2
        .value_kind:     hidden_remainder_x
      - .offset:         148
        .size:           2
        .value_kind:     hidden_remainder_y
      - .offset:         150
        .size:           2
        .value_kind:     hidden_remainder_z
      - .offset:         168
        .size:           8
        .value_kind:     hidden_global_offset_x
      - .offset:         176
        .size:           8
        .value_kind:     hidden_global_offset_y
      - .offset:         184
        .size:           8
        .value_kind:     hidden_global_offset_z
      - .offset:         192
        .size:           2
        .value_kind:     hidden_grid_dims
      - .offset:         208
        .size:           8
        .value_kind:     hidden_hostcall_buffer
    .group_segment_fixed_size: 0
    .kernarg_segment_align: 8
    .kernarg_segment_size: 384
    .language:       OpenCL C
    .language_version:
      - 2
      - 0
    .max_flat_workgroup_size: 32
    .name:           _ZL13mul_mat_f_idsIfLi32ELi11ELi1EEvPKT_PKfPKiS6_S6_Pfiiiiiiiiiiiiii15HIP_vector_typeIjLj3EES9_
    .private_segment_fixed_size: 16
    .sgpr_count:     36
    .sgpr_spill_count: 0
    .symbol:         _ZL13mul_mat_f_idsIfLi32ELi11ELi1EEvPKT_PKfPKiS6_S6_Pfiiiiiiiiiiiiii15HIP_vector_typeIjLj3EES9_.kd
    .uniform_work_group_size: 1
    .uses_dynamic_stack: false
    .vgpr_count:     38
    .vgpr_spill_count: 0
    .wavefront_size: 32
    .workgroup_processor_mode: 1
  - .args:
      - .actual_access:  read_only
        .address_space:  global
        .offset:         0
        .size:           8
        .value_kind:     global_buffer
      - .actual_access:  read_only
        .address_space:  global
        .offset:         8
        .size:           8
        .value_kind:     global_buffer
      - .actual_access:  read_only
        .address_space:  global
        .offset:         16
        .size:           8
        .value_kind:     global_buffer
      - .actual_access:  read_only
        .address_space:  global
        .offset:         24
        .size:           8
        .value_kind:     global_buffer
      - .offset:         32
        .size:           4
        .value_kind:     by_value
      - .offset:         36
        .size:           4
        .value_kind:     by_value
      - .offset:         40
        .size:           4
        .value_kind:     by_value
      - .offset:         44
        .size:           4
        .value_kind:     by_value
      - .offset:         48
        .size:           4
        .value_kind:     by_value
      - .offset:         52
        .size:           4
        .value_kind:     by_value
      - .offset:         56
        .size:           4
        .value_kind:     by_value
      - .offset:         60
        .size:           4
        .value_kind:     by_value
      - .offset:         64
        .size:           4
        .value_kind:     by_value
      - .offset:         68
        .size:           4
        .value_kind:     by_value
      - .offset:         72
        .size:           4
        .value_kind:     by_value
      - .offset:         76
        .size:           4
        .value_kind:     by_value
      - .offset:         80
        .size:           4
        .value_kind:     by_value
      - .offset:         84
        .size:           4
        .value_kind:     by_value
      - .offset:         88
        .size:           4
        .value_kind:     by_value
      - .offset:         92
        .size:           4
        .value_kind:     by_value
      - .offset:         96
        .size:           4
        .value_kind:     hidden_block_count_x
      - .offset:         100
        .size:           4
        .value_kind:     hidden_block_count_y
      - .offset:         104
        .size:           4
        .value_kind:     hidden_block_count_z
      - .offset:         108
        .size:           2
        .value_kind:     hidden_group_size_x
      - .offset:         110
        .size:           2
        .value_kind:     hidden_group_size_y
      - .offset:         112
        .size:           2
        .value_kind:     hidden_group_size_z
      - .offset:         114
        .size:           2
        .value_kind:     hidden_remainder_x
      - .offset:         116
        .size:           2
        .value_kind:     hidden_remainder_y
      - .offset:         118
        .size:           2
        .value_kind:     hidden_remainder_z
      - .offset:         136
        .size:           8
        .value_kind:     hidden_global_offset_x
      - .offset:         144
        .size:           8
        .value_kind:     hidden_global_offset_y
      - .offset:         152
        .size:           8
        .value_kind:     hidden_global_offset_z
      - .offset:         160
        .size:           2
        .value_kind:     hidden_grid_dims
      - .offset:         176
        .size:           8
        .value_kind:     hidden_hostcall_buffer
    .group_segment_fixed_size: 0
    .kernarg_segment_align: 8
    .kernarg_segment_size: 352
    .language:       OpenCL C
    .language_version:
      - 2
      - 0
    .max_flat_workgroup_size: 32
    .name:           _ZL9mul_mat_fIfLi32ELi11ELi1ELb1EEvPKT_PKfPKiPfiiiiiiiiiiiiiiii
    .private_segment_fixed_size: 16
    .sgpr_count:     36
    .sgpr_spill_count: 0
    .symbol:         _ZL9mul_mat_fIfLi32ELi11ELi1ELb1EEvPKT_PKfPKiPfiiiiiiiiiiiiiiii.kd
    .uniform_work_group_size: 1
    .uses_dynamic_stack: false
    .vgpr_count:     38
    .vgpr_spill_count: 0
    .wavefront_size: 32
    .workgroup_processor_mode: 1
  - .args:
      - .actual_access:  read_only
        .address_space:  global
        .offset:         0
        .size:           8
        .value_kind:     global_buffer
      - .actual_access:  read_only
        .address_space:  global
        .offset:         8
        .size:           8
        .value_kind:     global_buffer
      - .actual_access:  read_only
        .address_space:  global
        .offset:         16
        .size:           8
        .value_kind:     global_buffer
      - .actual_access:  read_only
        .address_space:  global
        .offset:         24
        .size:           8
        .value_kind:     global_buffer
      - .offset:         32
        .size:           4
        .value_kind:     by_value
      - .offset:         36
        .size:           4
        .value_kind:     by_value
      - .offset:         40
        .size:           4
        .value_kind:     by_value
      - .offset:         44
        .size:           4
        .value_kind:     by_value
      - .offset:         48
        .size:           4
        .value_kind:     by_value
      - .offset:         52
        .size:           4
        .value_kind:     by_value
      - .offset:         56
        .size:           4
        .value_kind:     by_value
      - .offset:         60
        .size:           4
        .value_kind:     by_value
      - .offset:         64
        .size:           4
        .value_kind:     by_value
      - .offset:         68
        .size:           4
        .value_kind:     by_value
      - .offset:         72
        .size:           4
        .value_kind:     by_value
      - .offset:         76
        .size:           4
        .value_kind:     by_value
      - .offset:         80
        .size:           4
        .value_kind:     by_value
      - .offset:         84
        .size:           4
        .value_kind:     by_value
      - .offset:         88
        .size:           4
        .value_kind:     by_value
      - .offset:         92
        .size:           4
        .value_kind:     by_value
      - .offset:         96
        .size:           4
        .value_kind:     hidden_block_count_x
      - .offset:         100
        .size:           4
        .value_kind:     hidden_block_count_y
      - .offset:         104
        .size:           4
        .value_kind:     hidden_block_count_z
      - .offset:         108
        .size:           2
        .value_kind:     hidden_group_size_x
      - .offset:         110
        .size:           2
        .value_kind:     hidden_group_size_y
      - .offset:         112
        .size:           2
        .value_kind:     hidden_group_size_z
      - .offset:         114
        .size:           2
        .value_kind:     hidden_remainder_x
      - .offset:         116
        .size:           2
        .value_kind:     hidden_remainder_y
      - .offset:         118
        .size:           2
        .value_kind:     hidden_remainder_z
      - .offset:         136
        .size:           8
        .value_kind:     hidden_global_offset_x
      - .offset:         144
        .size:           8
        .value_kind:     hidden_global_offset_y
      - .offset:         152
        .size:           8
        .value_kind:     hidden_global_offset_z
      - .offset:         160
        .size:           2
        .value_kind:     hidden_grid_dims
      - .offset:         176
        .size:           8
        .value_kind:     hidden_hostcall_buffer
    .group_segment_fixed_size: 0
    .kernarg_segment_align: 8
    .kernarg_segment_size: 352
    .language:       OpenCL C
    .language_version:
      - 2
      - 0
    .max_flat_workgroup_size: 32
    .name:           _ZL9mul_mat_fIfLi32ELi11ELi1ELb0EEvPKT_PKfPKiPfiiiiiiiiiiiiiiii
    .private_segment_fixed_size: 16
    .sgpr_count:     36
    .sgpr_spill_count: 0
    .symbol:         _ZL9mul_mat_fIfLi32ELi11ELi1ELb0EEvPKT_PKfPKiPfiiiiiiiiiiiiiiii.kd
    .uniform_work_group_size: 1
    .uses_dynamic_stack: false
    .vgpr_count:     38
    .vgpr_spill_count: 0
    .wavefront_size: 32
    .workgroup_processor_mode: 1
  - .args:
      - .actual_access:  read_only
        .address_space:  global
        .offset:         0
        .size:           8
        .value_kind:     global_buffer
      - .actual_access:  read_only
        .address_space:  global
        .offset:         8
        .size:           8
        .value_kind:     global_buffer
      - .actual_access:  read_only
        .address_space:  global
        .offset:         16
        .size:           8
        .value_kind:     global_buffer
      - .actual_access:  read_only
        .address_space:  global
        .offset:         24
        .size:           8
        .value_kind:     global_buffer
      - .actual_access:  read_only
        .address_space:  global
        .offset:         32
        .size:           8
        .value_kind:     global_buffer
      - .actual_access:  read_only
        .address_space:  global
        .offset:         40
        .size:           8
        .value_kind:     global_buffer
      - .offset:         48
        .size:           4
        .value_kind:     by_value
      - .offset:         52
        .size:           4
        .value_kind:     by_value
      - .offset:         56
        .size:           4
        .value_kind:     by_value
      - .offset:         60
        .size:           4
        .value_kind:     by_value
      - .offset:         64
        .size:           4
        .value_kind:     by_value
      - .offset:         68
        .size:           4
        .value_kind:     by_value
      - .offset:         72
        .size:           4
        .value_kind:     by_value
      - .offset:         76
        .size:           4
        .value_kind:     by_value
      - .offset:         80
        .size:           4
        .value_kind:     by_value
      - .offset:         84
        .size:           4
        .value_kind:     by_value
      - .offset:         88
        .size:           4
        .value_kind:     by_value
      - .offset:         92
        .size:           4
        .value_kind:     by_value
      - .offset:         96
        .size:           4
        .value_kind:     by_value
      - .offset:         100
        .size:           4
        .value_kind:     by_value
      - .offset:         104
        .size:           12
        .value_kind:     by_value
      - .offset:         116
        .size:           12
        .value_kind:     by_value
      - .offset:         128
        .size:           4
        .value_kind:     hidden_block_count_x
      - .offset:         132
        .size:           4
        .value_kind:     hidden_block_count_y
      - .offset:         136
        .size:           4
        .value_kind:     hidden_block_count_z
      - .offset:         140
        .size:           2
        .value_kind:     hidden_group_size_x
      - .offset:         142
        .size:           2
        .value_kind:     hidden_group_size_y
      - .offset:         144
        .size:           2
        .value_kind:     hidden_group_size_z
      - .offset:         146
        .size:           2
        .value_kind:     hidden_remainder_x
      - .offset:         148
        .size:           2
        .value_kind:     hidden_remainder_y
      - .offset:         150
        .size:           2
        .value_kind:     hidden_remainder_z
      - .offset:         168
        .size:           8
        .value_kind:     hidden_global_offset_x
      - .offset:         176
        .size:           8
        .value_kind:     hidden_global_offset_y
      - .offset:         184
        .size:           8
        .value_kind:     hidden_global_offset_z
      - .offset:         192
        .size:           2
        .value_kind:     hidden_grid_dims
      - .offset:         208
        .size:           8
        .value_kind:     hidden_hostcall_buffer
    .group_segment_fixed_size: 0
    .kernarg_segment_align: 8
    .kernarg_segment_size: 384
    .language:       OpenCL C
    .language_version:
      - 2
      - 0
    .max_flat_workgroup_size: 64
    .name:           _ZL13mul_mat_f_idsIfLi32ELi11ELi2EEvPKT_PKfPKiS6_S6_Pfiiiiiiiiiiiiii15HIP_vector_typeIjLj3EES9_
    .private_segment_fixed_size: 16
    .sgpr_count:     36
    .sgpr_spill_count: 0
    .symbol:         _ZL13mul_mat_f_idsIfLi32ELi11ELi2EEvPKT_PKfPKiS6_S6_Pfiiiiiiiiiiiiii15HIP_vector_typeIjLj3EES9_.kd
    .uniform_work_group_size: 1
    .uses_dynamic_stack: false
    .vgpr_count:     38
    .vgpr_spill_count: 0
    .wavefront_size: 32
    .workgroup_processor_mode: 1
  - .args:
      - .actual_access:  read_only
        .address_space:  global
        .offset:         0
        .size:           8
        .value_kind:     global_buffer
      - .actual_access:  read_only
        .address_space:  global
        .offset:         8
        .size:           8
        .value_kind:     global_buffer
      - .actual_access:  read_only
        .address_space:  global
        .offset:         16
        .size:           8
        .value_kind:     global_buffer
      - .actual_access:  read_only
        .address_space:  global
        .offset:         24
        .size:           8
        .value_kind:     global_buffer
      - .offset:         32
        .size:           4
        .value_kind:     by_value
      - .offset:         36
        .size:           4
        .value_kind:     by_value
      - .offset:         40
        .size:           4
        .value_kind:     by_value
      - .offset:         44
        .size:           4
        .value_kind:     by_value
      - .offset:         48
        .size:           4
        .value_kind:     by_value
      - .offset:         52
        .size:           4
        .value_kind:     by_value
      - .offset:         56
        .size:           4
        .value_kind:     by_value
      - .offset:         60
        .size:           4
        .value_kind:     by_value
      - .offset:         64
        .size:           4
        .value_kind:     by_value
      - .offset:         68
        .size:           4
        .value_kind:     by_value
      - .offset:         72
        .size:           4
        .value_kind:     by_value
      - .offset:         76
        .size:           4
        .value_kind:     by_value
      - .offset:         80
        .size:           4
        .value_kind:     by_value
      - .offset:         84
        .size:           4
        .value_kind:     by_value
      - .offset:         88
        .size:           4
        .value_kind:     by_value
      - .offset:         92
        .size:           4
        .value_kind:     by_value
      - .offset:         96
        .size:           4
        .value_kind:     hidden_block_count_x
      - .offset:         100
        .size:           4
        .value_kind:     hidden_block_count_y
      - .offset:         104
        .size:           4
        .value_kind:     hidden_block_count_z
      - .offset:         108
        .size:           2
        .value_kind:     hidden_group_size_x
      - .offset:         110
        .size:           2
        .value_kind:     hidden_group_size_y
      - .offset:         112
        .size:           2
        .value_kind:     hidden_group_size_z
      - .offset:         114
        .size:           2
        .value_kind:     hidden_remainder_x
      - .offset:         116
        .size:           2
        .value_kind:     hidden_remainder_y
      - .offset:         118
        .size:           2
        .value_kind:     hidden_remainder_z
      - .offset:         136
        .size:           8
        .value_kind:     hidden_global_offset_x
      - .offset:         144
        .size:           8
        .value_kind:     hidden_global_offset_y
      - .offset:         152
        .size:           8
        .value_kind:     hidden_global_offset_z
      - .offset:         160
        .size:           2
        .value_kind:     hidden_grid_dims
      - .offset:         176
        .size:           8
        .value_kind:     hidden_hostcall_buffer
    .group_segment_fixed_size: 0
    .kernarg_segment_align: 8
    .kernarg_segment_size: 352
    .language:       OpenCL C
    .language_version:
      - 2
      - 0
    .max_flat_workgroup_size: 64
    .name:           _ZL9mul_mat_fIfLi32ELi11ELi2ELb1EEvPKT_PKfPKiPfiiiiiiiiiiiiiiii
    .private_segment_fixed_size: 16
    .sgpr_count:     36
    .sgpr_spill_count: 0
    .symbol:         _ZL9mul_mat_fIfLi32ELi11ELi2ELb1EEvPKT_PKfPKiPfiiiiiiiiiiiiiiii.kd
    .uniform_work_group_size: 1
    .uses_dynamic_stack: false
    .vgpr_count:     38
    .vgpr_spill_count: 0
    .wavefront_size: 32
    .workgroup_processor_mode: 1
  - .args:
      - .actual_access:  read_only
        .address_space:  global
        .offset:         0
        .size:           8
        .value_kind:     global_buffer
      - .actual_access:  read_only
        .address_space:  global
        .offset:         8
        .size:           8
        .value_kind:     global_buffer
      - .actual_access:  read_only
        .address_space:  global
        .offset:         16
        .size:           8
        .value_kind:     global_buffer
      - .actual_access:  read_only
        .address_space:  global
        .offset:         24
        .size:           8
        .value_kind:     global_buffer
      - .offset:         32
        .size:           4
        .value_kind:     by_value
      - .offset:         36
        .size:           4
        .value_kind:     by_value
      - .offset:         40
        .size:           4
        .value_kind:     by_value
      - .offset:         44
        .size:           4
        .value_kind:     by_value
      - .offset:         48
        .size:           4
        .value_kind:     by_value
      - .offset:         52
        .size:           4
        .value_kind:     by_value
      - .offset:         56
        .size:           4
        .value_kind:     by_value
      - .offset:         60
        .size:           4
        .value_kind:     by_value
      - .offset:         64
        .size:           4
        .value_kind:     by_value
      - .offset:         68
        .size:           4
        .value_kind:     by_value
      - .offset:         72
        .size:           4
        .value_kind:     by_value
      - .offset:         76
        .size:           4
        .value_kind:     by_value
      - .offset:         80
        .size:           4
        .value_kind:     by_value
      - .offset:         84
        .size:           4
        .value_kind:     by_value
      - .offset:         88
        .size:           4
        .value_kind:     by_value
      - .offset:         92
        .size:           4
        .value_kind:     by_value
      - .offset:         96
        .size:           4
        .value_kind:     hidden_block_count_x
      - .offset:         100
        .size:           4
        .value_kind:     hidden_block_count_y
      - .offset:         104
        .size:           4
        .value_kind:     hidden_block_count_z
      - .offset:         108
        .size:           2
        .value_kind:     hidden_group_size_x
      - .offset:         110
        .size:           2
        .value_kind:     hidden_group_size_y
      - .offset:         112
        .size:           2
        .value_kind:     hidden_group_size_z
      - .offset:         114
        .size:           2
        .value_kind:     hidden_remainder_x
      - .offset:         116
        .size:           2
        .value_kind:     hidden_remainder_y
      - .offset:         118
        .size:           2
        .value_kind:     hidden_remainder_z
      - .offset:         136
        .size:           8
        .value_kind:     hidden_global_offset_x
      - .offset:         144
        .size:           8
        .value_kind:     hidden_global_offset_y
      - .offset:         152
        .size:           8
        .value_kind:     hidden_global_offset_z
      - .offset:         160
        .size:           2
        .value_kind:     hidden_grid_dims
      - .offset:         176
        .size:           8
        .value_kind:     hidden_hostcall_buffer
    .group_segment_fixed_size: 0
    .kernarg_segment_align: 8
    .kernarg_segment_size: 352
    .language:       OpenCL C
    .language_version:
      - 2
      - 0
    .max_flat_workgroup_size: 64
    .name:           _ZL9mul_mat_fIfLi32ELi11ELi2ELb0EEvPKT_PKfPKiPfiiiiiiiiiiiiiiii
    .private_segment_fixed_size: 16
    .sgpr_count:     36
    .sgpr_spill_count: 0
    .symbol:         _ZL9mul_mat_fIfLi32ELi11ELi2ELb0EEvPKT_PKfPKiPfiiiiiiiiiiiiiiii.kd
    .uniform_work_group_size: 1
    .uses_dynamic_stack: false
    .vgpr_count:     38
    .vgpr_spill_count: 0
    .wavefront_size: 32
    .workgroup_processor_mode: 1
  - .args:
      - .actual_access:  read_only
        .address_space:  global
        .offset:         0
        .size:           8
        .value_kind:     global_buffer
      - .actual_access:  read_only
        .address_space:  global
        .offset:         8
        .size:           8
        .value_kind:     global_buffer
      - .actual_access:  read_only
        .address_space:  global
        .offset:         16
        .size:           8
        .value_kind:     global_buffer
      - .actual_access:  read_only
        .address_space:  global
        .offset:         24
        .size:           8
        .value_kind:     global_buffer
      - .actual_access:  read_only
        .address_space:  global
        .offset:         32
        .size:           8
        .value_kind:     global_buffer
      - .actual_access:  read_only
        .address_space:  global
        .offset:         40
        .size:           8
        .value_kind:     global_buffer
      - .offset:         48
        .size:           4
        .value_kind:     by_value
      - .offset:         52
        .size:           4
        .value_kind:     by_value
      - .offset:         56
        .size:           4
        .value_kind:     by_value
      - .offset:         60
        .size:           4
        .value_kind:     by_value
      - .offset:         64
        .size:           4
        .value_kind:     by_value
      - .offset:         68
        .size:           4
        .value_kind:     by_value
      - .offset:         72
        .size:           4
        .value_kind:     by_value
      - .offset:         76
        .size:           4
        .value_kind:     by_value
      - .offset:         80
        .size:           4
        .value_kind:     by_value
      - .offset:         84
        .size:           4
        .value_kind:     by_value
      - .offset:         88
        .size:           4
        .value_kind:     by_value
      - .offset:         92
        .size:           4
        .value_kind:     by_value
      - .offset:         96
        .size:           4
        .value_kind:     by_value
      - .offset:         100
        .size:           4
        .value_kind:     by_value
      - .offset:         104
        .size:           12
        .value_kind:     by_value
      - .offset:         116
        .size:           12
        .value_kind:     by_value
      - .offset:         128
        .size:           4
        .value_kind:     hidden_block_count_x
      - .offset:         132
        .size:           4
        .value_kind:     hidden_block_count_y
      - .offset:         136
        .size:           4
        .value_kind:     hidden_block_count_z
      - .offset:         140
        .size:           2
        .value_kind:     hidden_group_size_x
      - .offset:         142
        .size:           2
        .value_kind:     hidden_group_size_y
      - .offset:         144
        .size:           2
        .value_kind:     hidden_group_size_z
      - .offset:         146
        .size:           2
        .value_kind:     hidden_remainder_x
      - .offset:         148
        .size:           2
        .value_kind:     hidden_remainder_y
      - .offset:         150
        .size:           2
        .value_kind:     hidden_remainder_z
      - .offset:         168
        .size:           8
        .value_kind:     hidden_global_offset_x
      - .offset:         176
        .size:           8
        .value_kind:     hidden_global_offset_y
      - .offset:         184
        .size:           8
        .value_kind:     hidden_global_offset_z
      - .offset:         192
        .size:           2
        .value_kind:     hidden_grid_dims
      - .offset:         208
        .size:           8
        .value_kind:     hidden_hostcall_buffer
    .group_segment_fixed_size: 0
    .kernarg_segment_align: 8
    .kernarg_segment_size: 384
    .language:       OpenCL C
    .language_version:
      - 2
      - 0
    .max_flat_workgroup_size: 96
    .name:           _ZL13mul_mat_f_idsIfLi32ELi11ELi3EEvPKT_PKfPKiS6_S6_Pfiiiiiiiiiiiiii15HIP_vector_typeIjLj3EES9_
    .private_segment_fixed_size: 16
    .sgpr_count:     36
    .sgpr_spill_count: 0
    .symbol:         _ZL13mul_mat_f_idsIfLi32ELi11ELi3EEvPKT_PKfPKiS6_S6_Pfiiiiiiiiiiiiii15HIP_vector_typeIjLj3EES9_.kd
    .uniform_work_group_size: 1
    .uses_dynamic_stack: false
    .vgpr_count:     38
    .vgpr_spill_count: 0
    .wavefront_size: 32
    .workgroup_processor_mode: 1
  - .args:
      - .actual_access:  read_only
        .address_space:  global
        .offset:         0
        .size:           8
        .value_kind:     global_buffer
      - .actual_access:  read_only
        .address_space:  global
        .offset:         8
        .size:           8
        .value_kind:     global_buffer
      - .actual_access:  read_only
        .address_space:  global
        .offset:         16
        .size:           8
        .value_kind:     global_buffer
      - .actual_access:  read_only
        .address_space:  global
        .offset:         24
        .size:           8
        .value_kind:     global_buffer
      - .offset:         32
        .size:           4
        .value_kind:     by_value
      - .offset:         36
        .size:           4
        .value_kind:     by_value
      - .offset:         40
        .size:           4
        .value_kind:     by_value
      - .offset:         44
        .size:           4
        .value_kind:     by_value
      - .offset:         48
        .size:           4
        .value_kind:     by_value
      - .offset:         52
        .size:           4
        .value_kind:     by_value
      - .offset:         56
        .size:           4
        .value_kind:     by_value
      - .offset:         60
        .size:           4
        .value_kind:     by_value
      - .offset:         64
        .size:           4
        .value_kind:     by_value
      - .offset:         68
        .size:           4
        .value_kind:     by_value
      - .offset:         72
        .size:           4
        .value_kind:     by_value
      - .offset:         76
        .size:           4
        .value_kind:     by_value
      - .offset:         80
        .size:           4
        .value_kind:     by_value
      - .offset:         84
        .size:           4
        .value_kind:     by_value
      - .offset:         88
        .size:           4
        .value_kind:     by_value
      - .offset:         92
        .size:           4
        .value_kind:     by_value
      - .offset:         96
        .size:           4
        .value_kind:     hidden_block_count_x
      - .offset:         100
        .size:           4
        .value_kind:     hidden_block_count_y
      - .offset:         104
        .size:           4
        .value_kind:     hidden_block_count_z
      - .offset:         108
        .size:           2
        .value_kind:     hidden_group_size_x
      - .offset:         110
        .size:           2
        .value_kind:     hidden_group_size_y
      - .offset:         112
        .size:           2
        .value_kind:     hidden_group_size_z
      - .offset:         114
        .size:           2
        .value_kind:     hidden_remainder_x
      - .offset:         116
        .size:           2
        .value_kind:     hidden_remainder_y
      - .offset:         118
        .size:           2
        .value_kind:     hidden_remainder_z
      - .offset:         136
        .size:           8
        .value_kind:     hidden_global_offset_x
      - .offset:         144
        .size:           8
        .value_kind:     hidden_global_offset_y
      - .offset:         152
        .size:           8
        .value_kind:     hidden_global_offset_z
      - .offset:         160
        .size:           2
        .value_kind:     hidden_grid_dims
      - .offset:         176
        .size:           8
        .value_kind:     hidden_hostcall_buffer
    .group_segment_fixed_size: 0
    .kernarg_segment_align: 8
    .kernarg_segment_size: 352
    .language:       OpenCL C
    .language_version:
      - 2
      - 0
    .max_flat_workgroup_size: 96
    .name:           _ZL9mul_mat_fIfLi32ELi11ELi3ELb1EEvPKT_PKfPKiPfiiiiiiiiiiiiiiii
    .private_segment_fixed_size: 16
    .sgpr_count:     36
    .sgpr_spill_count: 0
    .symbol:         _ZL9mul_mat_fIfLi32ELi11ELi3ELb1EEvPKT_PKfPKiPfiiiiiiiiiiiiiiii.kd
    .uniform_work_group_size: 1
    .uses_dynamic_stack: false
    .vgpr_count:     38
    .vgpr_spill_count: 0
    .wavefront_size: 32
    .workgroup_processor_mode: 1
  - .args:
      - .actual_access:  read_only
        .address_space:  global
        .offset:         0
        .size:           8
        .value_kind:     global_buffer
      - .actual_access:  read_only
        .address_space:  global
        .offset:         8
        .size:           8
        .value_kind:     global_buffer
      - .actual_access:  read_only
        .address_space:  global
        .offset:         16
        .size:           8
        .value_kind:     global_buffer
      - .actual_access:  read_only
        .address_space:  global
        .offset:         24
        .size:           8
        .value_kind:     global_buffer
      - .offset:         32
        .size:           4
        .value_kind:     by_value
      - .offset:         36
        .size:           4
        .value_kind:     by_value
      - .offset:         40
        .size:           4
        .value_kind:     by_value
      - .offset:         44
        .size:           4
        .value_kind:     by_value
      - .offset:         48
        .size:           4
        .value_kind:     by_value
      - .offset:         52
        .size:           4
        .value_kind:     by_value
      - .offset:         56
        .size:           4
        .value_kind:     by_value
      - .offset:         60
        .size:           4
        .value_kind:     by_value
      - .offset:         64
        .size:           4
        .value_kind:     by_value
      - .offset:         68
        .size:           4
        .value_kind:     by_value
      - .offset:         72
        .size:           4
        .value_kind:     by_value
      - .offset:         76
        .size:           4
        .value_kind:     by_value
      - .offset:         80
        .size:           4
        .value_kind:     by_value
      - .offset:         84
        .size:           4
        .value_kind:     by_value
      - .offset:         88
        .size:           4
        .value_kind:     by_value
      - .offset:         92
        .size:           4
        .value_kind:     by_value
      - .offset:         96
        .size:           4
        .value_kind:     hidden_block_count_x
      - .offset:         100
        .size:           4
        .value_kind:     hidden_block_count_y
      - .offset:         104
        .size:           4
        .value_kind:     hidden_block_count_z
      - .offset:         108
        .size:           2
        .value_kind:     hidden_group_size_x
      - .offset:         110
        .size:           2
        .value_kind:     hidden_group_size_y
      - .offset:         112
        .size:           2
        .value_kind:     hidden_group_size_z
      - .offset:         114
        .size:           2
        .value_kind:     hidden_remainder_x
      - .offset:         116
        .size:           2
        .value_kind:     hidden_remainder_y
      - .offset:         118
        .size:           2
        .value_kind:     hidden_remainder_z
      - .offset:         136
        .size:           8
        .value_kind:     hidden_global_offset_x
      - .offset:         144
        .size:           8
        .value_kind:     hidden_global_offset_y
      - .offset:         152
        .size:           8
        .value_kind:     hidden_global_offset_z
      - .offset:         160
        .size:           2
        .value_kind:     hidden_grid_dims
      - .offset:         176
        .size:           8
        .value_kind:     hidden_hostcall_buffer
    .group_segment_fixed_size: 0
    .kernarg_segment_align: 8
    .kernarg_segment_size: 352
    .language:       OpenCL C
    .language_version:
      - 2
      - 0
    .max_flat_workgroup_size: 96
    .name:           _ZL9mul_mat_fIfLi32ELi11ELi3ELb0EEvPKT_PKfPKiPfiiiiiiiiiiiiiiii
    .private_segment_fixed_size: 16
    .sgpr_count:     36
    .sgpr_spill_count: 0
    .symbol:         _ZL9mul_mat_fIfLi32ELi11ELi3ELb0EEvPKT_PKfPKiPfiiiiiiiiiiiiiiii.kd
    .uniform_work_group_size: 1
    .uses_dynamic_stack: false
    .vgpr_count:     38
    .vgpr_spill_count: 0
    .wavefront_size: 32
    .workgroup_processor_mode: 1
  - .args:
      - .actual_access:  read_only
        .address_space:  global
        .offset:         0
        .size:           8
        .value_kind:     global_buffer
      - .actual_access:  read_only
        .address_space:  global
        .offset:         8
        .size:           8
        .value_kind:     global_buffer
      - .actual_access:  read_only
        .address_space:  global
        .offset:         16
        .size:           8
        .value_kind:     global_buffer
      - .actual_access:  read_only
        .address_space:  global
        .offset:         24
        .size:           8
        .value_kind:     global_buffer
      - .actual_access:  read_only
        .address_space:  global
        .offset:         32
        .size:           8
        .value_kind:     global_buffer
      - .actual_access:  read_only
        .address_space:  global
        .offset:         40
        .size:           8
        .value_kind:     global_buffer
      - .offset:         48
        .size:           4
        .value_kind:     by_value
      - .offset:         52
        .size:           4
        .value_kind:     by_value
      - .offset:         56
        .size:           4
        .value_kind:     by_value
      - .offset:         60
        .size:           4
        .value_kind:     by_value
      - .offset:         64
        .size:           4
        .value_kind:     by_value
      - .offset:         68
        .size:           4
        .value_kind:     by_value
      - .offset:         72
        .size:           4
        .value_kind:     by_value
      - .offset:         76
        .size:           4
        .value_kind:     by_value
      - .offset:         80
        .size:           4
        .value_kind:     by_value
      - .offset:         84
        .size:           4
        .value_kind:     by_value
      - .offset:         88
        .size:           4
        .value_kind:     by_value
      - .offset:         92
        .size:           4
        .value_kind:     by_value
      - .offset:         96
        .size:           4
        .value_kind:     by_value
      - .offset:         100
        .size:           4
        .value_kind:     by_value
      - .offset:         104
        .size:           12
        .value_kind:     by_value
      - .offset:         116
        .size:           12
        .value_kind:     by_value
      - .offset:         128
        .size:           4
        .value_kind:     hidden_block_count_x
      - .offset:         132
        .size:           4
        .value_kind:     hidden_block_count_y
      - .offset:         136
        .size:           4
        .value_kind:     hidden_block_count_z
      - .offset:         140
        .size:           2
        .value_kind:     hidden_group_size_x
      - .offset:         142
        .size:           2
        .value_kind:     hidden_group_size_y
      - .offset:         144
        .size:           2
        .value_kind:     hidden_group_size_z
      - .offset:         146
        .size:           2
        .value_kind:     hidden_remainder_x
      - .offset:         148
        .size:           2
        .value_kind:     hidden_remainder_y
      - .offset:         150
        .size:           2
        .value_kind:     hidden_remainder_z
      - .offset:         168
        .size:           8
        .value_kind:     hidden_global_offset_x
      - .offset:         176
        .size:           8
        .value_kind:     hidden_global_offset_y
      - .offset:         184
        .size:           8
        .value_kind:     hidden_global_offset_z
      - .offset:         192
        .size:           2
        .value_kind:     hidden_grid_dims
      - .offset:         208
        .size:           8
        .value_kind:     hidden_hostcall_buffer
    .group_segment_fixed_size: 0
    .kernarg_segment_align: 8
    .kernarg_segment_size: 384
    .language:       OpenCL C
    .language_version:
      - 2
      - 0
    .max_flat_workgroup_size: 128
    .name:           _ZL13mul_mat_f_idsIfLi32ELi11ELi4EEvPKT_PKfPKiS6_S6_Pfiiiiiiiiiiiiii15HIP_vector_typeIjLj3EES9_
    .private_segment_fixed_size: 16
    .sgpr_count:     36
    .sgpr_spill_count: 0
    .symbol:         _ZL13mul_mat_f_idsIfLi32ELi11ELi4EEvPKT_PKfPKiS6_S6_Pfiiiiiiiiiiiiii15HIP_vector_typeIjLj3EES9_.kd
    .uniform_work_group_size: 1
    .uses_dynamic_stack: false
    .vgpr_count:     38
    .vgpr_spill_count: 0
    .wavefront_size: 32
    .workgroup_processor_mode: 1
  - .args:
      - .actual_access:  read_only
        .address_space:  global
        .offset:         0
        .size:           8
        .value_kind:     global_buffer
      - .actual_access:  read_only
        .address_space:  global
        .offset:         8
        .size:           8
        .value_kind:     global_buffer
      - .actual_access:  read_only
        .address_space:  global
        .offset:         16
        .size:           8
        .value_kind:     global_buffer
      - .actual_access:  read_only
        .address_space:  global
        .offset:         24
        .size:           8
        .value_kind:     global_buffer
      - .offset:         32
        .size:           4
        .value_kind:     by_value
      - .offset:         36
        .size:           4
        .value_kind:     by_value
      - .offset:         40
        .size:           4
        .value_kind:     by_value
      - .offset:         44
        .size:           4
        .value_kind:     by_value
      - .offset:         48
        .size:           4
        .value_kind:     by_value
      - .offset:         52
        .size:           4
        .value_kind:     by_value
      - .offset:         56
        .size:           4
        .value_kind:     by_value
      - .offset:         60
        .size:           4
        .value_kind:     by_value
      - .offset:         64
        .size:           4
        .value_kind:     by_value
      - .offset:         68
        .size:           4
        .value_kind:     by_value
      - .offset:         72
        .size:           4
        .value_kind:     by_value
      - .offset:         76
        .size:           4
        .value_kind:     by_value
      - .offset:         80
        .size:           4
        .value_kind:     by_value
      - .offset:         84
        .size:           4
        .value_kind:     by_value
      - .offset:         88
        .size:           4
        .value_kind:     by_value
      - .offset:         92
        .size:           4
        .value_kind:     by_value
      - .offset:         96
        .size:           4
        .value_kind:     hidden_block_count_x
      - .offset:         100
        .size:           4
        .value_kind:     hidden_block_count_y
      - .offset:         104
        .size:           4
        .value_kind:     hidden_block_count_z
      - .offset:         108
        .size:           2
        .value_kind:     hidden_group_size_x
      - .offset:         110
        .size:           2
        .value_kind:     hidden_group_size_y
      - .offset:         112
        .size:           2
        .value_kind:     hidden_group_size_z
      - .offset:         114
        .size:           2
        .value_kind:     hidden_remainder_x
      - .offset:         116
        .size:           2
        .value_kind:     hidden_remainder_y
      - .offset:         118
        .size:           2
        .value_kind:     hidden_remainder_z
      - .offset:         136
        .size:           8
        .value_kind:     hidden_global_offset_x
      - .offset:         144
        .size:           8
        .value_kind:     hidden_global_offset_y
      - .offset:         152
        .size:           8
        .value_kind:     hidden_global_offset_z
      - .offset:         160
        .size:           2
        .value_kind:     hidden_grid_dims
      - .offset:         176
        .size:           8
        .value_kind:     hidden_hostcall_buffer
    .group_segment_fixed_size: 0
    .kernarg_segment_align: 8
    .kernarg_segment_size: 352
    .language:       OpenCL C
    .language_version:
      - 2
      - 0
    .max_flat_workgroup_size: 128
    .name:           _ZL9mul_mat_fIfLi32ELi11ELi4ELb1EEvPKT_PKfPKiPfiiiiiiiiiiiiiiii
    .private_segment_fixed_size: 16
    .sgpr_count:     36
    .sgpr_spill_count: 0
    .symbol:         _ZL9mul_mat_fIfLi32ELi11ELi4ELb1EEvPKT_PKfPKiPfiiiiiiiiiiiiiiii.kd
    .uniform_work_group_size: 1
    .uses_dynamic_stack: false
    .vgpr_count:     38
    .vgpr_spill_count: 0
    .wavefront_size: 32
    .workgroup_processor_mode: 1
  - .args:
      - .actual_access:  read_only
        .address_space:  global
        .offset:         0
        .size:           8
        .value_kind:     global_buffer
      - .actual_access:  read_only
        .address_space:  global
        .offset:         8
        .size:           8
        .value_kind:     global_buffer
      - .actual_access:  read_only
        .address_space:  global
        .offset:         16
        .size:           8
        .value_kind:     global_buffer
      - .actual_access:  read_only
        .address_space:  global
        .offset:         24
        .size:           8
        .value_kind:     global_buffer
      - .offset:         32
        .size:           4
        .value_kind:     by_value
      - .offset:         36
        .size:           4
        .value_kind:     by_value
      - .offset:         40
        .size:           4
        .value_kind:     by_value
      - .offset:         44
        .size:           4
        .value_kind:     by_value
      - .offset:         48
        .size:           4
        .value_kind:     by_value
      - .offset:         52
        .size:           4
        .value_kind:     by_value
      - .offset:         56
        .size:           4
        .value_kind:     by_value
      - .offset:         60
        .size:           4
        .value_kind:     by_value
      - .offset:         64
        .size:           4
        .value_kind:     by_value
      - .offset:         68
        .size:           4
        .value_kind:     by_value
      - .offset:         72
        .size:           4
        .value_kind:     by_value
      - .offset:         76
        .size:           4
        .value_kind:     by_value
      - .offset:         80
        .size:           4
        .value_kind:     by_value
      - .offset:         84
        .size:           4
        .value_kind:     by_value
      - .offset:         88
        .size:           4
        .value_kind:     by_value
      - .offset:         92
        .size:           4
        .value_kind:     by_value
      - .offset:         96
        .size:           4
        .value_kind:     hidden_block_count_x
      - .offset:         100
        .size:           4
        .value_kind:     hidden_block_count_y
      - .offset:         104
        .size:           4
        .value_kind:     hidden_block_count_z
      - .offset:         108
        .size:           2
        .value_kind:     hidden_group_size_x
      - .offset:         110
        .size:           2
        .value_kind:     hidden_group_size_y
      - .offset:         112
        .size:           2
        .value_kind:     hidden_group_size_z
      - .offset:         114
        .size:           2
        .value_kind:     hidden_remainder_x
      - .offset:         116
        .size:           2
        .value_kind:     hidden_remainder_y
      - .offset:         118
        .size:           2
        .value_kind:     hidden_remainder_z
      - .offset:         136
        .size:           8
        .value_kind:     hidden_global_offset_x
      - .offset:         144
        .size:           8
        .value_kind:     hidden_global_offset_y
      - .offset:         152
        .size:           8
        .value_kind:     hidden_global_offset_z
      - .offset:         160
        .size:           2
        .value_kind:     hidden_grid_dims
      - .offset:         176
        .size:           8
        .value_kind:     hidden_hostcall_buffer
    .group_segment_fixed_size: 0
    .kernarg_segment_align: 8
    .kernarg_segment_size: 352
    .language:       OpenCL C
    .language_version:
      - 2
      - 0
    .max_flat_workgroup_size: 128
    .name:           _ZL9mul_mat_fIfLi32ELi11ELi4ELb0EEvPKT_PKfPKiPfiiiiiiiiiiiiiiii
    .private_segment_fixed_size: 16
    .sgpr_count:     36
    .sgpr_spill_count: 0
    .symbol:         _ZL9mul_mat_fIfLi32ELi11ELi4ELb0EEvPKT_PKfPKiPfiiiiiiiiiiiiiiii.kd
    .uniform_work_group_size: 1
    .uses_dynamic_stack: false
    .vgpr_count:     38
    .vgpr_spill_count: 0
    .wavefront_size: 32
    .workgroup_processor_mode: 1
  - .args:
      - .actual_access:  read_only
        .address_space:  global
        .offset:         0
        .size:           8
        .value_kind:     global_buffer
      - .actual_access:  read_only
        .address_space:  global
        .offset:         8
        .size:           8
        .value_kind:     global_buffer
      - .actual_access:  read_only
        .address_space:  global
        .offset:         16
        .size:           8
        .value_kind:     global_buffer
      - .actual_access:  read_only
        .address_space:  global
        .offset:         24
        .size:           8
        .value_kind:     global_buffer
      - .actual_access:  read_only
        .address_space:  global
        .offset:         32
        .size:           8
        .value_kind:     global_buffer
      - .actual_access:  read_only
        .address_space:  global
        .offset:         40
        .size:           8
        .value_kind:     global_buffer
      - .offset:         48
        .size:           4
        .value_kind:     by_value
      - .offset:         52
        .size:           4
        .value_kind:     by_value
      - .offset:         56
        .size:           4
        .value_kind:     by_value
      - .offset:         60
        .size:           4
        .value_kind:     by_value
      - .offset:         64
        .size:           4
        .value_kind:     by_value
      - .offset:         68
        .size:           4
        .value_kind:     by_value
      - .offset:         72
        .size:           4
        .value_kind:     by_value
      - .offset:         76
        .size:           4
        .value_kind:     by_value
      - .offset:         80
        .size:           4
        .value_kind:     by_value
      - .offset:         84
        .size:           4
        .value_kind:     by_value
      - .offset:         88
        .size:           4
        .value_kind:     by_value
      - .offset:         92
        .size:           4
        .value_kind:     by_value
      - .offset:         96
        .size:           4
        .value_kind:     by_value
      - .offset:         100
        .size:           4
        .value_kind:     by_value
      - .offset:         104
        .size:           12
        .value_kind:     by_value
      - .offset:         116
        .size:           12
        .value_kind:     by_value
      - .offset:         128
        .size:           4
        .value_kind:     hidden_block_count_x
      - .offset:         132
        .size:           4
        .value_kind:     hidden_block_count_y
      - .offset:         136
        .size:           4
        .value_kind:     hidden_block_count_z
      - .offset:         140
        .size:           2
        .value_kind:     hidden_group_size_x
      - .offset:         142
        .size:           2
        .value_kind:     hidden_group_size_y
      - .offset:         144
        .size:           2
        .value_kind:     hidden_group_size_z
      - .offset:         146
        .size:           2
        .value_kind:     hidden_remainder_x
      - .offset:         148
        .size:           2
        .value_kind:     hidden_remainder_y
      - .offset:         150
        .size:           2
        .value_kind:     hidden_remainder_z
      - .offset:         168
        .size:           8
        .value_kind:     hidden_global_offset_x
      - .offset:         176
        .size:           8
        .value_kind:     hidden_global_offset_y
      - .offset:         184
        .size:           8
        .value_kind:     hidden_global_offset_z
      - .offset:         192
        .size:           2
        .value_kind:     hidden_grid_dims
      - .offset:         208
        .size:           8
        .value_kind:     hidden_hostcall_buffer
    .group_segment_fixed_size: 0
    .kernarg_segment_align: 8
    .kernarg_segment_size: 384
    .language:       OpenCL C
    .language_version:
      - 2
      - 0
    .max_flat_workgroup_size: 160
    .name:           _ZL13mul_mat_f_idsIfLi32ELi11ELi5EEvPKT_PKfPKiS6_S6_Pfiiiiiiiiiiiiii15HIP_vector_typeIjLj3EES9_
    .private_segment_fixed_size: 16
    .sgpr_count:     36
    .sgpr_spill_count: 0
    .symbol:         _ZL13mul_mat_f_idsIfLi32ELi11ELi5EEvPKT_PKfPKiS6_S6_Pfiiiiiiiiiiiiii15HIP_vector_typeIjLj3EES9_.kd
    .uniform_work_group_size: 1
    .uses_dynamic_stack: false
    .vgpr_count:     38
    .vgpr_spill_count: 0
    .wavefront_size: 32
    .workgroup_processor_mode: 1
  - .args:
      - .actual_access:  read_only
        .address_space:  global
        .offset:         0
        .size:           8
        .value_kind:     global_buffer
      - .actual_access:  read_only
        .address_space:  global
        .offset:         8
        .size:           8
        .value_kind:     global_buffer
      - .actual_access:  read_only
        .address_space:  global
        .offset:         16
        .size:           8
        .value_kind:     global_buffer
      - .actual_access:  read_only
        .address_space:  global
        .offset:         24
        .size:           8
        .value_kind:     global_buffer
      - .offset:         32
        .size:           4
        .value_kind:     by_value
      - .offset:         36
        .size:           4
        .value_kind:     by_value
      - .offset:         40
        .size:           4
        .value_kind:     by_value
      - .offset:         44
        .size:           4
        .value_kind:     by_value
      - .offset:         48
        .size:           4
        .value_kind:     by_value
      - .offset:         52
        .size:           4
        .value_kind:     by_value
      - .offset:         56
        .size:           4
        .value_kind:     by_value
      - .offset:         60
        .size:           4
        .value_kind:     by_value
      - .offset:         64
        .size:           4
        .value_kind:     by_value
      - .offset:         68
        .size:           4
        .value_kind:     by_value
      - .offset:         72
        .size:           4
        .value_kind:     by_value
      - .offset:         76
        .size:           4
        .value_kind:     by_value
      - .offset:         80
        .size:           4
        .value_kind:     by_value
      - .offset:         84
        .size:           4
        .value_kind:     by_value
      - .offset:         88
        .size:           4
        .value_kind:     by_value
      - .offset:         92
        .size:           4
        .value_kind:     by_value
      - .offset:         96
        .size:           4
        .value_kind:     hidden_block_count_x
      - .offset:         100
        .size:           4
        .value_kind:     hidden_block_count_y
      - .offset:         104
        .size:           4
        .value_kind:     hidden_block_count_z
      - .offset:         108
        .size:           2
        .value_kind:     hidden_group_size_x
      - .offset:         110
        .size:           2
        .value_kind:     hidden_group_size_y
      - .offset:         112
        .size:           2
        .value_kind:     hidden_group_size_z
      - .offset:         114
        .size:           2
        .value_kind:     hidden_remainder_x
      - .offset:         116
        .size:           2
        .value_kind:     hidden_remainder_y
      - .offset:         118
        .size:           2
        .value_kind:     hidden_remainder_z
      - .offset:         136
        .size:           8
        .value_kind:     hidden_global_offset_x
      - .offset:         144
        .size:           8
        .value_kind:     hidden_global_offset_y
      - .offset:         152
        .size:           8
        .value_kind:     hidden_global_offset_z
      - .offset:         160
        .size:           2
        .value_kind:     hidden_grid_dims
      - .offset:         176
        .size:           8
        .value_kind:     hidden_hostcall_buffer
    .group_segment_fixed_size: 0
    .kernarg_segment_align: 8
    .kernarg_segment_size: 352
    .language:       OpenCL C
    .language_version:
      - 2
      - 0
    .max_flat_workgroup_size: 160
    .name:           _ZL9mul_mat_fIfLi32ELi11ELi5ELb1EEvPKT_PKfPKiPfiiiiiiiiiiiiiiii
    .private_segment_fixed_size: 16
    .sgpr_count:     36
    .sgpr_spill_count: 0
    .symbol:         _ZL9mul_mat_fIfLi32ELi11ELi5ELb1EEvPKT_PKfPKiPfiiiiiiiiiiiiiiii.kd
    .uniform_work_group_size: 1
    .uses_dynamic_stack: false
    .vgpr_count:     38
    .vgpr_spill_count: 0
    .wavefront_size: 32
    .workgroup_processor_mode: 1
  - .args:
      - .actual_access:  read_only
        .address_space:  global
        .offset:         0
        .size:           8
        .value_kind:     global_buffer
      - .actual_access:  read_only
        .address_space:  global
        .offset:         8
        .size:           8
        .value_kind:     global_buffer
      - .actual_access:  read_only
        .address_space:  global
        .offset:         16
        .size:           8
        .value_kind:     global_buffer
      - .actual_access:  read_only
        .address_space:  global
        .offset:         24
        .size:           8
        .value_kind:     global_buffer
      - .offset:         32
        .size:           4
        .value_kind:     by_value
      - .offset:         36
        .size:           4
        .value_kind:     by_value
      - .offset:         40
        .size:           4
        .value_kind:     by_value
      - .offset:         44
        .size:           4
        .value_kind:     by_value
      - .offset:         48
        .size:           4
        .value_kind:     by_value
      - .offset:         52
        .size:           4
        .value_kind:     by_value
      - .offset:         56
        .size:           4
        .value_kind:     by_value
      - .offset:         60
        .size:           4
        .value_kind:     by_value
      - .offset:         64
        .size:           4
        .value_kind:     by_value
      - .offset:         68
        .size:           4
        .value_kind:     by_value
      - .offset:         72
        .size:           4
        .value_kind:     by_value
      - .offset:         76
        .size:           4
        .value_kind:     by_value
      - .offset:         80
        .size:           4
        .value_kind:     by_value
      - .offset:         84
        .size:           4
        .value_kind:     by_value
      - .offset:         88
        .size:           4
        .value_kind:     by_value
      - .offset:         92
        .size:           4
        .value_kind:     by_value
      - .offset:         96
        .size:           4
        .value_kind:     hidden_block_count_x
      - .offset:         100
        .size:           4
        .value_kind:     hidden_block_count_y
      - .offset:         104
        .size:           4
        .value_kind:     hidden_block_count_z
      - .offset:         108
        .size:           2
        .value_kind:     hidden_group_size_x
      - .offset:         110
        .size:           2
        .value_kind:     hidden_group_size_y
      - .offset:         112
        .size:           2
        .value_kind:     hidden_group_size_z
      - .offset:         114
        .size:           2
        .value_kind:     hidden_remainder_x
      - .offset:         116
        .size:           2
        .value_kind:     hidden_remainder_y
      - .offset:         118
        .size:           2
        .value_kind:     hidden_remainder_z
      - .offset:         136
        .size:           8
        .value_kind:     hidden_global_offset_x
      - .offset:         144
        .size:           8
        .value_kind:     hidden_global_offset_y
      - .offset:         152
        .size:           8
        .value_kind:     hidden_global_offset_z
      - .offset:         160
        .size:           2
        .value_kind:     hidden_grid_dims
      - .offset:         176
        .size:           8
        .value_kind:     hidden_hostcall_buffer
    .group_segment_fixed_size: 0
    .kernarg_segment_align: 8
    .kernarg_segment_size: 352
    .language:       OpenCL C
    .language_version:
      - 2
      - 0
    .max_flat_workgroup_size: 160
    .name:           _ZL9mul_mat_fIfLi32ELi11ELi5ELb0EEvPKT_PKfPKiPfiiiiiiiiiiiiiiii
    .private_segment_fixed_size: 16
    .sgpr_count:     36
    .sgpr_spill_count: 0
    .symbol:         _ZL9mul_mat_fIfLi32ELi11ELi5ELb0EEvPKT_PKfPKiPfiiiiiiiiiiiiiiii.kd
    .uniform_work_group_size: 1
    .uses_dynamic_stack: false
    .vgpr_count:     38
    .vgpr_spill_count: 0
    .wavefront_size: 32
    .workgroup_processor_mode: 1
  - .args:
      - .actual_access:  read_only
        .address_space:  global
        .offset:         0
        .size:           8
        .value_kind:     global_buffer
      - .actual_access:  read_only
        .address_space:  global
        .offset:         8
        .size:           8
        .value_kind:     global_buffer
      - .actual_access:  read_only
        .address_space:  global
        .offset:         16
        .size:           8
        .value_kind:     global_buffer
      - .actual_access:  read_only
        .address_space:  global
        .offset:         24
        .size:           8
        .value_kind:     global_buffer
      - .actual_access:  read_only
        .address_space:  global
        .offset:         32
        .size:           8
        .value_kind:     global_buffer
      - .actual_access:  read_only
        .address_space:  global
        .offset:         40
        .size:           8
        .value_kind:     global_buffer
      - .offset:         48
        .size:           4
        .value_kind:     by_value
      - .offset:         52
        .size:           4
        .value_kind:     by_value
      - .offset:         56
        .size:           4
        .value_kind:     by_value
      - .offset:         60
        .size:           4
        .value_kind:     by_value
      - .offset:         64
        .size:           4
        .value_kind:     by_value
      - .offset:         68
        .size:           4
        .value_kind:     by_value
      - .offset:         72
        .size:           4
        .value_kind:     by_value
      - .offset:         76
        .size:           4
        .value_kind:     by_value
      - .offset:         80
        .size:           4
        .value_kind:     by_value
      - .offset:         84
        .size:           4
        .value_kind:     by_value
      - .offset:         88
        .size:           4
        .value_kind:     by_value
      - .offset:         92
        .size:           4
        .value_kind:     by_value
      - .offset:         96
        .size:           4
        .value_kind:     by_value
      - .offset:         100
        .size:           4
        .value_kind:     by_value
      - .offset:         104
        .size:           12
        .value_kind:     by_value
      - .offset:         116
        .size:           12
        .value_kind:     by_value
      - .offset:         128
        .size:           4
        .value_kind:     hidden_block_count_x
      - .offset:         132
        .size:           4
        .value_kind:     hidden_block_count_y
      - .offset:         136
        .size:           4
        .value_kind:     hidden_block_count_z
      - .offset:         140
        .size:           2
        .value_kind:     hidden_group_size_x
      - .offset:         142
        .size:           2
        .value_kind:     hidden_group_size_y
      - .offset:         144
        .size:           2
        .value_kind:     hidden_group_size_z
      - .offset:         146
        .size:           2
        .value_kind:     hidden_remainder_x
      - .offset:         148
        .size:           2
        .value_kind:     hidden_remainder_y
      - .offset:         150
        .size:           2
        .value_kind:     hidden_remainder_z
      - .offset:         168
        .size:           8
        .value_kind:     hidden_global_offset_x
      - .offset:         176
        .size:           8
        .value_kind:     hidden_global_offset_y
      - .offset:         184
        .size:           8
        .value_kind:     hidden_global_offset_z
      - .offset:         192
        .size:           2
        .value_kind:     hidden_grid_dims
      - .offset:         208
        .size:           8
        .value_kind:     hidden_hostcall_buffer
    .group_segment_fixed_size: 0
    .kernarg_segment_align: 8
    .kernarg_segment_size: 384
    .language:       OpenCL C
    .language_version:
      - 2
      - 0
    .max_flat_workgroup_size: 192
    .name:           _ZL13mul_mat_f_idsIfLi32ELi11ELi6EEvPKT_PKfPKiS6_S6_Pfiiiiiiiiiiiiii15HIP_vector_typeIjLj3EES9_
    .private_segment_fixed_size: 16
    .sgpr_count:     36
    .sgpr_spill_count: 0
    .symbol:         _ZL13mul_mat_f_idsIfLi32ELi11ELi6EEvPKT_PKfPKiS6_S6_Pfiiiiiiiiiiiiii15HIP_vector_typeIjLj3EES9_.kd
    .uniform_work_group_size: 1
    .uses_dynamic_stack: false
    .vgpr_count:     38
    .vgpr_spill_count: 0
    .wavefront_size: 32
    .workgroup_processor_mode: 1
  - .args:
      - .actual_access:  read_only
        .address_space:  global
        .offset:         0
        .size:           8
        .value_kind:     global_buffer
      - .actual_access:  read_only
        .address_space:  global
        .offset:         8
        .size:           8
        .value_kind:     global_buffer
      - .actual_access:  read_only
        .address_space:  global
        .offset:         16
        .size:           8
        .value_kind:     global_buffer
      - .actual_access:  read_only
        .address_space:  global
        .offset:         24
        .size:           8
        .value_kind:     global_buffer
      - .offset:         32
        .size:           4
        .value_kind:     by_value
      - .offset:         36
        .size:           4
        .value_kind:     by_value
      - .offset:         40
        .size:           4
        .value_kind:     by_value
      - .offset:         44
        .size:           4
        .value_kind:     by_value
      - .offset:         48
        .size:           4
        .value_kind:     by_value
      - .offset:         52
        .size:           4
        .value_kind:     by_value
      - .offset:         56
        .size:           4
        .value_kind:     by_value
      - .offset:         60
        .size:           4
        .value_kind:     by_value
      - .offset:         64
        .size:           4
        .value_kind:     by_value
      - .offset:         68
        .size:           4
        .value_kind:     by_value
      - .offset:         72
        .size:           4
        .value_kind:     by_value
      - .offset:         76
        .size:           4
        .value_kind:     by_value
      - .offset:         80
        .size:           4
        .value_kind:     by_value
      - .offset:         84
        .size:           4
        .value_kind:     by_value
      - .offset:         88
        .size:           4
        .value_kind:     by_value
      - .offset:         92
        .size:           4
        .value_kind:     by_value
      - .offset:         96
        .size:           4
        .value_kind:     hidden_block_count_x
      - .offset:         100
        .size:           4
        .value_kind:     hidden_block_count_y
      - .offset:         104
        .size:           4
        .value_kind:     hidden_block_count_z
      - .offset:         108
        .size:           2
        .value_kind:     hidden_group_size_x
      - .offset:         110
        .size:           2
        .value_kind:     hidden_group_size_y
      - .offset:         112
        .size:           2
        .value_kind:     hidden_group_size_z
      - .offset:         114
        .size:           2
        .value_kind:     hidden_remainder_x
      - .offset:         116
        .size:           2
        .value_kind:     hidden_remainder_y
      - .offset:         118
        .size:           2
        .value_kind:     hidden_remainder_z
      - .offset:         136
        .size:           8
        .value_kind:     hidden_global_offset_x
      - .offset:         144
        .size:           8
        .value_kind:     hidden_global_offset_y
      - .offset:         152
        .size:           8
        .value_kind:     hidden_global_offset_z
      - .offset:         160
        .size:           2
        .value_kind:     hidden_grid_dims
      - .offset:         176
        .size:           8
        .value_kind:     hidden_hostcall_buffer
    .group_segment_fixed_size: 0
    .kernarg_segment_align: 8
    .kernarg_segment_size: 352
    .language:       OpenCL C
    .language_version:
      - 2
      - 0
    .max_flat_workgroup_size: 192
    .name:           _ZL9mul_mat_fIfLi32ELi11ELi6ELb1EEvPKT_PKfPKiPfiiiiiiiiiiiiiiii
    .private_segment_fixed_size: 16
    .sgpr_count:     36
    .sgpr_spill_count: 0
    .symbol:         _ZL9mul_mat_fIfLi32ELi11ELi6ELb1EEvPKT_PKfPKiPfiiiiiiiiiiiiiiii.kd
    .uniform_work_group_size: 1
    .uses_dynamic_stack: false
    .vgpr_count:     38
    .vgpr_spill_count: 0
    .wavefront_size: 32
    .workgroup_processor_mode: 1
  - .args:
      - .actual_access:  read_only
        .address_space:  global
        .offset:         0
        .size:           8
        .value_kind:     global_buffer
      - .actual_access:  read_only
        .address_space:  global
        .offset:         8
        .size:           8
        .value_kind:     global_buffer
      - .actual_access:  read_only
        .address_space:  global
        .offset:         16
        .size:           8
        .value_kind:     global_buffer
      - .actual_access:  read_only
        .address_space:  global
        .offset:         24
        .size:           8
        .value_kind:     global_buffer
      - .offset:         32
        .size:           4
        .value_kind:     by_value
      - .offset:         36
        .size:           4
        .value_kind:     by_value
      - .offset:         40
        .size:           4
        .value_kind:     by_value
      - .offset:         44
        .size:           4
        .value_kind:     by_value
      - .offset:         48
        .size:           4
        .value_kind:     by_value
      - .offset:         52
        .size:           4
        .value_kind:     by_value
      - .offset:         56
        .size:           4
        .value_kind:     by_value
      - .offset:         60
        .size:           4
        .value_kind:     by_value
      - .offset:         64
        .size:           4
        .value_kind:     by_value
      - .offset:         68
        .size:           4
        .value_kind:     by_value
      - .offset:         72
        .size:           4
        .value_kind:     by_value
      - .offset:         76
        .size:           4
        .value_kind:     by_value
      - .offset:         80
        .size:           4
        .value_kind:     by_value
      - .offset:         84
        .size:           4
        .value_kind:     by_value
      - .offset:         88
        .size:           4
        .value_kind:     by_value
      - .offset:         92
        .size:           4
        .value_kind:     by_value
      - .offset:         96
        .size:           4
        .value_kind:     hidden_block_count_x
      - .offset:         100
        .size:           4
        .value_kind:     hidden_block_count_y
      - .offset:         104
        .size:           4
        .value_kind:     hidden_block_count_z
      - .offset:         108
        .size:           2
        .value_kind:     hidden_group_size_x
      - .offset:         110
        .size:           2
        .value_kind:     hidden_group_size_y
      - .offset:         112
        .size:           2
        .value_kind:     hidden_group_size_z
      - .offset:         114
        .size:           2
        .value_kind:     hidden_remainder_x
      - .offset:         116
        .size:           2
        .value_kind:     hidden_remainder_y
      - .offset:         118
        .size:           2
        .value_kind:     hidden_remainder_z
      - .offset:         136
        .size:           8
        .value_kind:     hidden_global_offset_x
      - .offset:         144
        .size:           8
        .value_kind:     hidden_global_offset_y
      - .offset:         152
        .size:           8
        .value_kind:     hidden_global_offset_z
      - .offset:         160
        .size:           2
        .value_kind:     hidden_grid_dims
      - .offset:         176
        .size:           8
        .value_kind:     hidden_hostcall_buffer
    .group_segment_fixed_size: 0
    .kernarg_segment_align: 8
    .kernarg_segment_size: 352
    .language:       OpenCL C
    .language_version:
      - 2
      - 0
    .max_flat_workgroup_size: 192
    .name:           _ZL9mul_mat_fIfLi32ELi11ELi6ELb0EEvPKT_PKfPKiPfiiiiiiiiiiiiiiii
    .private_segment_fixed_size: 16
    .sgpr_count:     36
    .sgpr_spill_count: 0
    .symbol:         _ZL9mul_mat_fIfLi32ELi11ELi6ELb0EEvPKT_PKfPKiPfiiiiiiiiiiiiiiii.kd
    .uniform_work_group_size: 1
    .uses_dynamic_stack: false
    .vgpr_count:     38
    .vgpr_spill_count: 0
    .wavefront_size: 32
    .workgroup_processor_mode: 1
  - .args:
      - .actual_access:  read_only
        .address_space:  global
        .offset:         0
        .size:           8
        .value_kind:     global_buffer
      - .actual_access:  read_only
        .address_space:  global
        .offset:         8
        .size:           8
        .value_kind:     global_buffer
      - .actual_access:  read_only
        .address_space:  global
        .offset:         16
        .size:           8
        .value_kind:     global_buffer
      - .actual_access:  read_only
        .address_space:  global
        .offset:         24
        .size:           8
        .value_kind:     global_buffer
      - .actual_access:  read_only
        .address_space:  global
        .offset:         32
        .size:           8
        .value_kind:     global_buffer
      - .actual_access:  read_only
        .address_space:  global
        .offset:         40
        .size:           8
        .value_kind:     global_buffer
      - .offset:         48
        .size:           4
        .value_kind:     by_value
      - .offset:         52
        .size:           4
        .value_kind:     by_value
      - .offset:         56
        .size:           4
        .value_kind:     by_value
      - .offset:         60
        .size:           4
        .value_kind:     by_value
      - .offset:         64
        .size:           4
        .value_kind:     by_value
      - .offset:         68
        .size:           4
        .value_kind:     by_value
      - .offset:         72
        .size:           4
        .value_kind:     by_value
      - .offset:         76
        .size:           4
        .value_kind:     by_value
      - .offset:         80
        .size:           4
        .value_kind:     by_value
      - .offset:         84
        .size:           4
        .value_kind:     by_value
      - .offset:         88
        .size:           4
        .value_kind:     by_value
      - .offset:         92
        .size:           4
        .value_kind:     by_value
      - .offset:         96
        .size:           4
        .value_kind:     by_value
      - .offset:         100
        .size:           4
        .value_kind:     by_value
      - .offset:         104
        .size:           12
        .value_kind:     by_value
      - .offset:         116
        .size:           12
        .value_kind:     by_value
      - .offset:         128
        .size:           4
        .value_kind:     hidden_block_count_x
      - .offset:         132
        .size:           4
        .value_kind:     hidden_block_count_y
      - .offset:         136
        .size:           4
        .value_kind:     hidden_block_count_z
      - .offset:         140
        .size:           2
        .value_kind:     hidden_group_size_x
      - .offset:         142
        .size:           2
        .value_kind:     hidden_group_size_y
      - .offset:         144
        .size:           2
        .value_kind:     hidden_group_size_z
      - .offset:         146
        .size:           2
        .value_kind:     hidden_remainder_x
      - .offset:         148
        .size:           2
        .value_kind:     hidden_remainder_y
      - .offset:         150
        .size:           2
        .value_kind:     hidden_remainder_z
      - .offset:         168
        .size:           8
        .value_kind:     hidden_global_offset_x
      - .offset:         176
        .size:           8
        .value_kind:     hidden_global_offset_y
      - .offset:         184
        .size:           8
        .value_kind:     hidden_global_offset_z
      - .offset:         192
        .size:           2
        .value_kind:     hidden_grid_dims
      - .offset:         208
        .size:           8
        .value_kind:     hidden_hostcall_buffer
    .group_segment_fixed_size: 0
    .kernarg_segment_align: 8
    .kernarg_segment_size: 384
    .language:       OpenCL C
    .language_version:
      - 2
      - 0
    .max_flat_workgroup_size: 224
    .name:           _ZL13mul_mat_f_idsIfLi32ELi11ELi7EEvPKT_PKfPKiS6_S6_Pfiiiiiiiiiiiiii15HIP_vector_typeIjLj3EES9_
    .private_segment_fixed_size: 16
    .sgpr_count:     36
    .sgpr_spill_count: 0
    .symbol:         _ZL13mul_mat_f_idsIfLi32ELi11ELi7EEvPKT_PKfPKiS6_S6_Pfiiiiiiiiiiiiii15HIP_vector_typeIjLj3EES9_.kd
    .uniform_work_group_size: 1
    .uses_dynamic_stack: false
    .vgpr_count:     38
    .vgpr_spill_count: 0
    .wavefront_size: 32
    .workgroup_processor_mode: 1
  - .args:
      - .actual_access:  read_only
        .address_space:  global
        .offset:         0
        .size:           8
        .value_kind:     global_buffer
      - .actual_access:  read_only
        .address_space:  global
        .offset:         8
        .size:           8
        .value_kind:     global_buffer
      - .actual_access:  read_only
        .address_space:  global
        .offset:         16
        .size:           8
        .value_kind:     global_buffer
      - .actual_access:  read_only
        .address_space:  global
        .offset:         24
        .size:           8
        .value_kind:     global_buffer
      - .offset:         32
        .size:           4
        .value_kind:     by_value
      - .offset:         36
        .size:           4
        .value_kind:     by_value
      - .offset:         40
        .size:           4
        .value_kind:     by_value
      - .offset:         44
        .size:           4
        .value_kind:     by_value
      - .offset:         48
        .size:           4
        .value_kind:     by_value
      - .offset:         52
        .size:           4
        .value_kind:     by_value
      - .offset:         56
        .size:           4
        .value_kind:     by_value
      - .offset:         60
        .size:           4
        .value_kind:     by_value
      - .offset:         64
        .size:           4
        .value_kind:     by_value
      - .offset:         68
        .size:           4
        .value_kind:     by_value
      - .offset:         72
        .size:           4
        .value_kind:     by_value
      - .offset:         76
        .size:           4
        .value_kind:     by_value
      - .offset:         80
        .size:           4
        .value_kind:     by_value
      - .offset:         84
        .size:           4
        .value_kind:     by_value
      - .offset:         88
        .size:           4
        .value_kind:     by_value
      - .offset:         92
        .size:           4
        .value_kind:     by_value
      - .offset:         96
        .size:           4
        .value_kind:     hidden_block_count_x
      - .offset:         100
        .size:           4
        .value_kind:     hidden_block_count_y
      - .offset:         104
        .size:           4
        .value_kind:     hidden_block_count_z
      - .offset:         108
        .size:           2
        .value_kind:     hidden_group_size_x
      - .offset:         110
        .size:           2
        .value_kind:     hidden_group_size_y
      - .offset:         112
        .size:           2
        .value_kind:     hidden_group_size_z
      - .offset:         114
        .size:           2
        .value_kind:     hidden_remainder_x
      - .offset:         116
        .size:           2
        .value_kind:     hidden_remainder_y
      - .offset:         118
        .size:           2
        .value_kind:     hidden_remainder_z
      - .offset:         136
        .size:           8
        .value_kind:     hidden_global_offset_x
      - .offset:         144
        .size:           8
        .value_kind:     hidden_global_offset_y
      - .offset:         152
        .size:           8
        .value_kind:     hidden_global_offset_z
      - .offset:         160
        .size:           2
        .value_kind:     hidden_grid_dims
      - .offset:         176
        .size:           8
        .value_kind:     hidden_hostcall_buffer
    .group_segment_fixed_size: 0
    .kernarg_segment_align: 8
    .kernarg_segment_size: 352
    .language:       OpenCL C
    .language_version:
      - 2
      - 0
    .max_flat_workgroup_size: 224
    .name:           _ZL9mul_mat_fIfLi32ELi11ELi7ELb1EEvPKT_PKfPKiPfiiiiiiiiiiiiiiii
    .private_segment_fixed_size: 16
    .sgpr_count:     36
    .sgpr_spill_count: 0
    .symbol:         _ZL9mul_mat_fIfLi32ELi11ELi7ELb1EEvPKT_PKfPKiPfiiiiiiiiiiiiiiii.kd
    .uniform_work_group_size: 1
    .uses_dynamic_stack: false
    .vgpr_count:     38
    .vgpr_spill_count: 0
    .wavefront_size: 32
    .workgroup_processor_mode: 1
  - .args:
      - .actual_access:  read_only
        .address_space:  global
        .offset:         0
        .size:           8
        .value_kind:     global_buffer
      - .actual_access:  read_only
        .address_space:  global
        .offset:         8
        .size:           8
        .value_kind:     global_buffer
      - .actual_access:  read_only
        .address_space:  global
        .offset:         16
        .size:           8
        .value_kind:     global_buffer
      - .actual_access:  read_only
        .address_space:  global
        .offset:         24
        .size:           8
        .value_kind:     global_buffer
      - .offset:         32
        .size:           4
        .value_kind:     by_value
      - .offset:         36
        .size:           4
        .value_kind:     by_value
      - .offset:         40
        .size:           4
        .value_kind:     by_value
      - .offset:         44
        .size:           4
        .value_kind:     by_value
      - .offset:         48
        .size:           4
        .value_kind:     by_value
      - .offset:         52
        .size:           4
        .value_kind:     by_value
      - .offset:         56
        .size:           4
        .value_kind:     by_value
      - .offset:         60
        .size:           4
        .value_kind:     by_value
      - .offset:         64
        .size:           4
        .value_kind:     by_value
      - .offset:         68
        .size:           4
        .value_kind:     by_value
      - .offset:         72
        .size:           4
        .value_kind:     by_value
      - .offset:         76
        .size:           4
        .value_kind:     by_value
      - .offset:         80
        .size:           4
        .value_kind:     by_value
      - .offset:         84
        .size:           4
        .value_kind:     by_value
      - .offset:         88
        .size:           4
        .value_kind:     by_value
      - .offset:         92
        .size:           4
        .value_kind:     by_value
      - .offset:         96
        .size:           4
        .value_kind:     hidden_block_count_x
      - .offset:         100
        .size:           4
        .value_kind:     hidden_block_count_y
      - .offset:         104
        .size:           4
        .value_kind:     hidden_block_count_z
      - .offset:         108
        .size:           2
        .value_kind:     hidden_group_size_x
      - .offset:         110
        .size:           2
        .value_kind:     hidden_group_size_y
      - .offset:         112
        .size:           2
        .value_kind:     hidden_group_size_z
      - .offset:         114
        .size:           2
        .value_kind:     hidden_remainder_x
      - .offset:         116
        .size:           2
        .value_kind:     hidden_remainder_y
      - .offset:         118
        .size:           2
        .value_kind:     hidden_remainder_z
      - .offset:         136
        .size:           8
        .value_kind:     hidden_global_offset_x
      - .offset:         144
        .size:           8
        .value_kind:     hidden_global_offset_y
      - .offset:         152
        .size:           8
        .value_kind:     hidden_global_offset_z
      - .offset:         160
        .size:           2
        .value_kind:     hidden_grid_dims
      - .offset:         176
        .size:           8
        .value_kind:     hidden_hostcall_buffer
    .group_segment_fixed_size: 0
    .kernarg_segment_align: 8
    .kernarg_segment_size: 352
    .language:       OpenCL C
    .language_version:
      - 2
      - 0
    .max_flat_workgroup_size: 224
    .name:           _ZL9mul_mat_fIfLi32ELi11ELi7ELb0EEvPKT_PKfPKiPfiiiiiiiiiiiiiiii
    .private_segment_fixed_size: 16
    .sgpr_count:     36
    .sgpr_spill_count: 0
    .symbol:         _ZL9mul_mat_fIfLi32ELi11ELi7ELb0EEvPKT_PKfPKiPfiiiiiiiiiiiiiiii.kd
    .uniform_work_group_size: 1
    .uses_dynamic_stack: false
    .vgpr_count:     38
    .vgpr_spill_count: 0
    .wavefront_size: 32
    .workgroup_processor_mode: 1
  - .args:
      - .actual_access:  read_only
        .address_space:  global
        .offset:         0
        .size:           8
        .value_kind:     global_buffer
      - .actual_access:  read_only
        .address_space:  global
        .offset:         8
        .size:           8
        .value_kind:     global_buffer
      - .actual_access:  read_only
        .address_space:  global
        .offset:         16
        .size:           8
        .value_kind:     global_buffer
      - .actual_access:  read_only
        .address_space:  global
        .offset:         24
        .size:           8
        .value_kind:     global_buffer
      - .actual_access:  read_only
        .address_space:  global
        .offset:         32
        .size:           8
        .value_kind:     global_buffer
      - .actual_access:  read_only
        .address_space:  global
        .offset:         40
        .size:           8
        .value_kind:     global_buffer
      - .offset:         48
        .size:           4
        .value_kind:     by_value
      - .offset:         52
        .size:           4
        .value_kind:     by_value
      - .offset:         56
        .size:           4
        .value_kind:     by_value
      - .offset:         60
        .size:           4
        .value_kind:     by_value
      - .offset:         64
        .size:           4
        .value_kind:     by_value
      - .offset:         68
        .size:           4
        .value_kind:     by_value
      - .offset:         72
        .size:           4
        .value_kind:     by_value
      - .offset:         76
        .size:           4
        .value_kind:     by_value
      - .offset:         80
        .size:           4
        .value_kind:     by_value
      - .offset:         84
        .size:           4
        .value_kind:     by_value
      - .offset:         88
        .size:           4
        .value_kind:     by_value
      - .offset:         92
        .size:           4
        .value_kind:     by_value
      - .offset:         96
        .size:           4
        .value_kind:     by_value
      - .offset:         100
        .size:           4
        .value_kind:     by_value
      - .offset:         104
        .size:           12
        .value_kind:     by_value
      - .offset:         116
        .size:           12
        .value_kind:     by_value
      - .offset:         128
        .size:           4
        .value_kind:     hidden_block_count_x
      - .offset:         132
        .size:           4
        .value_kind:     hidden_block_count_y
      - .offset:         136
        .size:           4
        .value_kind:     hidden_block_count_z
      - .offset:         140
        .size:           2
        .value_kind:     hidden_group_size_x
      - .offset:         142
        .size:           2
        .value_kind:     hidden_group_size_y
      - .offset:         144
        .size:           2
        .value_kind:     hidden_group_size_z
      - .offset:         146
        .size:           2
        .value_kind:     hidden_remainder_x
      - .offset:         148
        .size:           2
        .value_kind:     hidden_remainder_y
      - .offset:         150
        .size:           2
        .value_kind:     hidden_remainder_z
      - .offset:         168
        .size:           8
        .value_kind:     hidden_global_offset_x
      - .offset:         176
        .size:           8
        .value_kind:     hidden_global_offset_y
      - .offset:         184
        .size:           8
        .value_kind:     hidden_global_offset_z
      - .offset:         192
        .size:           2
        .value_kind:     hidden_grid_dims
      - .offset:         208
        .size:           8
        .value_kind:     hidden_hostcall_buffer
    .group_segment_fixed_size: 0
    .kernarg_segment_align: 8
    .kernarg_segment_size: 384
    .language:       OpenCL C
    .language_version:
      - 2
      - 0
    .max_flat_workgroup_size: 256
    .name:           _ZL13mul_mat_f_idsIfLi32ELi11ELi8EEvPKT_PKfPKiS6_S6_Pfiiiiiiiiiiiiii15HIP_vector_typeIjLj3EES9_
    .private_segment_fixed_size: 16
    .sgpr_count:     36
    .sgpr_spill_count: 0
    .symbol:         _ZL13mul_mat_f_idsIfLi32ELi11ELi8EEvPKT_PKfPKiS6_S6_Pfiiiiiiiiiiiiii15HIP_vector_typeIjLj3EES9_.kd
    .uniform_work_group_size: 1
    .uses_dynamic_stack: false
    .vgpr_count:     38
    .vgpr_spill_count: 0
    .wavefront_size: 32
    .workgroup_processor_mode: 1
  - .args:
      - .actual_access:  read_only
        .address_space:  global
        .offset:         0
        .size:           8
        .value_kind:     global_buffer
      - .actual_access:  read_only
        .address_space:  global
        .offset:         8
        .size:           8
        .value_kind:     global_buffer
      - .actual_access:  read_only
        .address_space:  global
        .offset:         16
        .size:           8
        .value_kind:     global_buffer
      - .actual_access:  read_only
        .address_space:  global
        .offset:         24
        .size:           8
        .value_kind:     global_buffer
      - .offset:         32
        .size:           4
        .value_kind:     by_value
      - .offset:         36
        .size:           4
        .value_kind:     by_value
      - .offset:         40
        .size:           4
        .value_kind:     by_value
      - .offset:         44
        .size:           4
        .value_kind:     by_value
      - .offset:         48
        .size:           4
        .value_kind:     by_value
      - .offset:         52
        .size:           4
        .value_kind:     by_value
      - .offset:         56
        .size:           4
        .value_kind:     by_value
      - .offset:         60
        .size:           4
        .value_kind:     by_value
      - .offset:         64
        .size:           4
        .value_kind:     by_value
      - .offset:         68
        .size:           4
        .value_kind:     by_value
      - .offset:         72
        .size:           4
        .value_kind:     by_value
      - .offset:         76
        .size:           4
        .value_kind:     by_value
      - .offset:         80
        .size:           4
        .value_kind:     by_value
      - .offset:         84
        .size:           4
        .value_kind:     by_value
      - .offset:         88
        .size:           4
        .value_kind:     by_value
      - .offset:         92
        .size:           4
        .value_kind:     by_value
      - .offset:         96
        .size:           4
        .value_kind:     hidden_block_count_x
      - .offset:         100
        .size:           4
        .value_kind:     hidden_block_count_y
      - .offset:         104
        .size:           4
        .value_kind:     hidden_block_count_z
      - .offset:         108
        .size:           2
        .value_kind:     hidden_group_size_x
      - .offset:         110
        .size:           2
        .value_kind:     hidden_group_size_y
      - .offset:         112
        .size:           2
        .value_kind:     hidden_group_size_z
      - .offset:         114
        .size:           2
        .value_kind:     hidden_remainder_x
      - .offset:         116
        .size:           2
        .value_kind:     hidden_remainder_y
      - .offset:         118
        .size:           2
        .value_kind:     hidden_remainder_z
      - .offset:         136
        .size:           8
        .value_kind:     hidden_global_offset_x
      - .offset:         144
        .size:           8
        .value_kind:     hidden_global_offset_y
      - .offset:         152
        .size:           8
        .value_kind:     hidden_global_offset_z
      - .offset:         160
        .size:           2
        .value_kind:     hidden_grid_dims
      - .offset:         176
        .size:           8
        .value_kind:     hidden_hostcall_buffer
    .group_segment_fixed_size: 0
    .kernarg_segment_align: 8
    .kernarg_segment_size: 352
    .language:       OpenCL C
    .language_version:
      - 2
      - 0
    .max_flat_workgroup_size: 256
    .name:           _ZL9mul_mat_fIfLi32ELi11ELi8ELb1EEvPKT_PKfPKiPfiiiiiiiiiiiiiiii
    .private_segment_fixed_size: 16
    .sgpr_count:     36
    .sgpr_spill_count: 0
    .symbol:         _ZL9mul_mat_fIfLi32ELi11ELi8ELb1EEvPKT_PKfPKiPfiiiiiiiiiiiiiiii.kd
    .uniform_work_group_size: 1
    .uses_dynamic_stack: false
    .vgpr_count:     38
    .vgpr_spill_count: 0
    .wavefront_size: 32
    .workgroup_processor_mode: 1
  - .args:
      - .actual_access:  read_only
        .address_space:  global
        .offset:         0
        .size:           8
        .value_kind:     global_buffer
      - .actual_access:  read_only
        .address_space:  global
        .offset:         8
        .size:           8
        .value_kind:     global_buffer
      - .actual_access:  read_only
        .address_space:  global
        .offset:         16
        .size:           8
        .value_kind:     global_buffer
      - .actual_access:  read_only
        .address_space:  global
        .offset:         24
        .size:           8
        .value_kind:     global_buffer
      - .offset:         32
        .size:           4
        .value_kind:     by_value
      - .offset:         36
        .size:           4
        .value_kind:     by_value
      - .offset:         40
        .size:           4
        .value_kind:     by_value
      - .offset:         44
        .size:           4
        .value_kind:     by_value
      - .offset:         48
        .size:           4
        .value_kind:     by_value
      - .offset:         52
        .size:           4
        .value_kind:     by_value
      - .offset:         56
        .size:           4
        .value_kind:     by_value
      - .offset:         60
        .size:           4
        .value_kind:     by_value
      - .offset:         64
        .size:           4
        .value_kind:     by_value
      - .offset:         68
        .size:           4
        .value_kind:     by_value
      - .offset:         72
        .size:           4
        .value_kind:     by_value
      - .offset:         76
        .size:           4
        .value_kind:     by_value
      - .offset:         80
        .size:           4
        .value_kind:     by_value
      - .offset:         84
        .size:           4
        .value_kind:     by_value
      - .offset:         88
        .size:           4
        .value_kind:     by_value
      - .offset:         92
        .size:           4
        .value_kind:     by_value
      - .offset:         96
        .size:           4
        .value_kind:     hidden_block_count_x
      - .offset:         100
        .size:           4
        .value_kind:     hidden_block_count_y
      - .offset:         104
        .size:           4
        .value_kind:     hidden_block_count_z
      - .offset:         108
        .size:           2
        .value_kind:     hidden_group_size_x
      - .offset:         110
        .size:           2
        .value_kind:     hidden_group_size_y
      - .offset:         112
        .size:           2
        .value_kind:     hidden_group_size_z
      - .offset:         114
        .size:           2
        .value_kind:     hidden_remainder_x
      - .offset:         116
        .size:           2
        .value_kind:     hidden_remainder_y
      - .offset:         118
        .size:           2
        .value_kind:     hidden_remainder_z
      - .offset:         136
        .size:           8
        .value_kind:     hidden_global_offset_x
      - .offset:         144
        .size:           8
        .value_kind:     hidden_global_offset_y
      - .offset:         152
        .size:           8
        .value_kind:     hidden_global_offset_z
      - .offset:         160
        .size:           2
        .value_kind:     hidden_grid_dims
      - .offset:         176
        .size:           8
        .value_kind:     hidden_hostcall_buffer
    .group_segment_fixed_size: 0
    .kernarg_segment_align: 8
    .kernarg_segment_size: 352
    .language:       OpenCL C
    .language_version:
      - 2
      - 0
    .max_flat_workgroup_size: 256
    .name:           _ZL9mul_mat_fIfLi32ELi11ELi8ELb0EEvPKT_PKfPKiPfiiiiiiiiiiiiiiii
    .private_segment_fixed_size: 16
    .sgpr_count:     36
    .sgpr_spill_count: 0
    .symbol:         _ZL9mul_mat_fIfLi32ELi11ELi8ELb0EEvPKT_PKfPKiPfiiiiiiiiiiiiiiii.kd
    .uniform_work_group_size: 1
    .uses_dynamic_stack: false
    .vgpr_count:     38
    .vgpr_spill_count: 0
    .wavefront_size: 32
    .workgroup_processor_mode: 1
  - .args:
      - .actual_access:  read_only
        .address_space:  global
        .offset:         0
        .size:           8
        .value_kind:     global_buffer
      - .actual_access:  read_only
        .address_space:  global
        .offset:         8
        .size:           8
        .value_kind:     global_buffer
      - .actual_access:  read_only
        .address_space:  global
        .offset:         16
        .size:           8
        .value_kind:     global_buffer
      - .actual_access:  read_only
        .address_space:  global
        .offset:         24
        .size:           8
        .value_kind:     global_buffer
      - .actual_access:  read_only
        .address_space:  global
        .offset:         32
        .size:           8
        .value_kind:     global_buffer
      - .actual_access:  write_only
        .address_space:  global
        .offset:         40
        .size:           8
        .value_kind:     global_buffer
      - .offset:         48
        .size:           4
        .value_kind:     by_value
      - .offset:         52
        .size:           4
        .value_kind:     by_value
      - .offset:         56
        .size:           4
        .value_kind:     by_value
      - .offset:         60
        .size:           4
        .value_kind:     by_value
      - .offset:         64
        .size:           4
        .value_kind:     by_value
      - .offset:         68
        .size:           4
        .value_kind:     by_value
      - .offset:         72
        .size:           4
        .value_kind:     by_value
      - .offset:         76
        .size:           4
        .value_kind:     by_value
      - .offset:         80
        .size:           4
        .value_kind:     by_value
      - .offset:         84
        .size:           4
        .value_kind:     by_value
      - .offset:         88
        .size:           4
        .value_kind:     by_value
      - .offset:         92
        .size:           4
        .value_kind:     by_value
      - .offset:         96
        .size:           4
        .value_kind:     by_value
      - .offset:         100
        .size:           4
        .value_kind:     by_value
      - .offset:         104
        .size:           12
        .value_kind:     by_value
      - .offset:         116
        .size:           12
        .value_kind:     by_value
    .group_segment_fixed_size: 0
    .kernarg_segment_align: 8
    .kernarg_segment_size: 128
    .language:       OpenCL C
    .language_version:
      - 2
      - 0
    .max_flat_workgroup_size: 32
    .name:           _ZL13mul_mat_f_idsI7__half2Li32ELi11ELi1EEvPKT_PKfPKiS7_S7_Pfiiiiiiiiiiiiii15HIP_vector_typeIjLj3EESA_
    .private_segment_fixed_size: 0
    .sgpr_count:     78
    .sgpr_spill_count: 0
    .symbol:         _ZL13mul_mat_f_idsI7__half2Li32ELi11ELi1EEvPKT_PKfPKiS7_S7_Pfiiiiiiiiiiiiii15HIP_vector_typeIjLj3EESA_.kd
    .uniform_work_group_size: 1
    .uses_dynamic_stack: false
    .vgpr_count:     120
    .vgpr_spill_count: 0
    .wavefront_size: 32
    .workgroup_processor_mode: 1
  - .args:
      - .actual_access:  read_only
        .address_space:  global
        .offset:         0
        .size:           8
        .value_kind:     global_buffer
      - .actual_access:  read_only
        .address_space:  global
        .offset:         8
        .size:           8
        .value_kind:     global_buffer
      - .actual_access:  read_only
        .address_space:  global
        .offset:         16
        .size:           8
        .value_kind:     global_buffer
      - .actual_access:  write_only
        .address_space:  global
        .offset:         24
        .size:           8
        .value_kind:     global_buffer
      - .offset:         32
        .size:           4
        .value_kind:     by_value
      - .offset:         36
        .size:           4
        .value_kind:     by_value
      - .offset:         40
        .size:           4
        .value_kind:     by_value
      - .offset:         44
        .size:           4
        .value_kind:     by_value
      - .offset:         48
        .size:           4
        .value_kind:     by_value
      - .offset:         52
        .size:           4
        .value_kind:     by_value
      - .offset:         56
        .size:           4
        .value_kind:     by_value
      - .offset:         60
        .size:           4
        .value_kind:     by_value
      - .offset:         64
        .size:           4
        .value_kind:     by_value
      - .offset:         68
        .size:           4
        .value_kind:     by_value
      - .offset:         72
        .size:           4
        .value_kind:     by_value
      - .offset:         76
        .size:           4
        .value_kind:     by_value
      - .offset:         80
        .size:           4
        .value_kind:     by_value
      - .offset:         84
        .size:           4
        .value_kind:     by_value
      - .offset:         88
        .size:           4
        .value_kind:     by_value
      - .offset:         92
        .size:           4
        .value_kind:     by_value
      - .offset:         96
        .size:           4
        .value_kind:     hidden_block_count_x
      - .offset:         100
        .size:           4
        .value_kind:     hidden_block_count_y
      - .offset:         104
        .size:           4
        .value_kind:     hidden_block_count_z
      - .offset:         108
        .size:           2
        .value_kind:     hidden_group_size_x
      - .offset:         110
        .size:           2
        .value_kind:     hidden_group_size_y
      - .offset:         112
        .size:           2
        .value_kind:     hidden_group_size_z
      - .offset:         114
        .size:           2
        .value_kind:     hidden_remainder_x
      - .offset:         116
        .size:           2
        .value_kind:     hidden_remainder_y
      - .offset:         118
        .size:           2
        .value_kind:     hidden_remainder_z
      - .offset:         136
        .size:           8
        .value_kind:     hidden_global_offset_x
      - .offset:         144
        .size:           8
        .value_kind:     hidden_global_offset_y
      - .offset:         152
        .size:           8
        .value_kind:     hidden_global_offset_z
      - .offset:         160
        .size:           2
        .value_kind:     hidden_grid_dims
      - .offset:         216
        .size:           4
        .value_kind:     hidden_dynamic_lds_size
    .group_segment_fixed_size: 256
    .kernarg_segment_align: 8
    .kernarg_segment_size: 352
    .language:       OpenCL C
    .language_version:
      - 2
      - 0
    .max_flat_workgroup_size: 32
    .name:           _ZL9mul_mat_fI7__half2Li32ELi11ELi1ELb1EEvPKT_PKfPKiPfiiiiiiiiiiiiiiii
    .private_segment_fixed_size: 0
    .sgpr_count:     83
    .sgpr_spill_count: 0
    .symbol:         _ZL9mul_mat_fI7__half2Li32ELi11ELi1ELb1EEvPKT_PKfPKiPfiiiiiiiiiiiiiiii.kd
    .uniform_work_group_size: 1
    .uses_dynamic_stack: false
    .vgpr_count:     123
    .vgpr_spill_count: 0
    .wavefront_size: 32
    .workgroup_processor_mode: 1
  - .args:
      - .actual_access:  read_only
        .address_space:  global
        .offset:         0
        .size:           8
        .value_kind:     global_buffer
      - .actual_access:  read_only
        .address_space:  global
        .offset:         8
        .size:           8
        .value_kind:     global_buffer
      - .actual_access:  read_only
        .address_space:  global
        .offset:         16
        .size:           8
        .value_kind:     global_buffer
      - .actual_access:  write_only
        .address_space:  global
        .offset:         24
        .size:           8
        .value_kind:     global_buffer
      - .offset:         32
        .size:           4
        .value_kind:     by_value
      - .offset:         36
        .size:           4
        .value_kind:     by_value
      - .offset:         40
        .size:           4
        .value_kind:     by_value
      - .offset:         44
        .size:           4
        .value_kind:     by_value
      - .offset:         48
        .size:           4
        .value_kind:     by_value
      - .offset:         52
        .size:           4
        .value_kind:     by_value
      - .offset:         56
        .size:           4
        .value_kind:     by_value
      - .offset:         60
        .size:           4
        .value_kind:     by_value
      - .offset:         64
        .size:           4
        .value_kind:     by_value
      - .offset:         68
        .size:           4
        .value_kind:     by_value
      - .offset:         72
        .size:           4
        .value_kind:     by_value
      - .offset:         76
        .size:           4
        .value_kind:     by_value
      - .offset:         80
        .size:           4
        .value_kind:     by_value
      - .offset:         84
        .size:           4
        .value_kind:     by_value
      - .offset:         88
        .size:           4
        .value_kind:     by_value
      - .offset:         92
        .size:           4
        .value_kind:     by_value
    .group_segment_fixed_size: 0
    .kernarg_segment_align: 8
    .kernarg_segment_size: 96
    .language:       OpenCL C
    .language_version:
      - 2
      - 0
    .max_flat_workgroup_size: 32
    .name:           _ZL9mul_mat_fI7__half2Li32ELi11ELi1ELb0EEvPKT_PKfPKiPfiiiiiiiiiiiiiiii
    .private_segment_fixed_size: 0
    .sgpr_count:     62
    .sgpr_spill_count: 0
    .symbol:         _ZL9mul_mat_fI7__half2Li32ELi11ELi1ELb0EEvPKT_PKfPKiPfiiiiiiiiiiiiiiii.kd
    .uniform_work_group_size: 1
    .uses_dynamic_stack: false
    .vgpr_count:     122
    .vgpr_spill_count: 0
    .wavefront_size: 32
    .workgroup_processor_mode: 1
  - .args:
      - .actual_access:  read_only
        .address_space:  global
        .offset:         0
        .size:           8
        .value_kind:     global_buffer
      - .actual_access:  read_only
        .address_space:  global
        .offset:         8
        .size:           8
        .value_kind:     global_buffer
      - .actual_access:  read_only
        .address_space:  global
        .offset:         16
        .size:           8
        .value_kind:     global_buffer
      - .actual_access:  read_only
        .address_space:  global
        .offset:         24
        .size:           8
        .value_kind:     global_buffer
      - .actual_access:  read_only
        .address_space:  global
        .offset:         32
        .size:           8
        .value_kind:     global_buffer
      - .actual_access:  write_only
        .address_space:  global
        .offset:         40
        .size:           8
        .value_kind:     global_buffer
      - .offset:         48
        .size:           4
        .value_kind:     by_value
      - .offset:         52
        .size:           4
        .value_kind:     by_value
      - .offset:         56
        .size:           4
        .value_kind:     by_value
      - .offset:         60
        .size:           4
        .value_kind:     by_value
      - .offset:         64
        .size:           4
        .value_kind:     by_value
      - .offset:         68
        .size:           4
        .value_kind:     by_value
      - .offset:         72
        .size:           4
        .value_kind:     by_value
      - .offset:         76
        .size:           4
        .value_kind:     by_value
      - .offset:         80
        .size:           4
        .value_kind:     by_value
      - .offset:         84
        .size:           4
        .value_kind:     by_value
      - .offset:         88
        .size:           4
        .value_kind:     by_value
      - .offset:         92
        .size:           4
        .value_kind:     by_value
      - .offset:         96
        .size:           4
        .value_kind:     by_value
      - .offset:         100
        .size:           4
        .value_kind:     by_value
      - .offset:         104
        .size:           12
        .value_kind:     by_value
      - .offset:         116
        .size:           12
        .value_kind:     by_value
    .group_segment_fixed_size: 0
    .kernarg_segment_align: 8
    .kernarg_segment_size: 128
    .language:       OpenCL C
    .language_version:
      - 2
      - 0
    .max_flat_workgroup_size: 64
    .name:           _ZL13mul_mat_f_idsI7__half2Li32ELi11ELi2EEvPKT_PKfPKiS7_S7_Pfiiiiiiiiiiiiii15HIP_vector_typeIjLj3EESA_
    .private_segment_fixed_size: 0
    .sgpr_count:     78
    .sgpr_spill_count: 0
    .symbol:         _ZL13mul_mat_f_idsI7__half2Li32ELi11ELi2EEvPKT_PKfPKiS7_S7_Pfiiiiiiiiiiiiii15HIP_vector_typeIjLj3EESA_.kd
    .uniform_work_group_size: 1
    .uses_dynamic_stack: false
    .vgpr_count:     120
    .vgpr_spill_count: 0
    .wavefront_size: 32
    .workgroup_processor_mode: 1
  - .args:
      - .actual_access:  read_only
        .address_space:  global
        .offset:         0
        .size:           8
        .value_kind:     global_buffer
      - .actual_access:  read_only
        .address_space:  global
        .offset:         8
        .size:           8
        .value_kind:     global_buffer
      - .actual_access:  read_only
        .address_space:  global
        .offset:         16
        .size:           8
        .value_kind:     global_buffer
      - .actual_access:  write_only
        .address_space:  global
        .offset:         24
        .size:           8
        .value_kind:     global_buffer
      - .offset:         32
        .size:           4
        .value_kind:     by_value
      - .offset:         36
        .size:           4
        .value_kind:     by_value
      - .offset:         40
        .size:           4
        .value_kind:     by_value
      - .offset:         44
        .size:           4
        .value_kind:     by_value
      - .offset:         48
        .size:           4
        .value_kind:     by_value
      - .offset:         52
        .size:           4
        .value_kind:     by_value
      - .offset:         56
        .size:           4
        .value_kind:     by_value
      - .offset:         60
        .size:           4
        .value_kind:     by_value
      - .offset:         64
        .size:           4
        .value_kind:     by_value
      - .offset:         68
        .size:           4
        .value_kind:     by_value
      - .offset:         72
        .size:           4
        .value_kind:     by_value
      - .offset:         76
        .size:           4
        .value_kind:     by_value
      - .offset:         80
        .size:           4
        .value_kind:     by_value
      - .offset:         84
        .size:           4
        .value_kind:     by_value
      - .offset:         88
        .size:           4
        .value_kind:     by_value
      - .offset:         92
        .size:           4
        .value_kind:     by_value
      - .offset:         96
        .size:           4
        .value_kind:     hidden_block_count_x
      - .offset:         100
        .size:           4
        .value_kind:     hidden_block_count_y
      - .offset:         104
        .size:           4
        .value_kind:     hidden_block_count_z
      - .offset:         108
        .size:           2
        .value_kind:     hidden_group_size_x
      - .offset:         110
        .size:           2
        .value_kind:     hidden_group_size_y
      - .offset:         112
        .size:           2
        .value_kind:     hidden_group_size_z
      - .offset:         114
        .size:           2
        .value_kind:     hidden_remainder_x
      - .offset:         116
        .size:           2
        .value_kind:     hidden_remainder_y
      - .offset:         118
        .size:           2
        .value_kind:     hidden_remainder_z
      - .offset:         136
        .size:           8
        .value_kind:     hidden_global_offset_x
      - .offset:         144
        .size:           8
        .value_kind:     hidden_global_offset_y
      - .offset:         152
        .size:           8
        .value_kind:     hidden_global_offset_z
      - .offset:         160
        .size:           2
        .value_kind:     hidden_grid_dims
      - .offset:         216
        .size:           4
        .value_kind:     hidden_dynamic_lds_size
    .group_segment_fixed_size: 256
    .kernarg_segment_align: 8
    .kernarg_segment_size: 352
    .language:       OpenCL C
    .language_version:
      - 2
      - 0
    .max_flat_workgroup_size: 64
    .name:           _ZL9mul_mat_fI7__half2Li32ELi11ELi2ELb1EEvPKT_PKfPKiPfiiiiiiiiiiiiiiii
    .private_segment_fixed_size: 0
    .sgpr_count:     78
    .sgpr_spill_count: 0
    .symbol:         _ZL9mul_mat_fI7__half2Li32ELi11ELi2ELb1EEvPKT_PKfPKiPfiiiiiiiiiiiiiiii.kd
    .uniform_work_group_size: 1
    .uses_dynamic_stack: false
    .vgpr_count:     118
    .vgpr_spill_count: 0
    .wavefront_size: 32
    .workgroup_processor_mode: 1
  - .args:
      - .actual_access:  read_only
        .address_space:  global
        .offset:         0
        .size:           8
        .value_kind:     global_buffer
      - .actual_access:  read_only
        .address_space:  global
        .offset:         8
        .size:           8
        .value_kind:     global_buffer
      - .actual_access:  read_only
        .address_space:  global
        .offset:         16
        .size:           8
        .value_kind:     global_buffer
      - .actual_access:  write_only
        .address_space:  global
        .offset:         24
        .size:           8
        .value_kind:     global_buffer
      - .offset:         32
        .size:           4
        .value_kind:     by_value
      - .offset:         36
        .size:           4
        .value_kind:     by_value
      - .offset:         40
        .size:           4
        .value_kind:     by_value
      - .offset:         44
        .size:           4
        .value_kind:     by_value
      - .offset:         48
        .size:           4
        .value_kind:     by_value
      - .offset:         52
        .size:           4
        .value_kind:     by_value
      - .offset:         56
        .size:           4
        .value_kind:     by_value
      - .offset:         60
        .size:           4
        .value_kind:     by_value
      - .offset:         64
        .size:           4
        .value_kind:     by_value
      - .offset:         68
        .size:           4
        .value_kind:     by_value
      - .offset:         72
        .size:           4
        .value_kind:     by_value
      - .offset:         76
        .size:           4
        .value_kind:     by_value
      - .offset:         80
        .size:           4
        .value_kind:     by_value
      - .offset:         84
        .size:           4
        .value_kind:     by_value
      - .offset:         88
        .size:           4
        .value_kind:     by_value
      - .offset:         92
        .size:           4
        .value_kind:     by_value
    .group_segment_fixed_size: 0
    .kernarg_segment_align: 8
    .kernarg_segment_size: 96
    .language:       OpenCL C
    .language_version:
      - 2
      - 0
    .max_flat_workgroup_size: 64
    .name:           _ZL9mul_mat_fI7__half2Li32ELi11ELi2ELb0EEvPKT_PKfPKiPfiiiiiiiiiiiiiiii
    .private_segment_fixed_size: 0
    .sgpr_count:     62
    .sgpr_spill_count: 0
    .symbol:         _ZL9mul_mat_fI7__half2Li32ELi11ELi2ELb0EEvPKT_PKfPKiPfiiiiiiiiiiiiiiii.kd
    .uniform_work_group_size: 1
    .uses_dynamic_stack: false
    .vgpr_count:     121
    .vgpr_spill_count: 0
    .wavefront_size: 32
    .workgroup_processor_mode: 1
  - .args:
      - .actual_access:  read_only
        .address_space:  global
        .offset:         0
        .size:           8
        .value_kind:     global_buffer
      - .actual_access:  read_only
        .address_space:  global
        .offset:         8
        .size:           8
        .value_kind:     global_buffer
      - .actual_access:  read_only
        .address_space:  global
        .offset:         16
        .size:           8
        .value_kind:     global_buffer
      - .actual_access:  read_only
        .address_space:  global
        .offset:         24
        .size:           8
        .value_kind:     global_buffer
      - .actual_access:  read_only
        .address_space:  global
        .offset:         32
        .size:           8
        .value_kind:     global_buffer
      - .actual_access:  write_only
        .address_space:  global
        .offset:         40
        .size:           8
        .value_kind:     global_buffer
      - .offset:         48
        .size:           4
        .value_kind:     by_value
      - .offset:         52
        .size:           4
        .value_kind:     by_value
      - .offset:         56
        .size:           4
        .value_kind:     by_value
      - .offset:         60
        .size:           4
        .value_kind:     by_value
      - .offset:         64
        .size:           4
        .value_kind:     by_value
      - .offset:         68
        .size:           4
        .value_kind:     by_value
      - .offset:         72
        .size:           4
        .value_kind:     by_value
      - .offset:         76
        .size:           4
        .value_kind:     by_value
      - .offset:         80
        .size:           4
        .value_kind:     by_value
      - .offset:         84
        .size:           4
        .value_kind:     by_value
      - .offset:         88
        .size:           4
        .value_kind:     by_value
      - .offset:         92
        .size:           4
        .value_kind:     by_value
      - .offset:         96
        .size:           4
        .value_kind:     by_value
      - .offset:         100
        .size:           4
        .value_kind:     by_value
      - .offset:         104
        .size:           12
        .value_kind:     by_value
      - .offset:         116
        .size:           12
        .value_kind:     by_value
    .group_segment_fixed_size: 0
    .kernarg_segment_align: 8
    .kernarg_segment_size: 128
    .language:       OpenCL C
    .language_version:
      - 2
      - 0
    .max_flat_workgroup_size: 96
    .name:           _ZL13mul_mat_f_idsI7__half2Li32ELi11ELi3EEvPKT_PKfPKiS7_S7_Pfiiiiiiiiiiiiii15HIP_vector_typeIjLj3EESA_
    .private_segment_fixed_size: 0
    .sgpr_count:     78
    .sgpr_spill_count: 0
    .symbol:         _ZL13mul_mat_f_idsI7__half2Li32ELi11ELi3EEvPKT_PKfPKiS7_S7_Pfiiiiiiiiiiiiii15HIP_vector_typeIjLj3EESA_.kd
    .uniform_work_group_size: 1
    .uses_dynamic_stack: false
    .vgpr_count:     120
    .vgpr_spill_count: 0
    .wavefront_size: 32
    .workgroup_processor_mode: 1
  - .args:
      - .actual_access:  read_only
        .address_space:  global
        .offset:         0
        .size:           8
        .value_kind:     global_buffer
      - .actual_access:  read_only
        .address_space:  global
        .offset:         8
        .size:           8
        .value_kind:     global_buffer
      - .actual_access:  read_only
        .address_space:  global
        .offset:         16
        .size:           8
        .value_kind:     global_buffer
      - .actual_access:  write_only
        .address_space:  global
        .offset:         24
        .size:           8
        .value_kind:     global_buffer
      - .offset:         32
        .size:           4
        .value_kind:     by_value
      - .offset:         36
        .size:           4
        .value_kind:     by_value
      - .offset:         40
        .size:           4
        .value_kind:     by_value
      - .offset:         44
        .size:           4
        .value_kind:     by_value
      - .offset:         48
        .size:           4
        .value_kind:     by_value
      - .offset:         52
        .size:           4
        .value_kind:     by_value
      - .offset:         56
        .size:           4
        .value_kind:     by_value
      - .offset:         60
        .size:           4
        .value_kind:     by_value
      - .offset:         64
        .size:           4
        .value_kind:     by_value
      - .offset:         68
        .size:           4
        .value_kind:     by_value
      - .offset:         72
        .size:           4
        .value_kind:     by_value
      - .offset:         76
        .size:           4
        .value_kind:     by_value
      - .offset:         80
        .size:           4
        .value_kind:     by_value
      - .offset:         84
        .size:           4
        .value_kind:     by_value
      - .offset:         88
        .size:           4
        .value_kind:     by_value
      - .offset:         92
        .size:           4
        .value_kind:     by_value
      - .offset:         96
        .size:           4
        .value_kind:     hidden_block_count_x
      - .offset:         100
        .size:           4
        .value_kind:     hidden_block_count_y
      - .offset:         104
        .size:           4
        .value_kind:     hidden_block_count_z
      - .offset:         108
        .size:           2
        .value_kind:     hidden_group_size_x
      - .offset:         110
        .size:           2
        .value_kind:     hidden_group_size_y
      - .offset:         112
        .size:           2
        .value_kind:     hidden_group_size_z
      - .offset:         114
        .size:           2
        .value_kind:     hidden_remainder_x
      - .offset:         116
        .size:           2
        .value_kind:     hidden_remainder_y
      - .offset:         118
        .size:           2
        .value_kind:     hidden_remainder_z
      - .offset:         136
        .size:           8
        .value_kind:     hidden_global_offset_x
      - .offset:         144
        .size:           8
        .value_kind:     hidden_global_offset_y
      - .offset:         152
        .size:           8
        .value_kind:     hidden_global_offset_z
      - .offset:         160
        .size:           2
        .value_kind:     hidden_grid_dims
      - .offset:         216
        .size:           4
        .value_kind:     hidden_dynamic_lds_size
    .group_segment_fixed_size: 256
    .kernarg_segment_align: 8
    .kernarg_segment_size: 352
    .language:       OpenCL C
    .language_version:
      - 2
      - 0
    .max_flat_workgroup_size: 96
    .name:           _ZL9mul_mat_fI7__half2Li32ELi11ELi3ELb1EEvPKT_PKfPKiPfiiiiiiiiiiiiiiii
    .private_segment_fixed_size: 0
    .sgpr_count:     76
    .sgpr_spill_count: 0
    .symbol:         _ZL9mul_mat_fI7__half2Li32ELi11ELi3ELb1EEvPKT_PKfPKiPfiiiiiiiiiiiiiiii.kd
    .uniform_work_group_size: 1
    .uses_dynamic_stack: false
    .vgpr_count:     116
    .vgpr_spill_count: 0
    .wavefront_size: 32
    .workgroup_processor_mode: 1
  - .args:
      - .actual_access:  read_only
        .address_space:  global
        .offset:         0
        .size:           8
        .value_kind:     global_buffer
      - .actual_access:  read_only
        .address_space:  global
        .offset:         8
        .size:           8
        .value_kind:     global_buffer
      - .actual_access:  read_only
        .address_space:  global
        .offset:         16
        .size:           8
        .value_kind:     global_buffer
      - .actual_access:  write_only
        .address_space:  global
        .offset:         24
        .size:           8
        .value_kind:     global_buffer
      - .offset:         32
        .size:           4
        .value_kind:     by_value
      - .offset:         36
        .size:           4
        .value_kind:     by_value
      - .offset:         40
        .size:           4
        .value_kind:     by_value
      - .offset:         44
        .size:           4
        .value_kind:     by_value
      - .offset:         48
        .size:           4
        .value_kind:     by_value
      - .offset:         52
        .size:           4
        .value_kind:     by_value
      - .offset:         56
        .size:           4
        .value_kind:     by_value
      - .offset:         60
        .size:           4
        .value_kind:     by_value
      - .offset:         64
        .size:           4
        .value_kind:     by_value
      - .offset:         68
        .size:           4
        .value_kind:     by_value
      - .offset:         72
        .size:           4
        .value_kind:     by_value
      - .offset:         76
        .size:           4
        .value_kind:     by_value
      - .offset:         80
        .size:           4
        .value_kind:     by_value
      - .offset:         84
        .size:           4
        .value_kind:     by_value
      - .offset:         88
        .size:           4
        .value_kind:     by_value
      - .offset:         92
        .size:           4
        .value_kind:     by_value
    .group_segment_fixed_size: 0
    .kernarg_segment_align: 8
    .kernarg_segment_size: 96
    .language:       OpenCL C
    .language_version:
      - 2
      - 0
    .max_flat_workgroup_size: 96
    .name:           _ZL9mul_mat_fI7__half2Li32ELi11ELi3ELb0EEvPKT_PKfPKiPfiiiiiiiiiiiiiiii
    .private_segment_fixed_size: 0
    .sgpr_count:     62
    .sgpr_spill_count: 0
    .symbol:         _ZL9mul_mat_fI7__half2Li32ELi11ELi3ELb0EEvPKT_PKfPKiPfiiiiiiiiiiiiiiii.kd
    .uniform_work_group_size: 1
    .uses_dynamic_stack: false
    .vgpr_count:     121
    .vgpr_spill_count: 0
    .wavefront_size: 32
    .workgroup_processor_mode: 1
  - .args:
      - .actual_access:  read_only
        .address_space:  global
        .offset:         0
        .size:           8
        .value_kind:     global_buffer
      - .actual_access:  read_only
        .address_space:  global
        .offset:         8
        .size:           8
        .value_kind:     global_buffer
      - .actual_access:  read_only
        .address_space:  global
        .offset:         16
        .size:           8
        .value_kind:     global_buffer
      - .actual_access:  read_only
        .address_space:  global
        .offset:         24
        .size:           8
        .value_kind:     global_buffer
      - .actual_access:  read_only
        .address_space:  global
        .offset:         32
        .size:           8
        .value_kind:     global_buffer
      - .actual_access:  write_only
        .address_space:  global
        .offset:         40
        .size:           8
        .value_kind:     global_buffer
      - .offset:         48
        .size:           4
        .value_kind:     by_value
      - .offset:         52
        .size:           4
        .value_kind:     by_value
      - .offset:         56
        .size:           4
        .value_kind:     by_value
      - .offset:         60
        .size:           4
        .value_kind:     by_value
      - .offset:         64
        .size:           4
        .value_kind:     by_value
      - .offset:         68
        .size:           4
        .value_kind:     by_value
      - .offset:         72
        .size:           4
        .value_kind:     by_value
      - .offset:         76
        .size:           4
        .value_kind:     by_value
      - .offset:         80
        .size:           4
        .value_kind:     by_value
      - .offset:         84
        .size:           4
        .value_kind:     by_value
      - .offset:         88
        .size:           4
        .value_kind:     by_value
      - .offset:         92
        .size:           4
        .value_kind:     by_value
      - .offset:         96
        .size:           4
        .value_kind:     by_value
      - .offset:         100
        .size:           4
        .value_kind:     by_value
      - .offset:         104
        .size:           12
        .value_kind:     by_value
      - .offset:         116
        .size:           12
        .value_kind:     by_value
    .group_segment_fixed_size: 0
    .kernarg_segment_align: 8
    .kernarg_segment_size: 128
    .language:       OpenCL C
    .language_version:
      - 2
      - 0
    .max_flat_workgroup_size: 128
    .name:           _ZL13mul_mat_f_idsI7__half2Li32ELi11ELi4EEvPKT_PKfPKiS7_S7_Pfiiiiiiiiiiiiii15HIP_vector_typeIjLj3EESA_
    .private_segment_fixed_size: 0
    .sgpr_count:     78
    .sgpr_spill_count: 0
    .symbol:         _ZL13mul_mat_f_idsI7__half2Li32ELi11ELi4EEvPKT_PKfPKiS7_S7_Pfiiiiiiiiiiiiii15HIP_vector_typeIjLj3EESA_.kd
    .uniform_work_group_size: 1
    .uses_dynamic_stack: false
    .vgpr_count:     120
    .vgpr_spill_count: 0
    .wavefront_size: 32
    .workgroup_processor_mode: 1
  - .args:
      - .actual_access:  read_only
        .address_space:  global
        .offset:         0
        .size:           8
        .value_kind:     global_buffer
      - .actual_access:  read_only
        .address_space:  global
        .offset:         8
        .size:           8
        .value_kind:     global_buffer
      - .actual_access:  read_only
        .address_space:  global
        .offset:         16
        .size:           8
        .value_kind:     global_buffer
      - .actual_access:  write_only
        .address_space:  global
        .offset:         24
        .size:           8
        .value_kind:     global_buffer
      - .offset:         32
        .size:           4
        .value_kind:     by_value
      - .offset:         36
        .size:           4
        .value_kind:     by_value
      - .offset:         40
        .size:           4
        .value_kind:     by_value
      - .offset:         44
        .size:           4
        .value_kind:     by_value
      - .offset:         48
        .size:           4
        .value_kind:     by_value
      - .offset:         52
        .size:           4
        .value_kind:     by_value
      - .offset:         56
        .size:           4
        .value_kind:     by_value
      - .offset:         60
        .size:           4
        .value_kind:     by_value
      - .offset:         64
        .size:           4
        .value_kind:     by_value
      - .offset:         68
        .size:           4
        .value_kind:     by_value
      - .offset:         72
        .size:           4
        .value_kind:     by_value
      - .offset:         76
        .size:           4
        .value_kind:     by_value
      - .offset:         80
        .size:           4
        .value_kind:     by_value
      - .offset:         84
        .size:           4
        .value_kind:     by_value
      - .offset:         88
        .size:           4
        .value_kind:     by_value
      - .offset:         92
        .size:           4
        .value_kind:     by_value
      - .offset:         96
        .size:           4
        .value_kind:     hidden_block_count_x
      - .offset:         100
        .size:           4
        .value_kind:     hidden_block_count_y
      - .offset:         104
        .size:           4
        .value_kind:     hidden_block_count_z
      - .offset:         108
        .size:           2
        .value_kind:     hidden_group_size_x
      - .offset:         110
        .size:           2
        .value_kind:     hidden_group_size_y
      - .offset:         112
        .size:           2
        .value_kind:     hidden_group_size_z
      - .offset:         114
        .size:           2
        .value_kind:     hidden_remainder_x
      - .offset:         116
        .size:           2
        .value_kind:     hidden_remainder_y
      - .offset:         118
        .size:           2
        .value_kind:     hidden_remainder_z
      - .offset:         136
        .size:           8
        .value_kind:     hidden_global_offset_x
      - .offset:         144
        .size:           8
        .value_kind:     hidden_global_offset_y
      - .offset:         152
        .size:           8
        .value_kind:     hidden_global_offset_z
      - .offset:         160
        .size:           2
        .value_kind:     hidden_grid_dims
      - .offset:         216
        .size:           4
        .value_kind:     hidden_dynamic_lds_size
    .group_segment_fixed_size: 256
    .kernarg_segment_align: 8
    .kernarg_segment_size: 352
    .language:       OpenCL C
    .language_version:
      - 2
      - 0
    .max_flat_workgroup_size: 128
    .name:           _ZL9mul_mat_fI7__half2Li32ELi11ELi4ELb1EEvPKT_PKfPKiPfiiiiiiiiiiiiiiii
    .private_segment_fixed_size: 0
    .sgpr_count:     76
    .sgpr_spill_count: 0
    .symbol:         _ZL9mul_mat_fI7__half2Li32ELi11ELi4ELb1EEvPKT_PKfPKiPfiiiiiiiiiiiiiiii.kd
    .uniform_work_group_size: 1
    .uses_dynamic_stack: false
    .vgpr_count:     123
    .vgpr_spill_count: 0
    .wavefront_size: 32
    .workgroup_processor_mode: 1
  - .args:
      - .actual_access:  read_only
        .address_space:  global
        .offset:         0
        .size:           8
        .value_kind:     global_buffer
      - .actual_access:  read_only
        .address_space:  global
        .offset:         8
        .size:           8
        .value_kind:     global_buffer
      - .actual_access:  read_only
        .address_space:  global
        .offset:         16
        .size:           8
        .value_kind:     global_buffer
      - .actual_access:  write_only
        .address_space:  global
        .offset:         24
        .size:           8
        .value_kind:     global_buffer
      - .offset:         32
        .size:           4
        .value_kind:     by_value
      - .offset:         36
        .size:           4
        .value_kind:     by_value
      - .offset:         40
        .size:           4
        .value_kind:     by_value
      - .offset:         44
        .size:           4
        .value_kind:     by_value
      - .offset:         48
        .size:           4
        .value_kind:     by_value
      - .offset:         52
        .size:           4
        .value_kind:     by_value
      - .offset:         56
        .size:           4
        .value_kind:     by_value
      - .offset:         60
        .size:           4
        .value_kind:     by_value
      - .offset:         64
        .size:           4
        .value_kind:     by_value
      - .offset:         68
        .size:           4
        .value_kind:     by_value
      - .offset:         72
        .size:           4
        .value_kind:     by_value
      - .offset:         76
        .size:           4
        .value_kind:     by_value
      - .offset:         80
        .size:           4
        .value_kind:     by_value
      - .offset:         84
        .size:           4
        .value_kind:     by_value
      - .offset:         88
        .size:           4
        .value_kind:     by_value
      - .offset:         92
        .size:           4
        .value_kind:     by_value
    .group_segment_fixed_size: 0
    .kernarg_segment_align: 8
    .kernarg_segment_size: 96
    .language:       OpenCL C
    .language_version:
      - 2
      - 0
    .max_flat_workgroup_size: 128
    .name:           _ZL9mul_mat_fI7__half2Li32ELi11ELi4ELb0EEvPKT_PKfPKiPfiiiiiiiiiiiiiiii
    .private_segment_fixed_size: 0
    .sgpr_count:     62
    .sgpr_spill_count: 0
    .symbol:         _ZL9mul_mat_fI7__half2Li32ELi11ELi4ELb0EEvPKT_PKfPKiPfiiiiiiiiiiiiiiii.kd
    .uniform_work_group_size: 1
    .uses_dynamic_stack: false
    .vgpr_count:     121
    .vgpr_spill_count: 0
    .wavefront_size: 32
    .workgroup_processor_mode: 1
  - .args:
      - .actual_access:  read_only
        .address_space:  global
        .offset:         0
        .size:           8
        .value_kind:     global_buffer
      - .actual_access:  read_only
        .address_space:  global
        .offset:         8
        .size:           8
        .value_kind:     global_buffer
      - .actual_access:  read_only
        .address_space:  global
        .offset:         16
        .size:           8
        .value_kind:     global_buffer
      - .actual_access:  read_only
        .address_space:  global
        .offset:         24
        .size:           8
        .value_kind:     global_buffer
      - .actual_access:  read_only
        .address_space:  global
        .offset:         32
        .size:           8
        .value_kind:     global_buffer
      - .actual_access:  write_only
        .address_space:  global
        .offset:         40
        .size:           8
        .value_kind:     global_buffer
      - .offset:         48
        .size:           4
        .value_kind:     by_value
      - .offset:         52
        .size:           4
        .value_kind:     by_value
      - .offset:         56
        .size:           4
        .value_kind:     by_value
      - .offset:         60
        .size:           4
        .value_kind:     by_value
      - .offset:         64
        .size:           4
        .value_kind:     by_value
      - .offset:         68
        .size:           4
        .value_kind:     by_value
      - .offset:         72
        .size:           4
        .value_kind:     by_value
      - .offset:         76
        .size:           4
        .value_kind:     by_value
      - .offset:         80
        .size:           4
        .value_kind:     by_value
      - .offset:         84
        .size:           4
        .value_kind:     by_value
      - .offset:         88
        .size:           4
        .value_kind:     by_value
      - .offset:         92
        .size:           4
        .value_kind:     by_value
      - .offset:         96
        .size:           4
        .value_kind:     by_value
      - .offset:         100
        .size:           4
        .value_kind:     by_value
      - .offset:         104
        .size:           12
        .value_kind:     by_value
      - .offset:         116
        .size:           12
        .value_kind:     by_value
    .group_segment_fixed_size: 0
    .kernarg_segment_align: 8
    .kernarg_segment_size: 128
    .language:       OpenCL C
    .language_version:
      - 2
      - 0
    .max_flat_workgroup_size: 160
    .name:           _ZL13mul_mat_f_idsI7__half2Li32ELi11ELi5EEvPKT_PKfPKiS7_S7_Pfiiiiiiiiiiiiii15HIP_vector_typeIjLj3EESA_
    .private_segment_fixed_size: 0
    .sgpr_count:     78
    .sgpr_spill_count: 0
    .symbol:         _ZL13mul_mat_f_idsI7__half2Li32ELi11ELi5EEvPKT_PKfPKiS7_S7_Pfiiiiiiiiiiiiii15HIP_vector_typeIjLj3EESA_.kd
    .uniform_work_group_size: 1
    .uses_dynamic_stack: false
    .vgpr_count:     120
    .vgpr_spill_count: 0
    .wavefront_size: 32
    .workgroup_processor_mode: 1
  - .args:
      - .actual_access:  read_only
        .address_space:  global
        .offset:         0
        .size:           8
        .value_kind:     global_buffer
      - .actual_access:  read_only
        .address_space:  global
        .offset:         8
        .size:           8
        .value_kind:     global_buffer
      - .actual_access:  read_only
        .address_space:  global
        .offset:         16
        .size:           8
        .value_kind:     global_buffer
      - .actual_access:  write_only
        .address_space:  global
        .offset:         24
        .size:           8
        .value_kind:     global_buffer
      - .offset:         32
        .size:           4
        .value_kind:     by_value
      - .offset:         36
        .size:           4
        .value_kind:     by_value
      - .offset:         40
        .size:           4
        .value_kind:     by_value
      - .offset:         44
        .size:           4
        .value_kind:     by_value
      - .offset:         48
        .size:           4
        .value_kind:     by_value
      - .offset:         52
        .size:           4
        .value_kind:     by_value
      - .offset:         56
        .size:           4
        .value_kind:     by_value
      - .offset:         60
        .size:           4
        .value_kind:     by_value
      - .offset:         64
        .size:           4
        .value_kind:     by_value
      - .offset:         68
        .size:           4
        .value_kind:     by_value
      - .offset:         72
        .size:           4
        .value_kind:     by_value
      - .offset:         76
        .size:           4
        .value_kind:     by_value
      - .offset:         80
        .size:           4
        .value_kind:     by_value
      - .offset:         84
        .size:           4
        .value_kind:     by_value
      - .offset:         88
        .size:           4
        .value_kind:     by_value
      - .offset:         92
        .size:           4
        .value_kind:     by_value
      - .offset:         96
        .size:           4
        .value_kind:     hidden_block_count_x
      - .offset:         100
        .size:           4
        .value_kind:     hidden_block_count_y
      - .offset:         104
        .size:           4
        .value_kind:     hidden_block_count_z
      - .offset:         108
        .size:           2
        .value_kind:     hidden_group_size_x
      - .offset:         110
        .size:           2
        .value_kind:     hidden_group_size_y
      - .offset:         112
        .size:           2
        .value_kind:     hidden_group_size_z
      - .offset:         114
        .size:           2
        .value_kind:     hidden_remainder_x
      - .offset:         116
        .size:           2
        .value_kind:     hidden_remainder_y
      - .offset:         118
        .size:           2
        .value_kind:     hidden_remainder_z
      - .offset:         136
        .size:           8
        .value_kind:     hidden_global_offset_x
      - .offset:         144
        .size:           8
        .value_kind:     hidden_global_offset_y
      - .offset:         152
        .size:           8
        .value_kind:     hidden_global_offset_z
      - .offset:         160
        .size:           2
        .value_kind:     hidden_grid_dims
      - .offset:         216
        .size:           4
        .value_kind:     hidden_dynamic_lds_size
    .group_segment_fixed_size: 256
    .kernarg_segment_align: 8
    .kernarg_segment_size: 352
    .language:       OpenCL C
    .language_version:
      - 2
      - 0
    .max_flat_workgroup_size: 160
    .name:           _ZL9mul_mat_fI7__half2Li32ELi11ELi5ELb1EEvPKT_PKfPKiPfiiiiiiiiiiiiiiii
    .private_segment_fixed_size: 0
    .sgpr_count:     76
    .sgpr_spill_count: 0
    .symbol:         _ZL9mul_mat_fI7__half2Li32ELi11ELi5ELb1EEvPKT_PKfPKiPfiiiiiiiiiiiiiiii.kd
    .uniform_work_group_size: 1
    .uses_dynamic_stack: false
    .vgpr_count:     123
    .vgpr_spill_count: 0
    .wavefront_size: 32
    .workgroup_processor_mode: 1
  - .args:
      - .actual_access:  read_only
        .address_space:  global
        .offset:         0
        .size:           8
        .value_kind:     global_buffer
      - .actual_access:  read_only
        .address_space:  global
        .offset:         8
        .size:           8
        .value_kind:     global_buffer
      - .actual_access:  read_only
        .address_space:  global
        .offset:         16
        .size:           8
        .value_kind:     global_buffer
      - .actual_access:  write_only
        .address_space:  global
        .offset:         24
        .size:           8
        .value_kind:     global_buffer
      - .offset:         32
        .size:           4
        .value_kind:     by_value
      - .offset:         36
        .size:           4
        .value_kind:     by_value
      - .offset:         40
        .size:           4
        .value_kind:     by_value
      - .offset:         44
        .size:           4
        .value_kind:     by_value
      - .offset:         48
        .size:           4
        .value_kind:     by_value
      - .offset:         52
        .size:           4
        .value_kind:     by_value
      - .offset:         56
        .size:           4
        .value_kind:     by_value
      - .offset:         60
        .size:           4
        .value_kind:     by_value
      - .offset:         64
        .size:           4
        .value_kind:     by_value
      - .offset:         68
        .size:           4
        .value_kind:     by_value
      - .offset:         72
        .size:           4
        .value_kind:     by_value
      - .offset:         76
        .size:           4
        .value_kind:     by_value
      - .offset:         80
        .size:           4
        .value_kind:     by_value
      - .offset:         84
        .size:           4
        .value_kind:     by_value
      - .offset:         88
        .size:           4
        .value_kind:     by_value
      - .offset:         92
        .size:           4
        .value_kind:     by_value
    .group_segment_fixed_size: 0
    .kernarg_segment_align: 8
    .kernarg_segment_size: 96
    .language:       OpenCL C
    .language_version:
      - 2
      - 0
    .max_flat_workgroup_size: 160
    .name:           _ZL9mul_mat_fI7__half2Li32ELi11ELi5ELb0EEvPKT_PKfPKiPfiiiiiiiiiiiiiiii
    .private_segment_fixed_size: 0
    .sgpr_count:     62
    .sgpr_spill_count: 0
    .symbol:         _ZL9mul_mat_fI7__half2Li32ELi11ELi5ELb0EEvPKT_PKfPKiPfiiiiiiiiiiiiiiii.kd
    .uniform_work_group_size: 1
    .uses_dynamic_stack: false
    .vgpr_count:     121
    .vgpr_spill_count: 0
    .wavefront_size: 32
    .workgroup_processor_mode: 1
  - .args:
      - .actual_access:  read_only
        .address_space:  global
        .offset:         0
        .size:           8
        .value_kind:     global_buffer
      - .actual_access:  read_only
        .address_space:  global
        .offset:         8
        .size:           8
        .value_kind:     global_buffer
      - .actual_access:  read_only
        .address_space:  global
        .offset:         16
        .size:           8
        .value_kind:     global_buffer
      - .actual_access:  read_only
        .address_space:  global
        .offset:         24
        .size:           8
        .value_kind:     global_buffer
      - .actual_access:  read_only
        .address_space:  global
        .offset:         32
        .size:           8
        .value_kind:     global_buffer
      - .actual_access:  write_only
        .address_space:  global
        .offset:         40
        .size:           8
        .value_kind:     global_buffer
      - .offset:         48
        .size:           4
        .value_kind:     by_value
      - .offset:         52
        .size:           4
        .value_kind:     by_value
      - .offset:         56
        .size:           4
        .value_kind:     by_value
      - .offset:         60
        .size:           4
        .value_kind:     by_value
      - .offset:         64
        .size:           4
        .value_kind:     by_value
      - .offset:         68
        .size:           4
        .value_kind:     by_value
      - .offset:         72
        .size:           4
        .value_kind:     by_value
      - .offset:         76
        .size:           4
        .value_kind:     by_value
      - .offset:         80
        .size:           4
        .value_kind:     by_value
      - .offset:         84
        .size:           4
        .value_kind:     by_value
      - .offset:         88
        .size:           4
        .value_kind:     by_value
      - .offset:         92
        .size:           4
        .value_kind:     by_value
      - .offset:         96
        .size:           4
        .value_kind:     by_value
      - .offset:         100
        .size:           4
        .value_kind:     by_value
      - .offset:         104
        .size:           12
        .value_kind:     by_value
      - .offset:         116
        .size:           12
        .value_kind:     by_value
    .group_segment_fixed_size: 0
    .kernarg_segment_align: 8
    .kernarg_segment_size: 128
    .language:       OpenCL C
    .language_version:
      - 2
      - 0
    .max_flat_workgroup_size: 192
    .name:           _ZL13mul_mat_f_idsI7__half2Li32ELi11ELi6EEvPKT_PKfPKiS7_S7_Pfiiiiiiiiiiiiii15HIP_vector_typeIjLj3EESA_
    .private_segment_fixed_size: 0
    .sgpr_count:     78
    .sgpr_spill_count: 0
    .symbol:         _ZL13mul_mat_f_idsI7__half2Li32ELi11ELi6EEvPKT_PKfPKiS7_S7_Pfiiiiiiiiiiiiii15HIP_vector_typeIjLj3EESA_.kd
    .uniform_work_group_size: 1
    .uses_dynamic_stack: false
    .vgpr_count:     120
    .vgpr_spill_count: 0
    .wavefront_size: 32
    .workgroup_processor_mode: 1
  - .args:
      - .actual_access:  read_only
        .address_space:  global
        .offset:         0
        .size:           8
        .value_kind:     global_buffer
      - .actual_access:  read_only
        .address_space:  global
        .offset:         8
        .size:           8
        .value_kind:     global_buffer
      - .actual_access:  read_only
        .address_space:  global
        .offset:         16
        .size:           8
        .value_kind:     global_buffer
      - .actual_access:  write_only
        .address_space:  global
        .offset:         24
        .size:           8
        .value_kind:     global_buffer
      - .offset:         32
        .size:           4
        .value_kind:     by_value
      - .offset:         36
        .size:           4
        .value_kind:     by_value
      - .offset:         40
        .size:           4
        .value_kind:     by_value
      - .offset:         44
        .size:           4
        .value_kind:     by_value
      - .offset:         48
        .size:           4
        .value_kind:     by_value
      - .offset:         52
        .size:           4
        .value_kind:     by_value
      - .offset:         56
        .size:           4
        .value_kind:     by_value
      - .offset:         60
        .size:           4
        .value_kind:     by_value
      - .offset:         64
        .size:           4
        .value_kind:     by_value
      - .offset:         68
        .size:           4
        .value_kind:     by_value
      - .offset:         72
        .size:           4
        .value_kind:     by_value
      - .offset:         76
        .size:           4
        .value_kind:     by_value
      - .offset:         80
        .size:           4
        .value_kind:     by_value
      - .offset:         84
        .size:           4
        .value_kind:     by_value
      - .offset:         88
        .size:           4
        .value_kind:     by_value
      - .offset:         92
        .size:           4
        .value_kind:     by_value
      - .offset:         96
        .size:           4
        .value_kind:     hidden_block_count_x
      - .offset:         100
        .size:           4
        .value_kind:     hidden_block_count_y
      - .offset:         104
        .size:           4
        .value_kind:     hidden_block_count_z
      - .offset:         108
        .size:           2
        .value_kind:     hidden_group_size_x
      - .offset:         110
        .size:           2
        .value_kind:     hidden_group_size_y
      - .offset:         112
        .size:           2
        .value_kind:     hidden_group_size_z
      - .offset:         114
        .size:           2
        .value_kind:     hidden_remainder_x
      - .offset:         116
        .size:           2
        .value_kind:     hidden_remainder_y
      - .offset:         118
        .size:           2
        .value_kind:     hidden_remainder_z
      - .offset:         136
        .size:           8
        .value_kind:     hidden_global_offset_x
      - .offset:         144
        .size:           8
        .value_kind:     hidden_global_offset_y
      - .offset:         152
        .size:           8
        .value_kind:     hidden_global_offset_z
      - .offset:         160
        .size:           2
        .value_kind:     hidden_grid_dims
      - .offset:         216
        .size:           4
        .value_kind:     hidden_dynamic_lds_size
    .group_segment_fixed_size: 256
    .kernarg_segment_align: 8
    .kernarg_segment_size: 352
    .language:       OpenCL C
    .language_version:
      - 2
      - 0
    .max_flat_workgroup_size: 192
    .name:           _ZL9mul_mat_fI7__half2Li32ELi11ELi6ELb1EEvPKT_PKfPKiPfiiiiiiiiiiiiiiii
    .private_segment_fixed_size: 0
    .sgpr_count:     75
    .sgpr_spill_count: 0
    .symbol:         _ZL9mul_mat_fI7__half2Li32ELi11ELi6ELb1EEvPKT_PKfPKiPfiiiiiiiiiiiiiiii.kd
    .uniform_work_group_size: 1
    .uses_dynamic_stack: false
    .vgpr_count:     122
    .vgpr_spill_count: 0
    .wavefront_size: 32
    .workgroup_processor_mode: 1
  - .args:
      - .actual_access:  read_only
        .address_space:  global
        .offset:         0
        .size:           8
        .value_kind:     global_buffer
      - .actual_access:  read_only
        .address_space:  global
        .offset:         8
        .size:           8
        .value_kind:     global_buffer
      - .actual_access:  read_only
        .address_space:  global
        .offset:         16
        .size:           8
        .value_kind:     global_buffer
      - .actual_access:  write_only
        .address_space:  global
        .offset:         24
        .size:           8
        .value_kind:     global_buffer
      - .offset:         32
        .size:           4
        .value_kind:     by_value
      - .offset:         36
        .size:           4
        .value_kind:     by_value
      - .offset:         40
        .size:           4
        .value_kind:     by_value
      - .offset:         44
        .size:           4
        .value_kind:     by_value
      - .offset:         48
        .size:           4
        .value_kind:     by_value
      - .offset:         52
        .size:           4
        .value_kind:     by_value
      - .offset:         56
        .size:           4
        .value_kind:     by_value
      - .offset:         60
        .size:           4
        .value_kind:     by_value
      - .offset:         64
        .size:           4
        .value_kind:     by_value
      - .offset:         68
        .size:           4
        .value_kind:     by_value
      - .offset:         72
        .size:           4
        .value_kind:     by_value
      - .offset:         76
        .size:           4
        .value_kind:     by_value
      - .offset:         80
        .size:           4
        .value_kind:     by_value
      - .offset:         84
        .size:           4
        .value_kind:     by_value
      - .offset:         88
        .size:           4
        .value_kind:     by_value
      - .offset:         92
        .size:           4
        .value_kind:     by_value
    .group_segment_fixed_size: 0
    .kernarg_segment_align: 8
    .kernarg_segment_size: 96
    .language:       OpenCL C
    .language_version:
      - 2
      - 0
    .max_flat_workgroup_size: 192
    .name:           _ZL9mul_mat_fI7__half2Li32ELi11ELi6ELb0EEvPKT_PKfPKiPfiiiiiiiiiiiiiiii
    .private_segment_fixed_size: 0
    .sgpr_count:     62
    .sgpr_spill_count: 0
    .symbol:         _ZL9mul_mat_fI7__half2Li32ELi11ELi6ELb0EEvPKT_PKfPKiPfiiiiiiiiiiiiiiii.kd
    .uniform_work_group_size: 1
    .uses_dynamic_stack: false
    .vgpr_count:     121
    .vgpr_spill_count: 0
    .wavefront_size: 32
    .workgroup_processor_mode: 1
  - .args:
      - .actual_access:  read_only
        .address_space:  global
        .offset:         0
        .size:           8
        .value_kind:     global_buffer
      - .actual_access:  read_only
        .address_space:  global
        .offset:         8
        .size:           8
        .value_kind:     global_buffer
      - .actual_access:  read_only
        .address_space:  global
        .offset:         16
        .size:           8
        .value_kind:     global_buffer
      - .actual_access:  read_only
        .address_space:  global
        .offset:         24
        .size:           8
        .value_kind:     global_buffer
      - .actual_access:  read_only
        .address_space:  global
        .offset:         32
        .size:           8
        .value_kind:     global_buffer
      - .actual_access:  write_only
        .address_space:  global
        .offset:         40
        .size:           8
        .value_kind:     global_buffer
      - .offset:         48
        .size:           4
        .value_kind:     by_value
      - .offset:         52
        .size:           4
        .value_kind:     by_value
      - .offset:         56
        .size:           4
        .value_kind:     by_value
      - .offset:         60
        .size:           4
        .value_kind:     by_value
      - .offset:         64
        .size:           4
        .value_kind:     by_value
      - .offset:         68
        .size:           4
        .value_kind:     by_value
      - .offset:         72
        .size:           4
        .value_kind:     by_value
      - .offset:         76
        .size:           4
        .value_kind:     by_value
      - .offset:         80
        .size:           4
        .value_kind:     by_value
      - .offset:         84
        .size:           4
        .value_kind:     by_value
      - .offset:         88
        .size:           4
        .value_kind:     by_value
      - .offset:         92
        .size:           4
        .value_kind:     by_value
      - .offset:         96
        .size:           4
        .value_kind:     by_value
      - .offset:         100
        .size:           4
        .value_kind:     by_value
      - .offset:         104
        .size:           12
        .value_kind:     by_value
      - .offset:         116
        .size:           12
        .value_kind:     by_value
    .group_segment_fixed_size: 0
    .kernarg_segment_align: 8
    .kernarg_segment_size: 128
    .language:       OpenCL C
    .language_version:
      - 2
      - 0
    .max_flat_workgroup_size: 224
    .name:           _ZL13mul_mat_f_idsI7__half2Li32ELi11ELi7EEvPKT_PKfPKiS7_S7_Pfiiiiiiiiiiiiii15HIP_vector_typeIjLj3EESA_
    .private_segment_fixed_size: 0
    .sgpr_count:     78
    .sgpr_spill_count: 0
    .symbol:         _ZL13mul_mat_f_idsI7__half2Li32ELi11ELi7EEvPKT_PKfPKiS7_S7_Pfiiiiiiiiiiiiii15HIP_vector_typeIjLj3EESA_.kd
    .uniform_work_group_size: 1
    .uses_dynamic_stack: false
    .vgpr_count:     120
    .vgpr_spill_count: 0
    .wavefront_size: 32
    .workgroup_processor_mode: 1
  - .args:
      - .actual_access:  read_only
        .address_space:  global
        .offset:         0
        .size:           8
        .value_kind:     global_buffer
      - .actual_access:  read_only
        .address_space:  global
        .offset:         8
        .size:           8
        .value_kind:     global_buffer
      - .actual_access:  read_only
        .address_space:  global
        .offset:         16
        .size:           8
        .value_kind:     global_buffer
      - .actual_access:  write_only
        .address_space:  global
        .offset:         24
        .size:           8
        .value_kind:     global_buffer
      - .offset:         32
        .size:           4
        .value_kind:     by_value
      - .offset:         36
        .size:           4
        .value_kind:     by_value
      - .offset:         40
        .size:           4
        .value_kind:     by_value
      - .offset:         44
        .size:           4
        .value_kind:     by_value
      - .offset:         48
        .size:           4
        .value_kind:     by_value
      - .offset:         52
        .size:           4
        .value_kind:     by_value
      - .offset:         56
        .size:           4
        .value_kind:     by_value
      - .offset:         60
        .size:           4
        .value_kind:     by_value
      - .offset:         64
        .size:           4
        .value_kind:     by_value
      - .offset:         68
        .size:           4
        .value_kind:     by_value
      - .offset:         72
        .size:           4
        .value_kind:     by_value
      - .offset:         76
        .size:           4
        .value_kind:     by_value
      - .offset:         80
        .size:           4
        .value_kind:     by_value
      - .offset:         84
        .size:           4
        .value_kind:     by_value
      - .offset:         88
        .size:           4
        .value_kind:     by_value
      - .offset:         92
        .size:           4
        .value_kind:     by_value
      - .offset:         96
        .size:           4
        .value_kind:     hidden_block_count_x
      - .offset:         100
        .size:           4
        .value_kind:     hidden_block_count_y
      - .offset:         104
        .size:           4
        .value_kind:     hidden_block_count_z
      - .offset:         108
        .size:           2
        .value_kind:     hidden_group_size_x
      - .offset:         110
        .size:           2
        .value_kind:     hidden_group_size_y
      - .offset:         112
        .size:           2
        .value_kind:     hidden_group_size_z
      - .offset:         114
        .size:           2
        .value_kind:     hidden_remainder_x
      - .offset:         116
        .size:           2
        .value_kind:     hidden_remainder_y
      - .offset:         118
        .size:           2
        .value_kind:     hidden_remainder_z
      - .offset:         136
        .size:           8
        .value_kind:     hidden_global_offset_x
      - .offset:         144
        .size:           8
        .value_kind:     hidden_global_offset_y
      - .offset:         152
        .size:           8
        .value_kind:     hidden_global_offset_z
      - .offset:         160
        .size:           2
        .value_kind:     hidden_grid_dims
      - .offset:         216
        .size:           4
        .value_kind:     hidden_dynamic_lds_size
    .group_segment_fixed_size: 256
    .kernarg_segment_align: 8
    .kernarg_segment_size: 352
    .language:       OpenCL C
    .language_version:
      - 2
      - 0
    .max_flat_workgroup_size: 224
    .name:           _ZL9mul_mat_fI7__half2Li32ELi11ELi7ELb1EEvPKT_PKfPKiPfiiiiiiiiiiiiiiii
    .private_segment_fixed_size: 0
    .sgpr_count:     75
    .sgpr_spill_count: 0
    .symbol:         _ZL9mul_mat_fI7__half2Li32ELi11ELi7ELb1EEvPKT_PKfPKiPfiiiiiiiiiiiiiiii.kd
    .uniform_work_group_size: 1
    .uses_dynamic_stack: false
    .vgpr_count:     122
    .vgpr_spill_count: 0
    .wavefront_size: 32
    .workgroup_processor_mode: 1
  - .args:
      - .actual_access:  read_only
        .address_space:  global
        .offset:         0
        .size:           8
        .value_kind:     global_buffer
      - .actual_access:  read_only
        .address_space:  global
        .offset:         8
        .size:           8
        .value_kind:     global_buffer
      - .actual_access:  read_only
        .address_space:  global
        .offset:         16
        .size:           8
        .value_kind:     global_buffer
      - .actual_access:  write_only
        .address_space:  global
        .offset:         24
        .size:           8
        .value_kind:     global_buffer
      - .offset:         32
        .size:           4
        .value_kind:     by_value
      - .offset:         36
        .size:           4
        .value_kind:     by_value
      - .offset:         40
        .size:           4
        .value_kind:     by_value
      - .offset:         44
        .size:           4
        .value_kind:     by_value
      - .offset:         48
        .size:           4
        .value_kind:     by_value
      - .offset:         52
        .size:           4
        .value_kind:     by_value
      - .offset:         56
        .size:           4
        .value_kind:     by_value
      - .offset:         60
        .size:           4
        .value_kind:     by_value
      - .offset:         64
        .size:           4
        .value_kind:     by_value
      - .offset:         68
        .size:           4
        .value_kind:     by_value
      - .offset:         72
        .size:           4
        .value_kind:     by_value
      - .offset:         76
        .size:           4
        .value_kind:     by_value
      - .offset:         80
        .size:           4
        .value_kind:     by_value
      - .offset:         84
        .size:           4
        .value_kind:     by_value
      - .offset:         88
        .size:           4
        .value_kind:     by_value
      - .offset:         92
        .size:           4
        .value_kind:     by_value
    .group_segment_fixed_size: 0
    .kernarg_segment_align: 8
    .kernarg_segment_size: 96
    .language:       OpenCL C
    .language_version:
      - 2
      - 0
    .max_flat_workgroup_size: 224
    .name:           _ZL9mul_mat_fI7__half2Li32ELi11ELi7ELb0EEvPKT_PKfPKiPfiiiiiiiiiiiiiiii
    .private_segment_fixed_size: 0
    .sgpr_count:     62
    .sgpr_spill_count: 0
    .symbol:         _ZL9mul_mat_fI7__half2Li32ELi11ELi7ELb0EEvPKT_PKfPKiPfiiiiiiiiiiiiiiii.kd
    .uniform_work_group_size: 1
    .uses_dynamic_stack: false
    .vgpr_count:     121
    .vgpr_spill_count: 0
    .wavefront_size: 32
    .workgroup_processor_mode: 1
  - .args:
      - .actual_access:  read_only
        .address_space:  global
        .offset:         0
        .size:           8
        .value_kind:     global_buffer
      - .actual_access:  read_only
        .address_space:  global
        .offset:         8
        .size:           8
        .value_kind:     global_buffer
      - .actual_access:  read_only
        .address_space:  global
        .offset:         16
        .size:           8
        .value_kind:     global_buffer
      - .actual_access:  read_only
        .address_space:  global
        .offset:         24
        .size:           8
        .value_kind:     global_buffer
      - .actual_access:  read_only
        .address_space:  global
        .offset:         32
        .size:           8
        .value_kind:     global_buffer
      - .actual_access:  write_only
        .address_space:  global
        .offset:         40
        .size:           8
        .value_kind:     global_buffer
      - .offset:         48
        .size:           4
        .value_kind:     by_value
      - .offset:         52
        .size:           4
        .value_kind:     by_value
      - .offset:         56
        .size:           4
        .value_kind:     by_value
      - .offset:         60
        .size:           4
        .value_kind:     by_value
      - .offset:         64
        .size:           4
        .value_kind:     by_value
      - .offset:         68
        .size:           4
        .value_kind:     by_value
      - .offset:         72
        .size:           4
        .value_kind:     by_value
      - .offset:         76
        .size:           4
        .value_kind:     by_value
      - .offset:         80
        .size:           4
        .value_kind:     by_value
      - .offset:         84
        .size:           4
        .value_kind:     by_value
      - .offset:         88
        .size:           4
        .value_kind:     by_value
      - .offset:         92
        .size:           4
        .value_kind:     by_value
      - .offset:         96
        .size:           4
        .value_kind:     by_value
      - .offset:         100
        .size:           4
        .value_kind:     by_value
      - .offset:         104
        .size:           12
        .value_kind:     by_value
      - .offset:         116
        .size:           12
        .value_kind:     by_value
    .group_segment_fixed_size: 0
    .kernarg_segment_align: 8
    .kernarg_segment_size: 128
    .language:       OpenCL C
    .language_version:
      - 2
      - 0
    .max_flat_workgroup_size: 256
    .name:           _ZL13mul_mat_f_idsI7__half2Li32ELi11ELi8EEvPKT_PKfPKiS7_S7_Pfiiiiiiiiiiiiii15HIP_vector_typeIjLj3EESA_
    .private_segment_fixed_size: 0
    .sgpr_count:     78
    .sgpr_spill_count: 0
    .symbol:         _ZL13mul_mat_f_idsI7__half2Li32ELi11ELi8EEvPKT_PKfPKiS7_S7_Pfiiiiiiiiiiiiii15HIP_vector_typeIjLj3EESA_.kd
    .uniform_work_group_size: 1
    .uses_dynamic_stack: false
    .vgpr_count:     120
    .vgpr_spill_count: 0
    .wavefront_size: 32
    .workgroup_processor_mode: 1
  - .args:
      - .actual_access:  read_only
        .address_space:  global
        .offset:         0
        .size:           8
        .value_kind:     global_buffer
      - .actual_access:  read_only
        .address_space:  global
        .offset:         8
        .size:           8
        .value_kind:     global_buffer
      - .actual_access:  read_only
        .address_space:  global
        .offset:         16
        .size:           8
        .value_kind:     global_buffer
      - .actual_access:  write_only
        .address_space:  global
        .offset:         24
        .size:           8
        .value_kind:     global_buffer
      - .offset:         32
        .size:           4
        .value_kind:     by_value
      - .offset:         36
        .size:           4
        .value_kind:     by_value
      - .offset:         40
        .size:           4
        .value_kind:     by_value
      - .offset:         44
        .size:           4
        .value_kind:     by_value
      - .offset:         48
        .size:           4
        .value_kind:     by_value
      - .offset:         52
        .size:           4
        .value_kind:     by_value
      - .offset:         56
        .size:           4
        .value_kind:     by_value
      - .offset:         60
        .size:           4
        .value_kind:     by_value
      - .offset:         64
        .size:           4
        .value_kind:     by_value
      - .offset:         68
        .size:           4
        .value_kind:     by_value
      - .offset:         72
        .size:           4
        .value_kind:     by_value
      - .offset:         76
        .size:           4
        .value_kind:     by_value
      - .offset:         80
        .size:           4
        .value_kind:     by_value
      - .offset:         84
        .size:           4
        .value_kind:     by_value
      - .offset:         88
        .size:           4
        .value_kind:     by_value
      - .offset:         92
        .size:           4
        .value_kind:     by_value
      - .offset:         96
        .size:           4
        .value_kind:     hidden_block_count_x
      - .offset:         100
        .size:           4
        .value_kind:     hidden_block_count_y
      - .offset:         104
        .size:           4
        .value_kind:     hidden_block_count_z
      - .offset:         108
        .size:           2
        .value_kind:     hidden_group_size_x
      - .offset:         110
        .size:           2
        .value_kind:     hidden_group_size_y
      - .offset:         112
        .size:           2
        .value_kind:     hidden_group_size_z
      - .offset:         114
        .size:           2
        .value_kind:     hidden_remainder_x
      - .offset:         116
        .size:           2
        .value_kind:     hidden_remainder_y
      - .offset:         118
        .size:           2
        .value_kind:     hidden_remainder_z
      - .offset:         136
        .size:           8
        .value_kind:     hidden_global_offset_x
      - .offset:         144
        .size:           8
        .value_kind:     hidden_global_offset_y
      - .offset:         152
        .size:           8
        .value_kind:     hidden_global_offset_z
      - .offset:         160
        .size:           2
        .value_kind:     hidden_grid_dims
      - .offset:         216
        .size:           4
        .value_kind:     hidden_dynamic_lds_size
    .group_segment_fixed_size: 256
    .kernarg_segment_align: 8
    .kernarg_segment_size: 352
    .language:       OpenCL C
    .language_version:
      - 2
      - 0
    .max_flat_workgroup_size: 256
    .name:           _ZL9mul_mat_fI7__half2Li32ELi11ELi8ELb1EEvPKT_PKfPKiPfiiiiiiiiiiiiiiii
    .private_segment_fixed_size: 0
    .sgpr_count:     75
    .sgpr_spill_count: 0
    .symbol:         _ZL9mul_mat_fI7__half2Li32ELi11ELi8ELb1EEvPKT_PKfPKiPfiiiiiiiiiiiiiiii.kd
    .uniform_work_group_size: 1
    .uses_dynamic_stack: false
    .vgpr_count:     122
    .vgpr_spill_count: 0
    .wavefront_size: 32
    .workgroup_processor_mode: 1
  - .args:
      - .actual_access:  read_only
        .address_space:  global
        .offset:         0
        .size:           8
        .value_kind:     global_buffer
      - .actual_access:  read_only
        .address_space:  global
        .offset:         8
        .size:           8
        .value_kind:     global_buffer
      - .actual_access:  read_only
        .address_space:  global
        .offset:         16
        .size:           8
        .value_kind:     global_buffer
      - .actual_access:  write_only
        .address_space:  global
        .offset:         24
        .size:           8
        .value_kind:     global_buffer
      - .offset:         32
        .size:           4
        .value_kind:     by_value
      - .offset:         36
        .size:           4
        .value_kind:     by_value
      - .offset:         40
        .size:           4
        .value_kind:     by_value
      - .offset:         44
        .size:           4
        .value_kind:     by_value
      - .offset:         48
        .size:           4
        .value_kind:     by_value
      - .offset:         52
        .size:           4
        .value_kind:     by_value
      - .offset:         56
        .size:           4
        .value_kind:     by_value
      - .offset:         60
        .size:           4
        .value_kind:     by_value
      - .offset:         64
        .size:           4
        .value_kind:     by_value
      - .offset:         68
        .size:           4
        .value_kind:     by_value
      - .offset:         72
        .size:           4
        .value_kind:     by_value
      - .offset:         76
        .size:           4
        .value_kind:     by_value
      - .offset:         80
        .size:           4
        .value_kind:     by_value
      - .offset:         84
        .size:           4
        .value_kind:     by_value
      - .offset:         88
        .size:           4
        .value_kind:     by_value
      - .offset:         92
        .size:           4
        .value_kind:     by_value
    .group_segment_fixed_size: 0
    .kernarg_segment_align: 8
    .kernarg_segment_size: 96
    .language:       OpenCL C
    .language_version:
      - 2
      - 0
    .max_flat_workgroup_size: 256
    .name:           _ZL9mul_mat_fI7__half2Li32ELi11ELi8ELb0EEvPKT_PKfPKiPfiiiiiiiiiiiiiiii
    .private_segment_fixed_size: 0
    .sgpr_count:     62
    .sgpr_spill_count: 0
    .symbol:         _ZL9mul_mat_fI7__half2Li32ELi11ELi8ELb0EEvPKT_PKfPKiPfiiiiiiiiiiiiiiii.kd
    .uniform_work_group_size: 1
    .uses_dynamic_stack: false
    .vgpr_count:     121
    .vgpr_spill_count: 0
    .wavefront_size: 32
    .workgroup_processor_mode: 1
  - .args:
      - .actual_access:  read_only
        .address_space:  global
        .offset:         0
        .size:           8
        .value_kind:     global_buffer
      - .actual_access:  read_only
        .address_space:  global
        .offset:         8
        .size:           8
        .value_kind:     global_buffer
      - .actual_access:  read_only
        .address_space:  global
        .offset:         16
        .size:           8
        .value_kind:     global_buffer
      - .actual_access:  read_only
        .address_space:  global
        .offset:         24
        .size:           8
        .value_kind:     global_buffer
      - .actual_access:  read_only
        .address_space:  global
        .offset:         32
        .size:           8
        .value_kind:     global_buffer
      - .actual_access:  write_only
        .address_space:  global
        .offset:         40
        .size:           8
        .value_kind:     global_buffer
      - .offset:         48
        .size:           4
        .value_kind:     by_value
      - .offset:         52
        .size:           4
        .value_kind:     by_value
      - .offset:         56
        .size:           4
        .value_kind:     by_value
      - .offset:         60
        .size:           4
        .value_kind:     by_value
      - .offset:         64
        .size:           4
        .value_kind:     by_value
      - .offset:         68
        .size:           4
        .value_kind:     by_value
      - .offset:         72
        .size:           4
        .value_kind:     by_value
      - .offset:         76
        .size:           4
        .value_kind:     by_value
      - .offset:         80
        .size:           4
        .value_kind:     by_value
      - .offset:         84
        .size:           4
        .value_kind:     by_value
      - .offset:         88
        .size:           4
        .value_kind:     by_value
      - .offset:         92
        .size:           4
        .value_kind:     by_value
      - .offset:         96
        .size:           4
        .value_kind:     by_value
      - .offset:         100
        .size:           4
        .value_kind:     by_value
      - .offset:         104
        .size:           12
        .value_kind:     by_value
      - .offset:         116
        .size:           12
        .value_kind:     by_value
    .group_segment_fixed_size: 0
    .kernarg_segment_align: 8
    .kernarg_segment_size: 128
    .language:       OpenCL C
    .language_version:
      - 2
      - 0
    .max_flat_workgroup_size: 32
    .name:           _ZL13mul_mat_f_idsI15__hip_bfloat162Li32ELi11ELi1EEvPKT_PKfPKiS7_S7_Pfiiiiiiiiiiiiii15HIP_vector_typeIjLj3EESA_
    .private_segment_fixed_size: 0
    .sgpr_count:     78
    .sgpr_spill_count: 0
    .symbol:         _ZL13mul_mat_f_idsI15__hip_bfloat162Li32ELi11ELi1EEvPKT_PKfPKiS7_S7_Pfiiiiiiiiiiiiii15HIP_vector_typeIjLj3EESA_.kd
    .uniform_work_group_size: 1
    .uses_dynamic_stack: false
    .vgpr_count:     120
    .vgpr_spill_count: 0
    .wavefront_size: 32
    .workgroup_processor_mode: 1
  - .args:
      - .actual_access:  read_only
        .address_space:  global
        .offset:         0
        .size:           8
        .value_kind:     global_buffer
      - .actual_access:  read_only
        .address_space:  global
        .offset:         8
        .size:           8
        .value_kind:     global_buffer
      - .actual_access:  read_only
        .address_space:  global
        .offset:         16
        .size:           8
        .value_kind:     global_buffer
      - .actual_access:  write_only
        .address_space:  global
        .offset:         24
        .size:           8
        .value_kind:     global_buffer
      - .offset:         32
        .size:           4
        .value_kind:     by_value
      - .offset:         36
        .size:           4
        .value_kind:     by_value
      - .offset:         40
        .size:           4
        .value_kind:     by_value
      - .offset:         44
        .size:           4
        .value_kind:     by_value
      - .offset:         48
        .size:           4
        .value_kind:     by_value
      - .offset:         52
        .size:           4
        .value_kind:     by_value
      - .offset:         56
        .size:           4
        .value_kind:     by_value
      - .offset:         60
        .size:           4
        .value_kind:     by_value
      - .offset:         64
        .size:           4
        .value_kind:     by_value
      - .offset:         68
        .size:           4
        .value_kind:     by_value
      - .offset:         72
        .size:           4
        .value_kind:     by_value
      - .offset:         76
        .size:           4
        .value_kind:     by_value
      - .offset:         80
        .size:           4
        .value_kind:     by_value
      - .offset:         84
        .size:           4
        .value_kind:     by_value
      - .offset:         88
        .size:           4
        .value_kind:     by_value
      - .offset:         92
        .size:           4
        .value_kind:     by_value
      - .offset:         96
        .size:           4
        .value_kind:     hidden_block_count_x
      - .offset:         100
        .size:           4
        .value_kind:     hidden_block_count_y
      - .offset:         104
        .size:           4
        .value_kind:     hidden_block_count_z
      - .offset:         108
        .size:           2
        .value_kind:     hidden_group_size_x
      - .offset:         110
        .size:           2
        .value_kind:     hidden_group_size_y
      - .offset:         112
        .size:           2
        .value_kind:     hidden_group_size_z
      - .offset:         114
        .size:           2
        .value_kind:     hidden_remainder_x
      - .offset:         116
        .size:           2
        .value_kind:     hidden_remainder_y
      - .offset:         118
        .size:           2
        .value_kind:     hidden_remainder_z
      - .offset:         136
        .size:           8
        .value_kind:     hidden_global_offset_x
      - .offset:         144
        .size:           8
        .value_kind:     hidden_global_offset_y
      - .offset:         152
        .size:           8
        .value_kind:     hidden_global_offset_z
      - .offset:         160
        .size:           2
        .value_kind:     hidden_grid_dims
      - .offset:         216
        .size:           4
        .value_kind:     hidden_dynamic_lds_size
    .group_segment_fixed_size: 256
    .kernarg_segment_align: 8
    .kernarg_segment_size: 352
    .language:       OpenCL C
    .language_version:
      - 2
      - 0
    .max_flat_workgroup_size: 32
    .name:           _ZL9mul_mat_fI15__hip_bfloat162Li32ELi11ELi1ELb1EEvPKT_PKfPKiPfiiiiiiiiiiiiiiii
    .private_segment_fixed_size: 0
    .sgpr_count:     84
    .sgpr_spill_count: 0
    .symbol:         _ZL9mul_mat_fI15__hip_bfloat162Li32ELi11ELi1ELb1EEvPKT_PKfPKiPfiiiiiiiiiiiiiiii.kd
    .uniform_work_group_size: 1
    .uses_dynamic_stack: false
    .vgpr_count:     121
    .vgpr_spill_count: 0
    .wavefront_size: 32
    .workgroup_processor_mode: 1
  - .args:
      - .actual_access:  read_only
        .address_space:  global
        .offset:         0
        .size:           8
        .value_kind:     global_buffer
      - .actual_access:  read_only
        .address_space:  global
        .offset:         8
        .size:           8
        .value_kind:     global_buffer
      - .actual_access:  read_only
        .address_space:  global
        .offset:         16
        .size:           8
        .value_kind:     global_buffer
      - .actual_access:  write_only
        .address_space:  global
        .offset:         24
        .size:           8
        .value_kind:     global_buffer
      - .offset:         32
        .size:           4
        .value_kind:     by_value
      - .offset:         36
        .size:           4
        .value_kind:     by_value
      - .offset:         40
        .size:           4
        .value_kind:     by_value
      - .offset:         44
        .size:           4
        .value_kind:     by_value
      - .offset:         48
        .size:           4
        .value_kind:     by_value
      - .offset:         52
        .size:           4
        .value_kind:     by_value
      - .offset:         56
        .size:           4
        .value_kind:     by_value
      - .offset:         60
        .size:           4
        .value_kind:     by_value
      - .offset:         64
        .size:           4
        .value_kind:     by_value
      - .offset:         68
        .size:           4
        .value_kind:     by_value
      - .offset:         72
        .size:           4
        .value_kind:     by_value
      - .offset:         76
        .size:           4
        .value_kind:     by_value
      - .offset:         80
        .size:           4
        .value_kind:     by_value
      - .offset:         84
        .size:           4
        .value_kind:     by_value
      - .offset:         88
        .size:           4
        .value_kind:     by_value
      - .offset:         92
        .size:           4
        .value_kind:     by_value
    .group_segment_fixed_size: 0
    .kernarg_segment_align: 8
    .kernarg_segment_size: 96
    .language:       OpenCL C
    .language_version:
      - 2
      - 0
    .max_flat_workgroup_size: 32
    .name:           _ZL9mul_mat_fI15__hip_bfloat162Li32ELi11ELi1ELb0EEvPKT_PKfPKiPfiiiiiiiiiiiiiiii
    .private_segment_fixed_size: 0
    .sgpr_count:     62
    .sgpr_spill_count: 0
    .symbol:         _ZL9mul_mat_fI15__hip_bfloat162Li32ELi11ELi1ELb0EEvPKT_PKfPKiPfiiiiiiiiiiiiiiii.kd
    .uniform_work_group_size: 1
    .uses_dynamic_stack: false
    .vgpr_count:     119
    .vgpr_spill_count: 0
    .wavefront_size: 32
    .workgroup_processor_mode: 1
  - .args:
      - .actual_access:  read_only
        .address_space:  global
        .offset:         0
        .size:           8
        .value_kind:     global_buffer
      - .actual_access:  read_only
        .address_space:  global
        .offset:         8
        .size:           8
        .value_kind:     global_buffer
      - .actual_access:  read_only
        .address_space:  global
        .offset:         16
        .size:           8
        .value_kind:     global_buffer
      - .actual_access:  read_only
        .address_space:  global
        .offset:         24
        .size:           8
        .value_kind:     global_buffer
      - .actual_access:  read_only
        .address_space:  global
        .offset:         32
        .size:           8
        .value_kind:     global_buffer
      - .actual_access:  write_only
        .address_space:  global
        .offset:         40
        .size:           8
        .value_kind:     global_buffer
      - .offset:         48
        .size:           4
        .value_kind:     by_value
      - .offset:         52
        .size:           4
        .value_kind:     by_value
      - .offset:         56
        .size:           4
        .value_kind:     by_value
      - .offset:         60
        .size:           4
        .value_kind:     by_value
      - .offset:         64
        .size:           4
        .value_kind:     by_value
      - .offset:         68
        .size:           4
        .value_kind:     by_value
      - .offset:         72
        .size:           4
        .value_kind:     by_value
      - .offset:         76
        .size:           4
        .value_kind:     by_value
      - .offset:         80
        .size:           4
        .value_kind:     by_value
      - .offset:         84
        .size:           4
        .value_kind:     by_value
      - .offset:         88
        .size:           4
        .value_kind:     by_value
      - .offset:         92
        .size:           4
        .value_kind:     by_value
      - .offset:         96
        .size:           4
        .value_kind:     by_value
      - .offset:         100
        .size:           4
        .value_kind:     by_value
      - .offset:         104
        .size:           12
        .value_kind:     by_value
      - .offset:         116
        .size:           12
        .value_kind:     by_value
    .group_segment_fixed_size: 0
    .kernarg_segment_align: 8
    .kernarg_segment_size: 128
    .language:       OpenCL C
    .language_version:
      - 2
      - 0
    .max_flat_workgroup_size: 64
    .name:           _ZL13mul_mat_f_idsI15__hip_bfloat162Li32ELi11ELi2EEvPKT_PKfPKiS7_S7_Pfiiiiiiiiiiiiii15HIP_vector_typeIjLj3EESA_
    .private_segment_fixed_size: 0
    .sgpr_count:     78
    .sgpr_spill_count: 0
    .symbol:         _ZL13mul_mat_f_idsI15__hip_bfloat162Li32ELi11ELi2EEvPKT_PKfPKiS7_S7_Pfiiiiiiiiiiiiii15HIP_vector_typeIjLj3EESA_.kd
    .uniform_work_group_size: 1
    .uses_dynamic_stack: false
    .vgpr_count:     120
    .vgpr_spill_count: 0
    .wavefront_size: 32
    .workgroup_processor_mode: 1
  - .args:
      - .actual_access:  read_only
        .address_space:  global
        .offset:         0
        .size:           8
        .value_kind:     global_buffer
      - .actual_access:  read_only
        .address_space:  global
        .offset:         8
        .size:           8
        .value_kind:     global_buffer
      - .actual_access:  read_only
        .address_space:  global
        .offset:         16
        .size:           8
        .value_kind:     global_buffer
      - .actual_access:  write_only
        .address_space:  global
        .offset:         24
        .size:           8
        .value_kind:     global_buffer
      - .offset:         32
        .size:           4
        .value_kind:     by_value
      - .offset:         36
        .size:           4
        .value_kind:     by_value
      - .offset:         40
        .size:           4
        .value_kind:     by_value
      - .offset:         44
        .size:           4
        .value_kind:     by_value
      - .offset:         48
        .size:           4
        .value_kind:     by_value
      - .offset:         52
        .size:           4
        .value_kind:     by_value
      - .offset:         56
        .size:           4
        .value_kind:     by_value
      - .offset:         60
        .size:           4
        .value_kind:     by_value
      - .offset:         64
        .size:           4
        .value_kind:     by_value
      - .offset:         68
        .size:           4
        .value_kind:     by_value
      - .offset:         72
        .size:           4
        .value_kind:     by_value
      - .offset:         76
        .size:           4
        .value_kind:     by_value
      - .offset:         80
        .size:           4
        .value_kind:     by_value
      - .offset:         84
        .size:           4
        .value_kind:     by_value
      - .offset:         88
        .size:           4
        .value_kind:     by_value
      - .offset:         92
        .size:           4
        .value_kind:     by_value
      - .offset:         96
        .size:           4
        .value_kind:     hidden_block_count_x
      - .offset:         100
        .size:           4
        .value_kind:     hidden_block_count_y
      - .offset:         104
        .size:           4
        .value_kind:     hidden_block_count_z
      - .offset:         108
        .size:           2
        .value_kind:     hidden_group_size_x
      - .offset:         110
        .size:           2
        .value_kind:     hidden_group_size_y
      - .offset:         112
        .size:           2
        .value_kind:     hidden_group_size_z
      - .offset:         114
        .size:           2
        .value_kind:     hidden_remainder_x
      - .offset:         116
        .size:           2
        .value_kind:     hidden_remainder_y
      - .offset:         118
        .size:           2
        .value_kind:     hidden_remainder_z
      - .offset:         136
        .size:           8
        .value_kind:     hidden_global_offset_x
      - .offset:         144
        .size:           8
        .value_kind:     hidden_global_offset_y
      - .offset:         152
        .size:           8
        .value_kind:     hidden_global_offset_z
      - .offset:         160
        .size:           2
        .value_kind:     hidden_grid_dims
      - .offset:         216
        .size:           4
        .value_kind:     hidden_dynamic_lds_size
    .group_segment_fixed_size: 256
    .kernarg_segment_align: 8
    .kernarg_segment_size: 352
    .language:       OpenCL C
    .language_version:
      - 2
      - 0
    .max_flat_workgroup_size: 64
    .name:           _ZL9mul_mat_fI15__hip_bfloat162Li32ELi11ELi2ELb1EEvPKT_PKfPKiPfiiiiiiiiiiiiiiii
    .private_segment_fixed_size: 0
    .sgpr_count:     79
    .sgpr_spill_count: 0
    .symbol:         _ZL9mul_mat_fI15__hip_bfloat162Li32ELi11ELi2ELb1EEvPKT_PKfPKiPfiiiiiiiiiiiiiiii.kd
    .uniform_work_group_size: 1
    .uses_dynamic_stack: false
    .vgpr_count:     116
    .vgpr_spill_count: 0
    .wavefront_size: 32
    .workgroup_processor_mode: 1
  - .args:
      - .actual_access:  read_only
        .address_space:  global
        .offset:         0
        .size:           8
        .value_kind:     global_buffer
      - .actual_access:  read_only
        .address_space:  global
        .offset:         8
        .size:           8
        .value_kind:     global_buffer
      - .actual_access:  read_only
        .address_space:  global
        .offset:         16
        .size:           8
        .value_kind:     global_buffer
      - .actual_access:  write_only
        .address_space:  global
        .offset:         24
        .size:           8
        .value_kind:     global_buffer
      - .offset:         32
        .size:           4
        .value_kind:     by_value
      - .offset:         36
        .size:           4
        .value_kind:     by_value
      - .offset:         40
        .size:           4
        .value_kind:     by_value
      - .offset:         44
        .size:           4
        .value_kind:     by_value
      - .offset:         48
        .size:           4
        .value_kind:     by_value
      - .offset:         52
        .size:           4
        .value_kind:     by_value
      - .offset:         56
        .size:           4
        .value_kind:     by_value
      - .offset:         60
        .size:           4
        .value_kind:     by_value
      - .offset:         64
        .size:           4
        .value_kind:     by_value
      - .offset:         68
        .size:           4
        .value_kind:     by_value
      - .offset:         72
        .size:           4
        .value_kind:     by_value
      - .offset:         76
        .size:           4
        .value_kind:     by_value
      - .offset:         80
        .size:           4
        .value_kind:     by_value
      - .offset:         84
        .size:           4
        .value_kind:     by_value
      - .offset:         88
        .size:           4
        .value_kind:     by_value
      - .offset:         92
        .size:           4
        .value_kind:     by_value
    .group_segment_fixed_size: 0
    .kernarg_segment_align: 8
    .kernarg_segment_size: 96
    .language:       OpenCL C
    .language_version:
      - 2
      - 0
    .max_flat_workgroup_size: 64
    .name:           _ZL9mul_mat_fI15__hip_bfloat162Li32ELi11ELi2ELb0EEvPKT_PKfPKiPfiiiiiiiiiiiiiiii
    .private_segment_fixed_size: 0
    .sgpr_count:     62
    .sgpr_spill_count: 0
    .symbol:         _ZL9mul_mat_fI15__hip_bfloat162Li32ELi11ELi2ELb0EEvPKT_PKfPKiPfiiiiiiiiiiiiiiii.kd
    .uniform_work_group_size: 1
    .uses_dynamic_stack: false
    .vgpr_count:     118
    .vgpr_spill_count: 0
    .wavefront_size: 32
    .workgroup_processor_mode: 1
  - .args:
      - .actual_access:  read_only
        .address_space:  global
        .offset:         0
        .size:           8
        .value_kind:     global_buffer
      - .actual_access:  read_only
        .address_space:  global
        .offset:         8
        .size:           8
        .value_kind:     global_buffer
      - .actual_access:  read_only
        .address_space:  global
        .offset:         16
        .size:           8
        .value_kind:     global_buffer
      - .actual_access:  read_only
        .address_space:  global
        .offset:         24
        .size:           8
        .value_kind:     global_buffer
      - .actual_access:  read_only
        .address_space:  global
        .offset:         32
        .size:           8
        .value_kind:     global_buffer
      - .actual_access:  write_only
        .address_space:  global
        .offset:         40
        .size:           8
        .value_kind:     global_buffer
      - .offset:         48
        .size:           4
        .value_kind:     by_value
      - .offset:         52
        .size:           4
        .value_kind:     by_value
      - .offset:         56
        .size:           4
        .value_kind:     by_value
      - .offset:         60
        .size:           4
        .value_kind:     by_value
      - .offset:         64
        .size:           4
        .value_kind:     by_value
      - .offset:         68
        .size:           4
        .value_kind:     by_value
      - .offset:         72
        .size:           4
        .value_kind:     by_value
      - .offset:         76
        .size:           4
        .value_kind:     by_value
      - .offset:         80
        .size:           4
        .value_kind:     by_value
      - .offset:         84
        .size:           4
        .value_kind:     by_value
      - .offset:         88
        .size:           4
        .value_kind:     by_value
      - .offset:         92
        .size:           4
        .value_kind:     by_value
      - .offset:         96
        .size:           4
        .value_kind:     by_value
      - .offset:         100
        .size:           4
        .value_kind:     by_value
      - .offset:         104
        .size:           12
        .value_kind:     by_value
      - .offset:         116
        .size:           12
        .value_kind:     by_value
    .group_segment_fixed_size: 0
    .kernarg_segment_align: 8
    .kernarg_segment_size: 128
    .language:       OpenCL C
    .language_version:
      - 2
      - 0
    .max_flat_workgroup_size: 96
    .name:           _ZL13mul_mat_f_idsI15__hip_bfloat162Li32ELi11ELi3EEvPKT_PKfPKiS7_S7_Pfiiiiiiiiiiiiii15HIP_vector_typeIjLj3EESA_
    .private_segment_fixed_size: 0
    .sgpr_count:     78
    .sgpr_spill_count: 0
    .symbol:         _ZL13mul_mat_f_idsI15__hip_bfloat162Li32ELi11ELi3EEvPKT_PKfPKiS7_S7_Pfiiiiiiiiiiiiii15HIP_vector_typeIjLj3EESA_.kd
    .uniform_work_group_size: 1
    .uses_dynamic_stack: false
    .vgpr_count:     120
    .vgpr_spill_count: 0
    .wavefront_size: 32
    .workgroup_processor_mode: 1
  - .args:
      - .actual_access:  read_only
        .address_space:  global
        .offset:         0
        .size:           8
        .value_kind:     global_buffer
      - .actual_access:  read_only
        .address_space:  global
        .offset:         8
        .size:           8
        .value_kind:     global_buffer
      - .actual_access:  read_only
        .address_space:  global
        .offset:         16
        .size:           8
        .value_kind:     global_buffer
      - .actual_access:  write_only
        .address_space:  global
        .offset:         24
        .size:           8
        .value_kind:     global_buffer
      - .offset:         32
        .size:           4
        .value_kind:     by_value
      - .offset:         36
        .size:           4
        .value_kind:     by_value
      - .offset:         40
        .size:           4
        .value_kind:     by_value
      - .offset:         44
        .size:           4
        .value_kind:     by_value
      - .offset:         48
        .size:           4
        .value_kind:     by_value
      - .offset:         52
        .size:           4
        .value_kind:     by_value
      - .offset:         56
        .size:           4
        .value_kind:     by_value
      - .offset:         60
        .size:           4
        .value_kind:     by_value
      - .offset:         64
        .size:           4
        .value_kind:     by_value
      - .offset:         68
        .size:           4
        .value_kind:     by_value
      - .offset:         72
        .size:           4
        .value_kind:     by_value
      - .offset:         76
        .size:           4
        .value_kind:     by_value
      - .offset:         80
        .size:           4
        .value_kind:     by_value
      - .offset:         84
        .size:           4
        .value_kind:     by_value
      - .offset:         88
        .size:           4
        .value_kind:     by_value
      - .offset:         92
        .size:           4
        .value_kind:     by_value
      - .offset:         96
        .size:           4
        .value_kind:     hidden_block_count_x
      - .offset:         100
        .size:           4
        .value_kind:     hidden_block_count_y
      - .offset:         104
        .size:           4
        .value_kind:     hidden_block_count_z
      - .offset:         108
        .size:           2
        .value_kind:     hidden_group_size_x
      - .offset:         110
        .size:           2
        .value_kind:     hidden_group_size_y
      - .offset:         112
        .size:           2
        .value_kind:     hidden_group_size_z
      - .offset:         114
        .size:           2
        .value_kind:     hidden_remainder_x
      - .offset:         116
        .size:           2
        .value_kind:     hidden_remainder_y
      - .offset:         118
        .size:           2
        .value_kind:     hidden_remainder_z
      - .offset:         136
        .size:           8
        .value_kind:     hidden_global_offset_x
      - .offset:         144
        .size:           8
        .value_kind:     hidden_global_offset_y
      - .offset:         152
        .size:           8
        .value_kind:     hidden_global_offset_z
      - .offset:         160
        .size:           2
        .value_kind:     hidden_grid_dims
      - .offset:         216
        .size:           4
        .value_kind:     hidden_dynamic_lds_size
    .group_segment_fixed_size: 256
    .kernarg_segment_align: 8
    .kernarg_segment_size: 352
    .language:       OpenCL C
    .language_version:
      - 2
      - 0
    .max_flat_workgroup_size: 96
    .name:           _ZL9mul_mat_fI15__hip_bfloat162Li32ELi11ELi3ELb1EEvPKT_PKfPKiPfiiiiiiiiiiiiiiii
    .private_segment_fixed_size: 0
    .sgpr_count:     77
    .sgpr_spill_count: 0
    .symbol:         _ZL9mul_mat_fI15__hip_bfloat162Li32ELi11ELi3ELb1EEvPKT_PKfPKiPfiiiiiiiiiiiiiiii.kd
    .uniform_work_group_size: 1
    .uses_dynamic_stack: false
    .vgpr_count:     114
    .vgpr_spill_count: 0
    .wavefront_size: 32
    .workgroup_processor_mode: 1
  - .args:
      - .actual_access:  read_only
        .address_space:  global
        .offset:         0
        .size:           8
        .value_kind:     global_buffer
      - .actual_access:  read_only
        .address_space:  global
        .offset:         8
        .size:           8
        .value_kind:     global_buffer
      - .actual_access:  read_only
        .address_space:  global
        .offset:         16
        .size:           8
        .value_kind:     global_buffer
      - .actual_access:  write_only
        .address_space:  global
        .offset:         24
        .size:           8
        .value_kind:     global_buffer
      - .offset:         32
        .size:           4
        .value_kind:     by_value
      - .offset:         36
        .size:           4
        .value_kind:     by_value
      - .offset:         40
        .size:           4
        .value_kind:     by_value
      - .offset:         44
        .size:           4
        .value_kind:     by_value
      - .offset:         48
        .size:           4
        .value_kind:     by_value
      - .offset:         52
        .size:           4
        .value_kind:     by_value
      - .offset:         56
        .size:           4
        .value_kind:     by_value
      - .offset:         60
        .size:           4
        .value_kind:     by_value
      - .offset:         64
        .size:           4
        .value_kind:     by_value
      - .offset:         68
        .size:           4
        .value_kind:     by_value
      - .offset:         72
        .size:           4
        .value_kind:     by_value
      - .offset:         76
        .size:           4
        .value_kind:     by_value
      - .offset:         80
        .size:           4
        .value_kind:     by_value
      - .offset:         84
        .size:           4
        .value_kind:     by_value
      - .offset:         88
        .size:           4
        .value_kind:     by_value
      - .offset:         92
        .size:           4
        .value_kind:     by_value
    .group_segment_fixed_size: 0
    .kernarg_segment_align: 8
    .kernarg_segment_size: 96
    .language:       OpenCL C
    .language_version:
      - 2
      - 0
    .max_flat_workgroup_size: 96
    .name:           _ZL9mul_mat_fI15__hip_bfloat162Li32ELi11ELi3ELb0EEvPKT_PKfPKiPfiiiiiiiiiiiiiiii
    .private_segment_fixed_size: 0
    .sgpr_count:     62
    .sgpr_spill_count: 0
    .symbol:         _ZL9mul_mat_fI15__hip_bfloat162Li32ELi11ELi3ELb0EEvPKT_PKfPKiPfiiiiiiiiiiiiiiii.kd
    .uniform_work_group_size: 1
    .uses_dynamic_stack: false
    .vgpr_count:     118
    .vgpr_spill_count: 0
    .wavefront_size: 32
    .workgroup_processor_mode: 1
  - .args:
      - .actual_access:  read_only
        .address_space:  global
        .offset:         0
        .size:           8
        .value_kind:     global_buffer
      - .actual_access:  read_only
        .address_space:  global
        .offset:         8
        .size:           8
        .value_kind:     global_buffer
      - .actual_access:  read_only
        .address_space:  global
        .offset:         16
        .size:           8
        .value_kind:     global_buffer
      - .actual_access:  read_only
        .address_space:  global
        .offset:         24
        .size:           8
        .value_kind:     global_buffer
      - .actual_access:  read_only
        .address_space:  global
        .offset:         32
        .size:           8
        .value_kind:     global_buffer
      - .actual_access:  write_only
        .address_space:  global
        .offset:         40
        .size:           8
        .value_kind:     global_buffer
      - .offset:         48
        .size:           4
        .value_kind:     by_value
      - .offset:         52
        .size:           4
        .value_kind:     by_value
      - .offset:         56
        .size:           4
        .value_kind:     by_value
      - .offset:         60
        .size:           4
        .value_kind:     by_value
      - .offset:         64
        .size:           4
        .value_kind:     by_value
      - .offset:         68
        .size:           4
        .value_kind:     by_value
      - .offset:         72
        .size:           4
        .value_kind:     by_value
      - .offset:         76
        .size:           4
        .value_kind:     by_value
      - .offset:         80
        .size:           4
        .value_kind:     by_value
      - .offset:         84
        .size:           4
        .value_kind:     by_value
      - .offset:         88
        .size:           4
        .value_kind:     by_value
      - .offset:         92
        .size:           4
        .value_kind:     by_value
      - .offset:         96
        .size:           4
        .value_kind:     by_value
      - .offset:         100
        .size:           4
        .value_kind:     by_value
      - .offset:         104
        .size:           12
        .value_kind:     by_value
      - .offset:         116
        .size:           12
        .value_kind:     by_value
    .group_segment_fixed_size: 0
    .kernarg_segment_align: 8
    .kernarg_segment_size: 128
    .language:       OpenCL C
    .language_version:
      - 2
      - 0
    .max_flat_workgroup_size: 128
    .name:           _ZL13mul_mat_f_idsI15__hip_bfloat162Li32ELi11ELi4EEvPKT_PKfPKiS7_S7_Pfiiiiiiiiiiiiii15HIP_vector_typeIjLj3EESA_
    .private_segment_fixed_size: 0
    .sgpr_count:     78
    .sgpr_spill_count: 0
    .symbol:         _ZL13mul_mat_f_idsI15__hip_bfloat162Li32ELi11ELi4EEvPKT_PKfPKiS7_S7_Pfiiiiiiiiiiiiii15HIP_vector_typeIjLj3EESA_.kd
    .uniform_work_group_size: 1
    .uses_dynamic_stack: false
    .vgpr_count:     120
    .vgpr_spill_count: 0
    .wavefront_size: 32
    .workgroup_processor_mode: 1
  - .args:
      - .actual_access:  read_only
        .address_space:  global
        .offset:         0
        .size:           8
        .value_kind:     global_buffer
      - .actual_access:  read_only
        .address_space:  global
        .offset:         8
        .size:           8
        .value_kind:     global_buffer
      - .actual_access:  read_only
        .address_space:  global
        .offset:         16
        .size:           8
        .value_kind:     global_buffer
      - .actual_access:  write_only
        .address_space:  global
        .offset:         24
        .size:           8
        .value_kind:     global_buffer
      - .offset:         32
        .size:           4
        .value_kind:     by_value
      - .offset:         36
        .size:           4
        .value_kind:     by_value
      - .offset:         40
        .size:           4
        .value_kind:     by_value
      - .offset:         44
        .size:           4
        .value_kind:     by_value
      - .offset:         48
        .size:           4
        .value_kind:     by_value
      - .offset:         52
        .size:           4
        .value_kind:     by_value
      - .offset:         56
        .size:           4
        .value_kind:     by_value
      - .offset:         60
        .size:           4
        .value_kind:     by_value
      - .offset:         64
        .size:           4
        .value_kind:     by_value
      - .offset:         68
        .size:           4
        .value_kind:     by_value
      - .offset:         72
        .size:           4
        .value_kind:     by_value
      - .offset:         76
        .size:           4
        .value_kind:     by_value
      - .offset:         80
        .size:           4
        .value_kind:     by_value
      - .offset:         84
        .size:           4
        .value_kind:     by_value
      - .offset:         88
        .size:           4
        .value_kind:     by_value
      - .offset:         92
        .size:           4
        .value_kind:     by_value
      - .offset:         96
        .size:           4
        .value_kind:     hidden_block_count_x
      - .offset:         100
        .size:           4
        .value_kind:     hidden_block_count_y
      - .offset:         104
        .size:           4
        .value_kind:     hidden_block_count_z
      - .offset:         108
        .size:           2
        .value_kind:     hidden_group_size_x
      - .offset:         110
        .size:           2
        .value_kind:     hidden_group_size_y
      - .offset:         112
        .size:           2
        .value_kind:     hidden_group_size_z
      - .offset:         114
        .size:           2
        .value_kind:     hidden_remainder_x
      - .offset:         116
        .size:           2
        .value_kind:     hidden_remainder_y
      - .offset:         118
        .size:           2
        .value_kind:     hidden_remainder_z
      - .offset:         136
        .size:           8
        .value_kind:     hidden_global_offset_x
      - .offset:         144
        .size:           8
        .value_kind:     hidden_global_offset_y
      - .offset:         152
        .size:           8
        .value_kind:     hidden_global_offset_z
      - .offset:         160
        .size:           2
        .value_kind:     hidden_grid_dims
      - .offset:         216
        .size:           4
        .value_kind:     hidden_dynamic_lds_size
    .group_segment_fixed_size: 256
    .kernarg_segment_align: 8
    .kernarg_segment_size: 352
    .language:       OpenCL C
    .language_version:
      - 2
      - 0
    .max_flat_workgroup_size: 128
    .name:           _ZL9mul_mat_fI15__hip_bfloat162Li32ELi11ELi4ELb1EEvPKT_PKfPKiPfiiiiiiiiiiiiiiii
    .private_segment_fixed_size: 0
    .sgpr_count:     76
    .sgpr_spill_count: 0
    .symbol:         _ZL9mul_mat_fI15__hip_bfloat162Li32ELi11ELi4ELb1EEvPKT_PKfPKiPfiiiiiiiiiiiiiiii.kd
    .uniform_work_group_size: 1
    .uses_dynamic_stack: false
    .vgpr_count:     121
    .vgpr_spill_count: 0
    .wavefront_size: 32
    .workgroup_processor_mode: 1
  - .args:
      - .actual_access:  read_only
        .address_space:  global
        .offset:         0
        .size:           8
        .value_kind:     global_buffer
      - .actual_access:  read_only
        .address_space:  global
        .offset:         8
        .size:           8
        .value_kind:     global_buffer
      - .actual_access:  read_only
        .address_space:  global
        .offset:         16
        .size:           8
        .value_kind:     global_buffer
      - .actual_access:  write_only
        .address_space:  global
        .offset:         24
        .size:           8
        .value_kind:     global_buffer
      - .offset:         32
        .size:           4
        .value_kind:     by_value
      - .offset:         36
        .size:           4
        .value_kind:     by_value
      - .offset:         40
        .size:           4
        .value_kind:     by_value
      - .offset:         44
        .size:           4
        .value_kind:     by_value
      - .offset:         48
        .size:           4
        .value_kind:     by_value
      - .offset:         52
        .size:           4
        .value_kind:     by_value
      - .offset:         56
        .size:           4
        .value_kind:     by_value
      - .offset:         60
        .size:           4
        .value_kind:     by_value
      - .offset:         64
        .size:           4
        .value_kind:     by_value
      - .offset:         68
        .size:           4
        .value_kind:     by_value
      - .offset:         72
        .size:           4
        .value_kind:     by_value
      - .offset:         76
        .size:           4
        .value_kind:     by_value
      - .offset:         80
        .size:           4
        .value_kind:     by_value
      - .offset:         84
        .size:           4
        .value_kind:     by_value
      - .offset:         88
        .size:           4
        .value_kind:     by_value
      - .offset:         92
        .size:           4
        .value_kind:     by_value
    .group_segment_fixed_size: 0
    .kernarg_segment_align: 8
    .kernarg_segment_size: 96
    .language:       OpenCL C
    .language_version:
      - 2
      - 0
    .max_flat_workgroup_size: 128
    .name:           _ZL9mul_mat_fI15__hip_bfloat162Li32ELi11ELi4ELb0EEvPKT_PKfPKiPfiiiiiiiiiiiiiiii
    .private_segment_fixed_size: 0
    .sgpr_count:     62
    .sgpr_spill_count: 0
    .symbol:         _ZL9mul_mat_fI15__hip_bfloat162Li32ELi11ELi4ELb0EEvPKT_PKfPKiPfiiiiiiiiiiiiiiii.kd
    .uniform_work_group_size: 1
    .uses_dynamic_stack: false
    .vgpr_count:     118
    .vgpr_spill_count: 0
    .wavefront_size: 32
    .workgroup_processor_mode: 1
  - .args:
      - .actual_access:  read_only
        .address_space:  global
        .offset:         0
        .size:           8
        .value_kind:     global_buffer
      - .actual_access:  read_only
        .address_space:  global
        .offset:         8
        .size:           8
        .value_kind:     global_buffer
      - .actual_access:  read_only
        .address_space:  global
        .offset:         16
        .size:           8
        .value_kind:     global_buffer
      - .actual_access:  read_only
        .address_space:  global
        .offset:         24
        .size:           8
        .value_kind:     global_buffer
      - .actual_access:  read_only
        .address_space:  global
        .offset:         32
        .size:           8
        .value_kind:     global_buffer
      - .actual_access:  write_only
        .address_space:  global
        .offset:         40
        .size:           8
        .value_kind:     global_buffer
      - .offset:         48
        .size:           4
        .value_kind:     by_value
      - .offset:         52
        .size:           4
        .value_kind:     by_value
      - .offset:         56
        .size:           4
        .value_kind:     by_value
      - .offset:         60
        .size:           4
        .value_kind:     by_value
      - .offset:         64
        .size:           4
        .value_kind:     by_value
      - .offset:         68
        .size:           4
        .value_kind:     by_value
      - .offset:         72
        .size:           4
        .value_kind:     by_value
      - .offset:         76
        .size:           4
        .value_kind:     by_value
      - .offset:         80
        .size:           4
        .value_kind:     by_value
      - .offset:         84
        .size:           4
        .value_kind:     by_value
      - .offset:         88
        .size:           4
        .value_kind:     by_value
      - .offset:         92
        .size:           4
        .value_kind:     by_value
      - .offset:         96
        .size:           4
        .value_kind:     by_value
      - .offset:         100
        .size:           4
        .value_kind:     by_value
      - .offset:         104
        .size:           12
        .value_kind:     by_value
      - .offset:         116
        .size:           12
        .value_kind:     by_value
    .group_segment_fixed_size: 0
    .kernarg_segment_align: 8
    .kernarg_segment_size: 128
    .language:       OpenCL C
    .language_version:
      - 2
      - 0
    .max_flat_workgroup_size: 160
    .name:           _ZL13mul_mat_f_idsI15__hip_bfloat162Li32ELi11ELi5EEvPKT_PKfPKiS7_S7_Pfiiiiiiiiiiiiii15HIP_vector_typeIjLj3EESA_
    .private_segment_fixed_size: 0
    .sgpr_count:     78
    .sgpr_spill_count: 0
    .symbol:         _ZL13mul_mat_f_idsI15__hip_bfloat162Li32ELi11ELi5EEvPKT_PKfPKiS7_S7_Pfiiiiiiiiiiiiii15HIP_vector_typeIjLj3EESA_.kd
    .uniform_work_group_size: 1
    .uses_dynamic_stack: false
    .vgpr_count:     120
    .vgpr_spill_count: 0
    .wavefront_size: 32
    .workgroup_processor_mode: 1
  - .args:
      - .actual_access:  read_only
        .address_space:  global
        .offset:         0
        .size:           8
        .value_kind:     global_buffer
      - .actual_access:  read_only
        .address_space:  global
        .offset:         8
        .size:           8
        .value_kind:     global_buffer
      - .actual_access:  read_only
        .address_space:  global
        .offset:         16
        .size:           8
        .value_kind:     global_buffer
      - .actual_access:  write_only
        .address_space:  global
        .offset:         24
        .size:           8
        .value_kind:     global_buffer
      - .offset:         32
        .size:           4
        .value_kind:     by_value
      - .offset:         36
        .size:           4
        .value_kind:     by_value
      - .offset:         40
        .size:           4
        .value_kind:     by_value
      - .offset:         44
        .size:           4
        .value_kind:     by_value
      - .offset:         48
        .size:           4
        .value_kind:     by_value
      - .offset:         52
        .size:           4
        .value_kind:     by_value
      - .offset:         56
        .size:           4
        .value_kind:     by_value
      - .offset:         60
        .size:           4
        .value_kind:     by_value
      - .offset:         64
        .size:           4
        .value_kind:     by_value
      - .offset:         68
        .size:           4
        .value_kind:     by_value
      - .offset:         72
        .size:           4
        .value_kind:     by_value
      - .offset:         76
        .size:           4
        .value_kind:     by_value
      - .offset:         80
        .size:           4
        .value_kind:     by_value
      - .offset:         84
        .size:           4
        .value_kind:     by_value
      - .offset:         88
        .size:           4
        .value_kind:     by_value
      - .offset:         92
        .size:           4
        .value_kind:     by_value
      - .offset:         96
        .size:           4
        .value_kind:     hidden_block_count_x
      - .offset:         100
        .size:           4
        .value_kind:     hidden_block_count_y
      - .offset:         104
        .size:           4
        .value_kind:     hidden_block_count_z
      - .offset:         108
        .size:           2
        .value_kind:     hidden_group_size_x
      - .offset:         110
        .size:           2
        .value_kind:     hidden_group_size_y
      - .offset:         112
        .size:           2
        .value_kind:     hidden_group_size_z
      - .offset:         114
        .size:           2
        .value_kind:     hidden_remainder_x
      - .offset:         116
        .size:           2
        .value_kind:     hidden_remainder_y
      - .offset:         118
        .size:           2
        .value_kind:     hidden_remainder_z
      - .offset:         136
        .size:           8
        .value_kind:     hidden_global_offset_x
      - .offset:         144
        .size:           8
        .value_kind:     hidden_global_offset_y
      - .offset:         152
        .size:           8
        .value_kind:     hidden_global_offset_z
      - .offset:         160
        .size:           2
        .value_kind:     hidden_grid_dims
      - .offset:         216
        .size:           4
        .value_kind:     hidden_dynamic_lds_size
    .group_segment_fixed_size: 256
    .kernarg_segment_align: 8
    .kernarg_segment_size: 352
    .language:       OpenCL C
    .language_version:
      - 2
      - 0
    .max_flat_workgroup_size: 160
    .name:           _ZL9mul_mat_fI15__hip_bfloat162Li32ELi11ELi5ELb1EEvPKT_PKfPKiPfiiiiiiiiiiiiiiii
    .private_segment_fixed_size: 0
    .sgpr_count:     76
    .sgpr_spill_count: 0
    .symbol:         _ZL9mul_mat_fI15__hip_bfloat162Li32ELi11ELi5ELb1EEvPKT_PKfPKiPfiiiiiiiiiiiiiiii.kd
    .uniform_work_group_size: 1
    .uses_dynamic_stack: false
    .vgpr_count:     121
    .vgpr_spill_count: 0
    .wavefront_size: 32
    .workgroup_processor_mode: 1
  - .args:
      - .actual_access:  read_only
        .address_space:  global
        .offset:         0
        .size:           8
        .value_kind:     global_buffer
      - .actual_access:  read_only
        .address_space:  global
        .offset:         8
        .size:           8
        .value_kind:     global_buffer
      - .actual_access:  read_only
        .address_space:  global
        .offset:         16
        .size:           8
        .value_kind:     global_buffer
      - .actual_access:  write_only
        .address_space:  global
        .offset:         24
        .size:           8
        .value_kind:     global_buffer
      - .offset:         32
        .size:           4
        .value_kind:     by_value
      - .offset:         36
        .size:           4
        .value_kind:     by_value
      - .offset:         40
        .size:           4
        .value_kind:     by_value
      - .offset:         44
        .size:           4
        .value_kind:     by_value
      - .offset:         48
        .size:           4
        .value_kind:     by_value
      - .offset:         52
        .size:           4
        .value_kind:     by_value
      - .offset:         56
        .size:           4
        .value_kind:     by_value
      - .offset:         60
        .size:           4
        .value_kind:     by_value
      - .offset:         64
        .size:           4
        .value_kind:     by_value
      - .offset:         68
        .size:           4
        .value_kind:     by_value
      - .offset:         72
        .size:           4
        .value_kind:     by_value
      - .offset:         76
        .size:           4
        .value_kind:     by_value
      - .offset:         80
        .size:           4
        .value_kind:     by_value
      - .offset:         84
        .size:           4
        .value_kind:     by_value
      - .offset:         88
        .size:           4
        .value_kind:     by_value
      - .offset:         92
        .size:           4
        .value_kind:     by_value
    .group_segment_fixed_size: 0
    .kernarg_segment_align: 8
    .kernarg_segment_size: 96
    .language:       OpenCL C
    .language_version:
      - 2
      - 0
    .max_flat_workgroup_size: 160
    .name:           _ZL9mul_mat_fI15__hip_bfloat162Li32ELi11ELi5ELb0EEvPKT_PKfPKiPfiiiiiiiiiiiiiiii
    .private_segment_fixed_size: 0
    .sgpr_count:     62
    .sgpr_spill_count: 0
    .symbol:         _ZL9mul_mat_fI15__hip_bfloat162Li32ELi11ELi5ELb0EEvPKT_PKfPKiPfiiiiiiiiiiiiiiii.kd
    .uniform_work_group_size: 1
    .uses_dynamic_stack: false
    .vgpr_count:     118
    .vgpr_spill_count: 0
    .wavefront_size: 32
    .workgroup_processor_mode: 1
  - .args:
      - .actual_access:  read_only
        .address_space:  global
        .offset:         0
        .size:           8
        .value_kind:     global_buffer
      - .actual_access:  read_only
        .address_space:  global
        .offset:         8
        .size:           8
        .value_kind:     global_buffer
      - .actual_access:  read_only
        .address_space:  global
        .offset:         16
        .size:           8
        .value_kind:     global_buffer
      - .actual_access:  read_only
        .address_space:  global
        .offset:         24
        .size:           8
        .value_kind:     global_buffer
      - .actual_access:  read_only
        .address_space:  global
        .offset:         32
        .size:           8
        .value_kind:     global_buffer
      - .actual_access:  write_only
        .address_space:  global
        .offset:         40
        .size:           8
        .value_kind:     global_buffer
      - .offset:         48
        .size:           4
        .value_kind:     by_value
      - .offset:         52
        .size:           4
        .value_kind:     by_value
      - .offset:         56
        .size:           4
        .value_kind:     by_value
      - .offset:         60
        .size:           4
        .value_kind:     by_value
      - .offset:         64
        .size:           4
        .value_kind:     by_value
      - .offset:         68
        .size:           4
        .value_kind:     by_value
      - .offset:         72
        .size:           4
        .value_kind:     by_value
      - .offset:         76
        .size:           4
        .value_kind:     by_value
      - .offset:         80
        .size:           4
        .value_kind:     by_value
      - .offset:         84
        .size:           4
        .value_kind:     by_value
      - .offset:         88
        .size:           4
        .value_kind:     by_value
      - .offset:         92
        .size:           4
        .value_kind:     by_value
      - .offset:         96
        .size:           4
        .value_kind:     by_value
      - .offset:         100
        .size:           4
        .value_kind:     by_value
      - .offset:         104
        .size:           12
        .value_kind:     by_value
      - .offset:         116
        .size:           12
        .value_kind:     by_value
    .group_segment_fixed_size: 0
    .kernarg_segment_align: 8
    .kernarg_segment_size: 128
    .language:       OpenCL C
    .language_version:
      - 2
      - 0
    .max_flat_workgroup_size: 192
    .name:           _ZL13mul_mat_f_idsI15__hip_bfloat162Li32ELi11ELi6EEvPKT_PKfPKiS7_S7_Pfiiiiiiiiiiiiii15HIP_vector_typeIjLj3EESA_
    .private_segment_fixed_size: 0
    .sgpr_count:     78
    .sgpr_spill_count: 0
    .symbol:         _ZL13mul_mat_f_idsI15__hip_bfloat162Li32ELi11ELi6EEvPKT_PKfPKiS7_S7_Pfiiiiiiiiiiiiii15HIP_vector_typeIjLj3EESA_.kd
    .uniform_work_group_size: 1
    .uses_dynamic_stack: false
    .vgpr_count:     120
    .vgpr_spill_count: 0
    .wavefront_size: 32
    .workgroup_processor_mode: 1
  - .args:
      - .actual_access:  read_only
        .address_space:  global
        .offset:         0
        .size:           8
        .value_kind:     global_buffer
      - .actual_access:  read_only
        .address_space:  global
        .offset:         8
        .size:           8
        .value_kind:     global_buffer
      - .actual_access:  read_only
        .address_space:  global
        .offset:         16
        .size:           8
        .value_kind:     global_buffer
      - .actual_access:  write_only
        .address_space:  global
        .offset:         24
        .size:           8
        .value_kind:     global_buffer
      - .offset:         32
        .size:           4
        .value_kind:     by_value
      - .offset:         36
        .size:           4
        .value_kind:     by_value
      - .offset:         40
        .size:           4
        .value_kind:     by_value
      - .offset:         44
        .size:           4
        .value_kind:     by_value
      - .offset:         48
        .size:           4
        .value_kind:     by_value
      - .offset:         52
        .size:           4
        .value_kind:     by_value
      - .offset:         56
        .size:           4
        .value_kind:     by_value
      - .offset:         60
        .size:           4
        .value_kind:     by_value
      - .offset:         64
        .size:           4
        .value_kind:     by_value
      - .offset:         68
        .size:           4
        .value_kind:     by_value
      - .offset:         72
        .size:           4
        .value_kind:     by_value
      - .offset:         76
        .size:           4
        .value_kind:     by_value
      - .offset:         80
        .size:           4
        .value_kind:     by_value
      - .offset:         84
        .size:           4
        .value_kind:     by_value
      - .offset:         88
        .size:           4
        .value_kind:     by_value
      - .offset:         92
        .size:           4
        .value_kind:     by_value
      - .offset:         96
        .size:           4
        .value_kind:     hidden_block_count_x
      - .offset:         100
        .size:           4
        .value_kind:     hidden_block_count_y
      - .offset:         104
        .size:           4
        .value_kind:     hidden_block_count_z
      - .offset:         108
        .size:           2
        .value_kind:     hidden_group_size_x
      - .offset:         110
        .size:           2
        .value_kind:     hidden_group_size_y
      - .offset:         112
        .size:           2
        .value_kind:     hidden_group_size_z
      - .offset:         114
        .size:           2
        .value_kind:     hidden_remainder_x
      - .offset:         116
        .size:           2
        .value_kind:     hidden_remainder_y
      - .offset:         118
        .size:           2
        .value_kind:     hidden_remainder_z
      - .offset:         136
        .size:           8
        .value_kind:     hidden_global_offset_x
      - .offset:         144
        .size:           8
        .value_kind:     hidden_global_offset_y
      - .offset:         152
        .size:           8
        .value_kind:     hidden_global_offset_z
      - .offset:         160
        .size:           2
        .value_kind:     hidden_grid_dims
      - .offset:         216
        .size:           4
        .value_kind:     hidden_dynamic_lds_size
    .group_segment_fixed_size: 256
    .kernarg_segment_align: 8
    .kernarg_segment_size: 352
    .language:       OpenCL C
    .language_version:
      - 2
      - 0
    .max_flat_workgroup_size: 192
    .name:           _ZL9mul_mat_fI15__hip_bfloat162Li32ELi11ELi6ELb1EEvPKT_PKfPKiPfiiiiiiiiiiiiiiii
    .private_segment_fixed_size: 0
    .sgpr_count:     75
    .sgpr_spill_count: 0
    .symbol:         _ZL9mul_mat_fI15__hip_bfloat162Li32ELi11ELi6ELb1EEvPKT_PKfPKiPfiiiiiiiiiiiiiiii.kd
    .uniform_work_group_size: 1
    .uses_dynamic_stack: false
    .vgpr_count:     120
    .vgpr_spill_count: 0
    .wavefront_size: 32
    .workgroup_processor_mode: 1
  - .args:
      - .actual_access:  read_only
        .address_space:  global
        .offset:         0
        .size:           8
        .value_kind:     global_buffer
      - .actual_access:  read_only
        .address_space:  global
        .offset:         8
        .size:           8
        .value_kind:     global_buffer
      - .actual_access:  read_only
        .address_space:  global
        .offset:         16
        .size:           8
        .value_kind:     global_buffer
      - .actual_access:  write_only
        .address_space:  global
        .offset:         24
        .size:           8
        .value_kind:     global_buffer
      - .offset:         32
        .size:           4
        .value_kind:     by_value
      - .offset:         36
        .size:           4
        .value_kind:     by_value
      - .offset:         40
        .size:           4
        .value_kind:     by_value
      - .offset:         44
        .size:           4
        .value_kind:     by_value
      - .offset:         48
        .size:           4
        .value_kind:     by_value
      - .offset:         52
        .size:           4
        .value_kind:     by_value
      - .offset:         56
        .size:           4
        .value_kind:     by_value
      - .offset:         60
        .size:           4
        .value_kind:     by_value
      - .offset:         64
        .size:           4
        .value_kind:     by_value
      - .offset:         68
        .size:           4
        .value_kind:     by_value
      - .offset:         72
        .size:           4
        .value_kind:     by_value
      - .offset:         76
        .size:           4
        .value_kind:     by_value
      - .offset:         80
        .size:           4
        .value_kind:     by_value
      - .offset:         84
        .size:           4
        .value_kind:     by_value
      - .offset:         88
        .size:           4
        .value_kind:     by_value
      - .offset:         92
        .size:           4
        .value_kind:     by_value
    .group_segment_fixed_size: 0
    .kernarg_segment_align: 8
    .kernarg_segment_size: 96
    .language:       OpenCL C
    .language_version:
      - 2
      - 0
    .max_flat_workgroup_size: 192
    .name:           _ZL9mul_mat_fI15__hip_bfloat162Li32ELi11ELi6ELb0EEvPKT_PKfPKiPfiiiiiiiiiiiiiiii
    .private_segment_fixed_size: 0
    .sgpr_count:     62
    .sgpr_spill_count: 0
    .symbol:         _ZL9mul_mat_fI15__hip_bfloat162Li32ELi11ELi6ELb0EEvPKT_PKfPKiPfiiiiiiiiiiiiiiii.kd
    .uniform_work_group_size: 1
    .uses_dynamic_stack: false
    .vgpr_count:     118
    .vgpr_spill_count: 0
    .wavefront_size: 32
    .workgroup_processor_mode: 1
  - .args:
      - .actual_access:  read_only
        .address_space:  global
        .offset:         0
        .size:           8
        .value_kind:     global_buffer
      - .actual_access:  read_only
        .address_space:  global
        .offset:         8
        .size:           8
        .value_kind:     global_buffer
      - .actual_access:  read_only
        .address_space:  global
        .offset:         16
        .size:           8
        .value_kind:     global_buffer
      - .actual_access:  read_only
        .address_space:  global
        .offset:         24
        .size:           8
        .value_kind:     global_buffer
      - .actual_access:  read_only
        .address_space:  global
        .offset:         32
        .size:           8
        .value_kind:     global_buffer
      - .actual_access:  write_only
        .address_space:  global
        .offset:         40
        .size:           8
        .value_kind:     global_buffer
      - .offset:         48
        .size:           4
        .value_kind:     by_value
      - .offset:         52
        .size:           4
        .value_kind:     by_value
      - .offset:         56
        .size:           4
        .value_kind:     by_value
      - .offset:         60
        .size:           4
        .value_kind:     by_value
      - .offset:         64
        .size:           4
        .value_kind:     by_value
      - .offset:         68
        .size:           4
        .value_kind:     by_value
      - .offset:         72
        .size:           4
        .value_kind:     by_value
      - .offset:         76
        .size:           4
        .value_kind:     by_value
      - .offset:         80
        .size:           4
        .value_kind:     by_value
      - .offset:         84
        .size:           4
        .value_kind:     by_value
      - .offset:         88
        .size:           4
        .value_kind:     by_value
      - .offset:         92
        .size:           4
        .value_kind:     by_value
      - .offset:         96
        .size:           4
        .value_kind:     by_value
      - .offset:         100
        .size:           4
        .value_kind:     by_value
      - .offset:         104
        .size:           12
        .value_kind:     by_value
      - .offset:         116
        .size:           12
        .value_kind:     by_value
    .group_segment_fixed_size: 0
    .kernarg_segment_align: 8
    .kernarg_segment_size: 128
    .language:       OpenCL C
    .language_version:
      - 2
      - 0
    .max_flat_workgroup_size: 224
    .name:           _ZL13mul_mat_f_idsI15__hip_bfloat162Li32ELi11ELi7EEvPKT_PKfPKiS7_S7_Pfiiiiiiiiiiiiii15HIP_vector_typeIjLj3EESA_
    .private_segment_fixed_size: 0
    .sgpr_count:     78
    .sgpr_spill_count: 0
    .symbol:         _ZL13mul_mat_f_idsI15__hip_bfloat162Li32ELi11ELi7EEvPKT_PKfPKiS7_S7_Pfiiiiiiiiiiiiii15HIP_vector_typeIjLj3EESA_.kd
    .uniform_work_group_size: 1
    .uses_dynamic_stack: false
    .vgpr_count:     120
    .vgpr_spill_count: 0
    .wavefront_size: 32
    .workgroup_processor_mode: 1
  - .args:
      - .actual_access:  read_only
        .address_space:  global
        .offset:         0
        .size:           8
        .value_kind:     global_buffer
      - .actual_access:  read_only
        .address_space:  global
        .offset:         8
        .size:           8
        .value_kind:     global_buffer
      - .actual_access:  read_only
        .address_space:  global
        .offset:         16
        .size:           8
        .value_kind:     global_buffer
      - .actual_access:  write_only
        .address_space:  global
        .offset:         24
        .size:           8
        .value_kind:     global_buffer
      - .offset:         32
        .size:           4
        .value_kind:     by_value
      - .offset:         36
        .size:           4
        .value_kind:     by_value
      - .offset:         40
        .size:           4
        .value_kind:     by_value
      - .offset:         44
        .size:           4
        .value_kind:     by_value
      - .offset:         48
        .size:           4
        .value_kind:     by_value
      - .offset:         52
        .size:           4
        .value_kind:     by_value
      - .offset:         56
        .size:           4
        .value_kind:     by_value
      - .offset:         60
        .size:           4
        .value_kind:     by_value
      - .offset:         64
        .size:           4
        .value_kind:     by_value
      - .offset:         68
        .size:           4
        .value_kind:     by_value
      - .offset:         72
        .size:           4
        .value_kind:     by_value
      - .offset:         76
        .size:           4
        .value_kind:     by_value
      - .offset:         80
        .size:           4
        .value_kind:     by_value
      - .offset:         84
        .size:           4
        .value_kind:     by_value
      - .offset:         88
        .size:           4
        .value_kind:     by_value
      - .offset:         92
        .size:           4
        .value_kind:     by_value
      - .offset:         96
        .size:           4
        .value_kind:     hidden_block_count_x
      - .offset:         100
        .size:           4
        .value_kind:     hidden_block_count_y
      - .offset:         104
        .size:           4
        .value_kind:     hidden_block_count_z
      - .offset:         108
        .size:           2
        .value_kind:     hidden_group_size_x
      - .offset:         110
        .size:           2
        .value_kind:     hidden_group_size_y
      - .offset:         112
        .size:           2
        .value_kind:     hidden_group_size_z
      - .offset:         114
        .size:           2
        .value_kind:     hidden_remainder_x
      - .offset:         116
        .size:           2
        .value_kind:     hidden_remainder_y
      - .offset:         118
        .size:           2
        .value_kind:     hidden_remainder_z
      - .offset:         136
        .size:           8
        .value_kind:     hidden_global_offset_x
      - .offset:         144
        .size:           8
        .value_kind:     hidden_global_offset_y
      - .offset:         152
        .size:           8
        .value_kind:     hidden_global_offset_z
      - .offset:         160
        .size:           2
        .value_kind:     hidden_grid_dims
      - .offset:         216
        .size:           4
        .value_kind:     hidden_dynamic_lds_size
    .group_segment_fixed_size: 256
    .kernarg_segment_align: 8
    .kernarg_segment_size: 352
    .language:       OpenCL C
    .language_version:
      - 2
      - 0
    .max_flat_workgroup_size: 224
    .name:           _ZL9mul_mat_fI15__hip_bfloat162Li32ELi11ELi7ELb1EEvPKT_PKfPKiPfiiiiiiiiiiiiiiii
    .private_segment_fixed_size: 0
    .sgpr_count:     75
    .sgpr_spill_count: 0
    .symbol:         _ZL9mul_mat_fI15__hip_bfloat162Li32ELi11ELi7ELb1EEvPKT_PKfPKiPfiiiiiiiiiiiiiiii.kd
    .uniform_work_group_size: 1
    .uses_dynamic_stack: false
    .vgpr_count:     120
    .vgpr_spill_count: 0
    .wavefront_size: 32
    .workgroup_processor_mode: 1
  - .args:
      - .actual_access:  read_only
        .address_space:  global
        .offset:         0
        .size:           8
        .value_kind:     global_buffer
      - .actual_access:  read_only
        .address_space:  global
        .offset:         8
        .size:           8
        .value_kind:     global_buffer
      - .actual_access:  read_only
        .address_space:  global
        .offset:         16
        .size:           8
        .value_kind:     global_buffer
      - .actual_access:  write_only
        .address_space:  global
        .offset:         24
        .size:           8
        .value_kind:     global_buffer
      - .offset:         32
        .size:           4
        .value_kind:     by_value
      - .offset:         36
        .size:           4
        .value_kind:     by_value
      - .offset:         40
        .size:           4
        .value_kind:     by_value
      - .offset:         44
        .size:           4
        .value_kind:     by_value
      - .offset:         48
        .size:           4
        .value_kind:     by_value
      - .offset:         52
        .size:           4
        .value_kind:     by_value
      - .offset:         56
        .size:           4
        .value_kind:     by_value
      - .offset:         60
        .size:           4
        .value_kind:     by_value
      - .offset:         64
        .size:           4
        .value_kind:     by_value
      - .offset:         68
        .size:           4
        .value_kind:     by_value
      - .offset:         72
        .size:           4
        .value_kind:     by_value
      - .offset:         76
        .size:           4
        .value_kind:     by_value
      - .offset:         80
        .size:           4
        .value_kind:     by_value
      - .offset:         84
        .size:           4
        .value_kind:     by_value
      - .offset:         88
        .size:           4
        .value_kind:     by_value
      - .offset:         92
        .size:           4
        .value_kind:     by_value
    .group_segment_fixed_size: 0
    .kernarg_segment_align: 8
    .kernarg_segment_size: 96
    .language:       OpenCL C
    .language_version:
      - 2
      - 0
    .max_flat_workgroup_size: 224
    .name:           _ZL9mul_mat_fI15__hip_bfloat162Li32ELi11ELi7ELb0EEvPKT_PKfPKiPfiiiiiiiiiiiiiiii
    .private_segment_fixed_size: 0
    .sgpr_count:     62
    .sgpr_spill_count: 0
    .symbol:         _ZL9mul_mat_fI15__hip_bfloat162Li32ELi11ELi7ELb0EEvPKT_PKfPKiPfiiiiiiiiiiiiiiii.kd
    .uniform_work_group_size: 1
    .uses_dynamic_stack: false
    .vgpr_count:     118
    .vgpr_spill_count: 0
    .wavefront_size: 32
    .workgroup_processor_mode: 1
  - .args:
      - .actual_access:  read_only
        .address_space:  global
        .offset:         0
        .size:           8
        .value_kind:     global_buffer
      - .actual_access:  read_only
        .address_space:  global
        .offset:         8
        .size:           8
        .value_kind:     global_buffer
      - .actual_access:  read_only
        .address_space:  global
        .offset:         16
        .size:           8
        .value_kind:     global_buffer
      - .actual_access:  read_only
        .address_space:  global
        .offset:         24
        .size:           8
        .value_kind:     global_buffer
      - .actual_access:  read_only
        .address_space:  global
        .offset:         32
        .size:           8
        .value_kind:     global_buffer
      - .actual_access:  write_only
        .address_space:  global
        .offset:         40
        .size:           8
        .value_kind:     global_buffer
      - .offset:         48
        .size:           4
        .value_kind:     by_value
      - .offset:         52
        .size:           4
        .value_kind:     by_value
      - .offset:         56
        .size:           4
        .value_kind:     by_value
      - .offset:         60
        .size:           4
        .value_kind:     by_value
      - .offset:         64
        .size:           4
        .value_kind:     by_value
      - .offset:         68
        .size:           4
        .value_kind:     by_value
      - .offset:         72
        .size:           4
        .value_kind:     by_value
      - .offset:         76
        .size:           4
        .value_kind:     by_value
      - .offset:         80
        .size:           4
        .value_kind:     by_value
      - .offset:         84
        .size:           4
        .value_kind:     by_value
      - .offset:         88
        .size:           4
        .value_kind:     by_value
      - .offset:         92
        .size:           4
        .value_kind:     by_value
      - .offset:         96
        .size:           4
        .value_kind:     by_value
      - .offset:         100
        .size:           4
        .value_kind:     by_value
      - .offset:         104
        .size:           12
        .value_kind:     by_value
      - .offset:         116
        .size:           12
        .value_kind:     by_value
    .group_segment_fixed_size: 0
    .kernarg_segment_align: 8
    .kernarg_segment_size: 128
    .language:       OpenCL C
    .language_version:
      - 2
      - 0
    .max_flat_workgroup_size: 256
    .name:           _ZL13mul_mat_f_idsI15__hip_bfloat162Li32ELi11ELi8EEvPKT_PKfPKiS7_S7_Pfiiiiiiiiiiiiii15HIP_vector_typeIjLj3EESA_
    .private_segment_fixed_size: 0
    .sgpr_count:     78
    .sgpr_spill_count: 0
    .symbol:         _ZL13mul_mat_f_idsI15__hip_bfloat162Li32ELi11ELi8EEvPKT_PKfPKiS7_S7_Pfiiiiiiiiiiiiii15HIP_vector_typeIjLj3EESA_.kd
    .uniform_work_group_size: 1
    .uses_dynamic_stack: false
    .vgpr_count:     120
    .vgpr_spill_count: 0
    .wavefront_size: 32
    .workgroup_processor_mode: 1
  - .args:
      - .actual_access:  read_only
        .address_space:  global
        .offset:         0
        .size:           8
        .value_kind:     global_buffer
      - .actual_access:  read_only
        .address_space:  global
        .offset:         8
        .size:           8
        .value_kind:     global_buffer
      - .actual_access:  read_only
        .address_space:  global
        .offset:         16
        .size:           8
        .value_kind:     global_buffer
      - .actual_access:  write_only
        .address_space:  global
        .offset:         24
        .size:           8
        .value_kind:     global_buffer
      - .offset:         32
        .size:           4
        .value_kind:     by_value
      - .offset:         36
        .size:           4
        .value_kind:     by_value
      - .offset:         40
        .size:           4
        .value_kind:     by_value
      - .offset:         44
        .size:           4
        .value_kind:     by_value
      - .offset:         48
        .size:           4
        .value_kind:     by_value
      - .offset:         52
        .size:           4
        .value_kind:     by_value
      - .offset:         56
        .size:           4
        .value_kind:     by_value
      - .offset:         60
        .size:           4
        .value_kind:     by_value
      - .offset:         64
        .size:           4
        .value_kind:     by_value
      - .offset:         68
        .size:           4
        .value_kind:     by_value
      - .offset:         72
        .size:           4
        .value_kind:     by_value
      - .offset:         76
        .size:           4
        .value_kind:     by_value
      - .offset:         80
        .size:           4
        .value_kind:     by_value
      - .offset:         84
        .size:           4
        .value_kind:     by_value
      - .offset:         88
        .size:           4
        .value_kind:     by_value
      - .offset:         92
        .size:           4
        .value_kind:     by_value
      - .offset:         96
        .size:           4
        .value_kind:     hidden_block_count_x
      - .offset:         100
        .size:           4
        .value_kind:     hidden_block_count_y
      - .offset:         104
        .size:           4
        .value_kind:     hidden_block_count_z
      - .offset:         108
        .size:           2
        .value_kind:     hidden_group_size_x
      - .offset:         110
        .size:           2
        .value_kind:     hidden_group_size_y
      - .offset:         112
        .size:           2
        .value_kind:     hidden_group_size_z
      - .offset:         114
        .size:           2
        .value_kind:     hidden_remainder_x
      - .offset:         116
        .size:           2
        .value_kind:     hidden_remainder_y
      - .offset:         118
        .size:           2
        .value_kind:     hidden_remainder_z
      - .offset:         136
        .size:           8
        .value_kind:     hidden_global_offset_x
      - .offset:         144
        .size:           8
        .value_kind:     hidden_global_offset_y
      - .offset:         152
        .size:           8
        .value_kind:     hidden_global_offset_z
      - .offset:         160
        .size:           2
        .value_kind:     hidden_grid_dims
      - .offset:         216
        .size:           4
        .value_kind:     hidden_dynamic_lds_size
    .group_segment_fixed_size: 256
    .kernarg_segment_align: 8
    .kernarg_segment_size: 352
    .language:       OpenCL C
    .language_version:
      - 2
      - 0
    .max_flat_workgroup_size: 256
    .name:           _ZL9mul_mat_fI15__hip_bfloat162Li32ELi11ELi8ELb1EEvPKT_PKfPKiPfiiiiiiiiiiiiiiii
    .private_segment_fixed_size: 0
    .sgpr_count:     75
    .sgpr_spill_count: 0
    .symbol:         _ZL9mul_mat_fI15__hip_bfloat162Li32ELi11ELi8ELb1EEvPKT_PKfPKiPfiiiiiiiiiiiiiiii.kd
    .uniform_work_group_size: 1
    .uses_dynamic_stack: false
    .vgpr_count:     120
    .vgpr_spill_count: 0
    .wavefront_size: 32
    .workgroup_processor_mode: 1
  - .args:
      - .actual_access:  read_only
        .address_space:  global
        .offset:         0
        .size:           8
        .value_kind:     global_buffer
      - .actual_access:  read_only
        .address_space:  global
        .offset:         8
        .size:           8
        .value_kind:     global_buffer
      - .actual_access:  read_only
        .address_space:  global
        .offset:         16
        .size:           8
        .value_kind:     global_buffer
      - .actual_access:  write_only
        .address_space:  global
        .offset:         24
        .size:           8
        .value_kind:     global_buffer
      - .offset:         32
        .size:           4
        .value_kind:     by_value
      - .offset:         36
        .size:           4
        .value_kind:     by_value
      - .offset:         40
        .size:           4
        .value_kind:     by_value
      - .offset:         44
        .size:           4
        .value_kind:     by_value
      - .offset:         48
        .size:           4
        .value_kind:     by_value
      - .offset:         52
        .size:           4
        .value_kind:     by_value
      - .offset:         56
        .size:           4
        .value_kind:     by_value
      - .offset:         60
        .size:           4
        .value_kind:     by_value
      - .offset:         64
        .size:           4
        .value_kind:     by_value
      - .offset:         68
        .size:           4
        .value_kind:     by_value
      - .offset:         72
        .size:           4
        .value_kind:     by_value
      - .offset:         76
        .size:           4
        .value_kind:     by_value
      - .offset:         80
        .size:           4
        .value_kind:     by_value
      - .offset:         84
        .size:           4
        .value_kind:     by_value
      - .offset:         88
        .size:           4
        .value_kind:     by_value
      - .offset:         92
        .size:           4
        .value_kind:     by_value
    .group_segment_fixed_size: 0
    .kernarg_segment_align: 8
    .kernarg_segment_size: 96
    .language:       OpenCL C
    .language_version:
      - 2
      - 0
    .max_flat_workgroup_size: 256
    .name:           _ZL9mul_mat_fI15__hip_bfloat162Li32ELi11ELi8ELb0EEvPKT_PKfPKiPfiiiiiiiiiiiiiiii
    .private_segment_fixed_size: 0
    .sgpr_count:     62
    .sgpr_spill_count: 0
    .symbol:         _ZL9mul_mat_fI15__hip_bfloat162Li32ELi11ELi8ELb0EEvPKT_PKfPKiPfiiiiiiiiiiiiiiii.kd
    .uniform_work_group_size: 1
    .uses_dynamic_stack: false
    .vgpr_count:     118
    .vgpr_spill_count: 0
    .wavefront_size: 32
    .workgroup_processor_mode: 1
  - .args:
      - .actual_access:  read_only
        .address_space:  global
        .offset:         0
        .size:           8
        .value_kind:     global_buffer
      - .actual_access:  read_only
        .address_space:  global
        .offset:         8
        .size:           8
        .value_kind:     global_buffer
      - .actual_access:  read_only
        .address_space:  global
        .offset:         16
        .size:           8
        .value_kind:     global_buffer
      - .actual_access:  read_only
        .address_space:  global
        .offset:         24
        .size:           8
        .value_kind:     global_buffer
      - .actual_access:  read_only
        .address_space:  global
        .offset:         32
        .size:           8
        .value_kind:     global_buffer
      - .actual_access:  read_only
        .address_space:  global
        .offset:         40
        .size:           8
        .value_kind:     global_buffer
      - .offset:         48
        .size:           4
        .value_kind:     by_value
      - .offset:         52
        .size:           4
        .value_kind:     by_value
      - .offset:         56
        .size:           4
        .value_kind:     by_value
      - .offset:         60
        .size:           4
        .value_kind:     by_value
      - .offset:         64
        .size:           4
        .value_kind:     by_value
      - .offset:         68
        .size:           4
        .value_kind:     by_value
      - .offset:         72
        .size:           4
        .value_kind:     by_value
      - .offset:         76
        .size:           4
        .value_kind:     by_value
      - .offset:         80
        .size:           4
        .value_kind:     by_value
      - .offset:         84
        .size:           4
        .value_kind:     by_value
      - .offset:         88
        .size:           4
        .value_kind:     by_value
      - .offset:         92
        .size:           4
        .value_kind:     by_value
      - .offset:         96
        .size:           4
        .value_kind:     by_value
      - .offset:         100
        .size:           4
        .value_kind:     by_value
      - .offset:         104
        .size:           12
        .value_kind:     by_value
      - .offset:         116
        .size:           12
        .value_kind:     by_value
      - .offset:         128
        .size:           4
        .value_kind:     hidden_block_count_x
      - .offset:         132
        .size:           4
        .value_kind:     hidden_block_count_y
      - .offset:         136
        .size:           4
        .value_kind:     hidden_block_count_z
      - .offset:         140
        .size:           2
        .value_kind:     hidden_group_size_x
      - .offset:         142
        .size:           2
        .value_kind:     hidden_group_size_y
      - .offset:         144
        .size:           2
        .value_kind:     hidden_group_size_z
      - .offset:         146
        .size:           2
        .value_kind:     hidden_remainder_x
      - .offset:         148
        .size:           2
        .value_kind:     hidden_remainder_y
      - .offset:         150
        .size:           2
        .value_kind:     hidden_remainder_z
      - .offset:         168
        .size:           8
        .value_kind:     hidden_global_offset_x
      - .offset:         176
        .size:           8
        .value_kind:     hidden_global_offset_y
      - .offset:         184
        .size:           8
        .value_kind:     hidden_global_offset_z
      - .offset:         192
        .size:           2
        .value_kind:     hidden_grid_dims
      - .offset:         208
        .size:           8
        .value_kind:     hidden_hostcall_buffer
    .group_segment_fixed_size: 0
    .kernarg_segment_align: 8
    .kernarg_segment_size: 384
    .language:       OpenCL C
    .language_version:
      - 2
      - 0
    .max_flat_workgroup_size: 32
    .name:           _ZL13mul_mat_f_idsIfLi64ELi11ELi1EEvPKT_PKfPKiS6_S6_Pfiiiiiiiiiiiiii15HIP_vector_typeIjLj3EES9_
    .private_segment_fixed_size: 16
    .sgpr_count:     36
    .sgpr_spill_count: 0
    .symbol:         _ZL13mul_mat_f_idsIfLi64ELi11ELi1EEvPKT_PKfPKiS6_S6_Pfiiiiiiiiiiiiii15HIP_vector_typeIjLj3EES9_.kd
    .uniform_work_group_size: 1
    .uses_dynamic_stack: false
    .vgpr_count:     38
    .vgpr_spill_count: 0
    .wavefront_size: 32
    .workgroup_processor_mode: 1
  - .args:
      - .actual_access:  read_only
        .address_space:  global
        .offset:         0
        .size:           8
        .value_kind:     global_buffer
      - .actual_access:  read_only
        .address_space:  global
        .offset:         8
        .size:           8
        .value_kind:     global_buffer
      - .actual_access:  read_only
        .address_space:  global
        .offset:         16
        .size:           8
        .value_kind:     global_buffer
      - .actual_access:  read_only
        .address_space:  global
        .offset:         24
        .size:           8
        .value_kind:     global_buffer
      - .offset:         32
        .size:           4
        .value_kind:     by_value
      - .offset:         36
        .size:           4
        .value_kind:     by_value
      - .offset:         40
        .size:           4
        .value_kind:     by_value
      - .offset:         44
        .size:           4
        .value_kind:     by_value
      - .offset:         48
        .size:           4
        .value_kind:     by_value
      - .offset:         52
        .size:           4
        .value_kind:     by_value
      - .offset:         56
        .size:           4
        .value_kind:     by_value
      - .offset:         60
        .size:           4
        .value_kind:     by_value
      - .offset:         64
        .size:           4
        .value_kind:     by_value
      - .offset:         68
        .size:           4
        .value_kind:     by_value
      - .offset:         72
        .size:           4
        .value_kind:     by_value
      - .offset:         76
        .size:           4
        .value_kind:     by_value
      - .offset:         80
        .size:           4
        .value_kind:     by_value
      - .offset:         84
        .size:           4
        .value_kind:     by_value
      - .offset:         88
        .size:           4
        .value_kind:     by_value
      - .offset:         92
        .size:           4
        .value_kind:     by_value
      - .offset:         96
        .size:           4
        .value_kind:     hidden_block_count_x
      - .offset:         100
        .size:           4
        .value_kind:     hidden_block_count_y
      - .offset:         104
        .size:           4
        .value_kind:     hidden_block_count_z
      - .offset:         108
        .size:           2
        .value_kind:     hidden_group_size_x
      - .offset:         110
        .size:           2
        .value_kind:     hidden_group_size_y
      - .offset:         112
        .size:           2
        .value_kind:     hidden_group_size_z
      - .offset:         114
        .size:           2
        .value_kind:     hidden_remainder_x
      - .offset:         116
        .size:           2
        .value_kind:     hidden_remainder_y
      - .offset:         118
        .size:           2
        .value_kind:     hidden_remainder_z
      - .offset:         136
        .size:           8
        .value_kind:     hidden_global_offset_x
      - .offset:         144
        .size:           8
        .value_kind:     hidden_global_offset_y
      - .offset:         152
        .size:           8
        .value_kind:     hidden_global_offset_z
      - .offset:         160
        .size:           2
        .value_kind:     hidden_grid_dims
      - .offset:         176
        .size:           8
        .value_kind:     hidden_hostcall_buffer
    .group_segment_fixed_size: 0
    .kernarg_segment_align: 8
    .kernarg_segment_size: 352
    .language:       OpenCL C
    .language_version:
      - 2
      - 0
    .max_flat_workgroup_size: 32
    .name:           _ZL9mul_mat_fIfLi64ELi11ELi1ELb1EEvPKT_PKfPKiPfiiiiiiiiiiiiiiii
    .private_segment_fixed_size: 16
    .sgpr_count:     36
    .sgpr_spill_count: 0
    .symbol:         _ZL9mul_mat_fIfLi64ELi11ELi1ELb1EEvPKT_PKfPKiPfiiiiiiiiiiiiiiii.kd
    .uniform_work_group_size: 1
    .uses_dynamic_stack: false
    .vgpr_count:     38
    .vgpr_spill_count: 0
    .wavefront_size: 32
    .workgroup_processor_mode: 1
  - .args:
      - .actual_access:  read_only
        .address_space:  global
        .offset:         0
        .size:           8
        .value_kind:     global_buffer
      - .actual_access:  read_only
        .address_space:  global
        .offset:         8
        .size:           8
        .value_kind:     global_buffer
      - .actual_access:  read_only
        .address_space:  global
        .offset:         16
        .size:           8
        .value_kind:     global_buffer
      - .actual_access:  read_only
        .address_space:  global
        .offset:         24
        .size:           8
        .value_kind:     global_buffer
      - .offset:         32
        .size:           4
        .value_kind:     by_value
      - .offset:         36
        .size:           4
        .value_kind:     by_value
      - .offset:         40
        .size:           4
        .value_kind:     by_value
      - .offset:         44
        .size:           4
        .value_kind:     by_value
      - .offset:         48
        .size:           4
        .value_kind:     by_value
      - .offset:         52
        .size:           4
        .value_kind:     by_value
      - .offset:         56
        .size:           4
        .value_kind:     by_value
      - .offset:         60
        .size:           4
        .value_kind:     by_value
      - .offset:         64
        .size:           4
        .value_kind:     by_value
      - .offset:         68
        .size:           4
        .value_kind:     by_value
      - .offset:         72
        .size:           4
        .value_kind:     by_value
      - .offset:         76
        .size:           4
        .value_kind:     by_value
      - .offset:         80
        .size:           4
        .value_kind:     by_value
      - .offset:         84
        .size:           4
        .value_kind:     by_value
      - .offset:         88
        .size:           4
        .value_kind:     by_value
      - .offset:         92
        .size:           4
        .value_kind:     by_value
      - .offset:         96
        .size:           4
        .value_kind:     hidden_block_count_x
      - .offset:         100
        .size:           4
        .value_kind:     hidden_block_count_y
      - .offset:         104
        .size:           4
        .value_kind:     hidden_block_count_z
      - .offset:         108
        .size:           2
        .value_kind:     hidden_group_size_x
      - .offset:         110
        .size:           2
        .value_kind:     hidden_group_size_y
      - .offset:         112
        .size:           2
        .value_kind:     hidden_group_size_z
      - .offset:         114
        .size:           2
        .value_kind:     hidden_remainder_x
      - .offset:         116
        .size:           2
        .value_kind:     hidden_remainder_y
      - .offset:         118
        .size:           2
        .value_kind:     hidden_remainder_z
      - .offset:         136
        .size:           8
        .value_kind:     hidden_global_offset_x
      - .offset:         144
        .size:           8
        .value_kind:     hidden_global_offset_y
      - .offset:         152
        .size:           8
        .value_kind:     hidden_global_offset_z
      - .offset:         160
        .size:           2
        .value_kind:     hidden_grid_dims
      - .offset:         176
        .size:           8
        .value_kind:     hidden_hostcall_buffer
    .group_segment_fixed_size: 0
    .kernarg_segment_align: 8
    .kernarg_segment_size: 352
    .language:       OpenCL C
    .language_version:
      - 2
      - 0
    .max_flat_workgroup_size: 32
    .name:           _ZL9mul_mat_fIfLi64ELi11ELi1ELb0EEvPKT_PKfPKiPfiiiiiiiiiiiiiiii
    .private_segment_fixed_size: 16
    .sgpr_count:     36
    .sgpr_spill_count: 0
    .symbol:         _ZL9mul_mat_fIfLi64ELi11ELi1ELb0EEvPKT_PKfPKiPfiiiiiiiiiiiiiiii.kd
    .uniform_work_group_size: 1
    .uses_dynamic_stack: false
    .vgpr_count:     38
    .vgpr_spill_count: 0
    .wavefront_size: 32
    .workgroup_processor_mode: 1
  - .args:
      - .actual_access:  read_only
        .address_space:  global
        .offset:         0
        .size:           8
        .value_kind:     global_buffer
      - .actual_access:  read_only
        .address_space:  global
        .offset:         8
        .size:           8
        .value_kind:     global_buffer
      - .actual_access:  read_only
        .address_space:  global
        .offset:         16
        .size:           8
        .value_kind:     global_buffer
      - .actual_access:  read_only
        .address_space:  global
        .offset:         24
        .size:           8
        .value_kind:     global_buffer
      - .actual_access:  read_only
        .address_space:  global
        .offset:         32
        .size:           8
        .value_kind:     global_buffer
      - .actual_access:  read_only
        .address_space:  global
        .offset:         40
        .size:           8
        .value_kind:     global_buffer
      - .offset:         48
        .size:           4
        .value_kind:     by_value
      - .offset:         52
        .size:           4
        .value_kind:     by_value
      - .offset:         56
        .size:           4
        .value_kind:     by_value
      - .offset:         60
        .size:           4
        .value_kind:     by_value
      - .offset:         64
        .size:           4
        .value_kind:     by_value
      - .offset:         68
        .size:           4
        .value_kind:     by_value
      - .offset:         72
        .size:           4
        .value_kind:     by_value
      - .offset:         76
        .size:           4
        .value_kind:     by_value
      - .offset:         80
        .size:           4
        .value_kind:     by_value
      - .offset:         84
        .size:           4
        .value_kind:     by_value
      - .offset:         88
        .size:           4
        .value_kind:     by_value
      - .offset:         92
        .size:           4
        .value_kind:     by_value
      - .offset:         96
        .size:           4
        .value_kind:     by_value
      - .offset:         100
        .size:           4
        .value_kind:     by_value
      - .offset:         104
        .size:           12
        .value_kind:     by_value
      - .offset:         116
        .size:           12
        .value_kind:     by_value
      - .offset:         128
        .size:           4
        .value_kind:     hidden_block_count_x
      - .offset:         132
        .size:           4
        .value_kind:     hidden_block_count_y
      - .offset:         136
        .size:           4
        .value_kind:     hidden_block_count_z
      - .offset:         140
        .size:           2
        .value_kind:     hidden_group_size_x
      - .offset:         142
        .size:           2
        .value_kind:     hidden_group_size_y
      - .offset:         144
        .size:           2
        .value_kind:     hidden_group_size_z
      - .offset:         146
        .size:           2
        .value_kind:     hidden_remainder_x
      - .offset:         148
        .size:           2
        .value_kind:     hidden_remainder_y
      - .offset:         150
        .size:           2
        .value_kind:     hidden_remainder_z
      - .offset:         168
        .size:           8
        .value_kind:     hidden_global_offset_x
      - .offset:         176
        .size:           8
        .value_kind:     hidden_global_offset_y
      - .offset:         184
        .size:           8
        .value_kind:     hidden_global_offset_z
      - .offset:         192
        .size:           2
        .value_kind:     hidden_grid_dims
      - .offset:         208
        .size:           8
        .value_kind:     hidden_hostcall_buffer
    .group_segment_fixed_size: 0
    .kernarg_segment_align: 8
    .kernarg_segment_size: 384
    .language:       OpenCL C
    .language_version:
      - 2
      - 0
    .max_flat_workgroup_size: 64
    .name:           _ZL13mul_mat_f_idsIfLi64ELi11ELi2EEvPKT_PKfPKiS6_S6_Pfiiiiiiiiiiiiii15HIP_vector_typeIjLj3EES9_
    .private_segment_fixed_size: 16
    .sgpr_count:     36
    .sgpr_spill_count: 0
    .symbol:         _ZL13mul_mat_f_idsIfLi64ELi11ELi2EEvPKT_PKfPKiS6_S6_Pfiiiiiiiiiiiiii15HIP_vector_typeIjLj3EES9_.kd
    .uniform_work_group_size: 1
    .uses_dynamic_stack: false
    .vgpr_count:     38
    .vgpr_spill_count: 0
    .wavefront_size: 32
    .workgroup_processor_mode: 1
  - .args:
      - .actual_access:  read_only
        .address_space:  global
        .offset:         0
        .size:           8
        .value_kind:     global_buffer
      - .actual_access:  read_only
        .address_space:  global
        .offset:         8
        .size:           8
        .value_kind:     global_buffer
      - .actual_access:  read_only
        .address_space:  global
        .offset:         16
        .size:           8
        .value_kind:     global_buffer
      - .actual_access:  read_only
        .address_space:  global
        .offset:         24
        .size:           8
        .value_kind:     global_buffer
      - .offset:         32
        .size:           4
        .value_kind:     by_value
      - .offset:         36
        .size:           4
        .value_kind:     by_value
      - .offset:         40
        .size:           4
        .value_kind:     by_value
      - .offset:         44
        .size:           4
        .value_kind:     by_value
      - .offset:         48
        .size:           4
        .value_kind:     by_value
      - .offset:         52
        .size:           4
        .value_kind:     by_value
      - .offset:         56
        .size:           4
        .value_kind:     by_value
      - .offset:         60
        .size:           4
        .value_kind:     by_value
      - .offset:         64
        .size:           4
        .value_kind:     by_value
      - .offset:         68
        .size:           4
        .value_kind:     by_value
      - .offset:         72
        .size:           4
        .value_kind:     by_value
      - .offset:         76
        .size:           4
        .value_kind:     by_value
      - .offset:         80
        .size:           4
        .value_kind:     by_value
      - .offset:         84
        .size:           4
        .value_kind:     by_value
      - .offset:         88
        .size:           4
        .value_kind:     by_value
      - .offset:         92
        .size:           4
        .value_kind:     by_value
      - .offset:         96
        .size:           4
        .value_kind:     hidden_block_count_x
      - .offset:         100
        .size:           4
        .value_kind:     hidden_block_count_y
      - .offset:         104
        .size:           4
        .value_kind:     hidden_block_count_z
      - .offset:         108
        .size:           2
        .value_kind:     hidden_group_size_x
      - .offset:         110
        .size:           2
        .value_kind:     hidden_group_size_y
      - .offset:         112
        .size:           2
        .value_kind:     hidden_group_size_z
      - .offset:         114
        .size:           2
        .value_kind:     hidden_remainder_x
      - .offset:         116
        .size:           2
        .value_kind:     hidden_remainder_y
      - .offset:         118
        .size:           2
        .value_kind:     hidden_remainder_z
      - .offset:         136
        .size:           8
        .value_kind:     hidden_global_offset_x
      - .offset:         144
        .size:           8
        .value_kind:     hidden_global_offset_y
      - .offset:         152
        .size:           8
        .value_kind:     hidden_global_offset_z
      - .offset:         160
        .size:           2
        .value_kind:     hidden_grid_dims
      - .offset:         176
        .size:           8
        .value_kind:     hidden_hostcall_buffer
    .group_segment_fixed_size: 0
    .kernarg_segment_align: 8
    .kernarg_segment_size: 352
    .language:       OpenCL C
    .language_version:
      - 2
      - 0
    .max_flat_workgroup_size: 64
    .name:           _ZL9mul_mat_fIfLi64ELi11ELi2ELb1EEvPKT_PKfPKiPfiiiiiiiiiiiiiiii
    .private_segment_fixed_size: 16
    .sgpr_count:     36
    .sgpr_spill_count: 0
    .symbol:         _ZL9mul_mat_fIfLi64ELi11ELi2ELb1EEvPKT_PKfPKiPfiiiiiiiiiiiiiiii.kd
    .uniform_work_group_size: 1
    .uses_dynamic_stack: false
    .vgpr_count:     38
    .vgpr_spill_count: 0
    .wavefront_size: 32
    .workgroup_processor_mode: 1
  - .args:
      - .actual_access:  read_only
        .address_space:  global
        .offset:         0
        .size:           8
        .value_kind:     global_buffer
      - .actual_access:  read_only
        .address_space:  global
        .offset:         8
        .size:           8
        .value_kind:     global_buffer
      - .actual_access:  read_only
        .address_space:  global
        .offset:         16
        .size:           8
        .value_kind:     global_buffer
      - .actual_access:  read_only
        .address_space:  global
        .offset:         24
        .size:           8
        .value_kind:     global_buffer
      - .offset:         32
        .size:           4
        .value_kind:     by_value
      - .offset:         36
        .size:           4
        .value_kind:     by_value
      - .offset:         40
        .size:           4
        .value_kind:     by_value
      - .offset:         44
        .size:           4
        .value_kind:     by_value
      - .offset:         48
        .size:           4
        .value_kind:     by_value
      - .offset:         52
        .size:           4
        .value_kind:     by_value
      - .offset:         56
        .size:           4
        .value_kind:     by_value
      - .offset:         60
        .size:           4
        .value_kind:     by_value
      - .offset:         64
        .size:           4
        .value_kind:     by_value
      - .offset:         68
        .size:           4
        .value_kind:     by_value
      - .offset:         72
        .size:           4
        .value_kind:     by_value
      - .offset:         76
        .size:           4
        .value_kind:     by_value
      - .offset:         80
        .size:           4
        .value_kind:     by_value
      - .offset:         84
        .size:           4
        .value_kind:     by_value
      - .offset:         88
        .size:           4
        .value_kind:     by_value
      - .offset:         92
        .size:           4
        .value_kind:     by_value
      - .offset:         96
        .size:           4
        .value_kind:     hidden_block_count_x
      - .offset:         100
        .size:           4
        .value_kind:     hidden_block_count_y
      - .offset:         104
        .size:           4
        .value_kind:     hidden_block_count_z
      - .offset:         108
        .size:           2
        .value_kind:     hidden_group_size_x
      - .offset:         110
        .size:           2
        .value_kind:     hidden_group_size_y
      - .offset:         112
        .size:           2
        .value_kind:     hidden_group_size_z
      - .offset:         114
        .size:           2
        .value_kind:     hidden_remainder_x
      - .offset:         116
        .size:           2
        .value_kind:     hidden_remainder_y
      - .offset:         118
        .size:           2
        .value_kind:     hidden_remainder_z
      - .offset:         136
        .size:           8
        .value_kind:     hidden_global_offset_x
      - .offset:         144
        .size:           8
        .value_kind:     hidden_global_offset_y
      - .offset:         152
        .size:           8
        .value_kind:     hidden_global_offset_z
      - .offset:         160
        .size:           2
        .value_kind:     hidden_grid_dims
      - .offset:         176
        .size:           8
        .value_kind:     hidden_hostcall_buffer
    .group_segment_fixed_size: 0
    .kernarg_segment_align: 8
    .kernarg_segment_size: 352
    .language:       OpenCL C
    .language_version:
      - 2
      - 0
    .max_flat_workgroup_size: 64
    .name:           _ZL9mul_mat_fIfLi64ELi11ELi2ELb0EEvPKT_PKfPKiPfiiiiiiiiiiiiiiii
    .private_segment_fixed_size: 16
    .sgpr_count:     36
    .sgpr_spill_count: 0
    .symbol:         _ZL9mul_mat_fIfLi64ELi11ELi2ELb0EEvPKT_PKfPKiPfiiiiiiiiiiiiiiii.kd
    .uniform_work_group_size: 1
    .uses_dynamic_stack: false
    .vgpr_count:     38
    .vgpr_spill_count: 0
    .wavefront_size: 32
    .workgroup_processor_mode: 1
  - .args:
      - .actual_access:  read_only
        .address_space:  global
        .offset:         0
        .size:           8
        .value_kind:     global_buffer
      - .actual_access:  read_only
        .address_space:  global
        .offset:         8
        .size:           8
        .value_kind:     global_buffer
      - .actual_access:  read_only
        .address_space:  global
        .offset:         16
        .size:           8
        .value_kind:     global_buffer
      - .actual_access:  read_only
        .address_space:  global
        .offset:         24
        .size:           8
        .value_kind:     global_buffer
      - .actual_access:  read_only
        .address_space:  global
        .offset:         32
        .size:           8
        .value_kind:     global_buffer
      - .actual_access:  read_only
        .address_space:  global
        .offset:         40
        .size:           8
        .value_kind:     global_buffer
      - .offset:         48
        .size:           4
        .value_kind:     by_value
      - .offset:         52
        .size:           4
        .value_kind:     by_value
      - .offset:         56
        .size:           4
        .value_kind:     by_value
      - .offset:         60
        .size:           4
        .value_kind:     by_value
      - .offset:         64
        .size:           4
        .value_kind:     by_value
      - .offset:         68
        .size:           4
        .value_kind:     by_value
      - .offset:         72
        .size:           4
        .value_kind:     by_value
      - .offset:         76
        .size:           4
        .value_kind:     by_value
      - .offset:         80
        .size:           4
        .value_kind:     by_value
      - .offset:         84
        .size:           4
        .value_kind:     by_value
      - .offset:         88
        .size:           4
        .value_kind:     by_value
      - .offset:         92
        .size:           4
        .value_kind:     by_value
      - .offset:         96
        .size:           4
        .value_kind:     by_value
      - .offset:         100
        .size:           4
        .value_kind:     by_value
      - .offset:         104
        .size:           12
        .value_kind:     by_value
      - .offset:         116
        .size:           12
        .value_kind:     by_value
      - .offset:         128
        .size:           4
        .value_kind:     hidden_block_count_x
      - .offset:         132
        .size:           4
        .value_kind:     hidden_block_count_y
      - .offset:         136
        .size:           4
        .value_kind:     hidden_block_count_z
      - .offset:         140
        .size:           2
        .value_kind:     hidden_group_size_x
      - .offset:         142
        .size:           2
        .value_kind:     hidden_group_size_y
      - .offset:         144
        .size:           2
        .value_kind:     hidden_group_size_z
      - .offset:         146
        .size:           2
        .value_kind:     hidden_remainder_x
      - .offset:         148
        .size:           2
        .value_kind:     hidden_remainder_y
      - .offset:         150
        .size:           2
        .value_kind:     hidden_remainder_z
      - .offset:         168
        .size:           8
        .value_kind:     hidden_global_offset_x
      - .offset:         176
        .size:           8
        .value_kind:     hidden_global_offset_y
      - .offset:         184
        .size:           8
        .value_kind:     hidden_global_offset_z
      - .offset:         192
        .size:           2
        .value_kind:     hidden_grid_dims
      - .offset:         208
        .size:           8
        .value_kind:     hidden_hostcall_buffer
    .group_segment_fixed_size: 0
    .kernarg_segment_align: 8
    .kernarg_segment_size: 384
    .language:       OpenCL C
    .language_version:
      - 2
      - 0
    .max_flat_workgroup_size: 96
    .name:           _ZL13mul_mat_f_idsIfLi64ELi11ELi3EEvPKT_PKfPKiS6_S6_Pfiiiiiiiiiiiiii15HIP_vector_typeIjLj3EES9_
    .private_segment_fixed_size: 16
    .sgpr_count:     36
    .sgpr_spill_count: 0
    .symbol:         _ZL13mul_mat_f_idsIfLi64ELi11ELi3EEvPKT_PKfPKiS6_S6_Pfiiiiiiiiiiiiii15HIP_vector_typeIjLj3EES9_.kd
    .uniform_work_group_size: 1
    .uses_dynamic_stack: false
    .vgpr_count:     38
    .vgpr_spill_count: 0
    .wavefront_size: 32
    .workgroup_processor_mode: 1
  - .args:
      - .actual_access:  read_only
        .address_space:  global
        .offset:         0
        .size:           8
        .value_kind:     global_buffer
      - .actual_access:  read_only
        .address_space:  global
        .offset:         8
        .size:           8
        .value_kind:     global_buffer
      - .actual_access:  read_only
        .address_space:  global
        .offset:         16
        .size:           8
        .value_kind:     global_buffer
      - .actual_access:  read_only
        .address_space:  global
        .offset:         24
        .size:           8
        .value_kind:     global_buffer
      - .offset:         32
        .size:           4
        .value_kind:     by_value
      - .offset:         36
        .size:           4
        .value_kind:     by_value
      - .offset:         40
        .size:           4
        .value_kind:     by_value
      - .offset:         44
        .size:           4
        .value_kind:     by_value
      - .offset:         48
        .size:           4
        .value_kind:     by_value
      - .offset:         52
        .size:           4
        .value_kind:     by_value
      - .offset:         56
        .size:           4
        .value_kind:     by_value
      - .offset:         60
        .size:           4
        .value_kind:     by_value
      - .offset:         64
        .size:           4
        .value_kind:     by_value
      - .offset:         68
        .size:           4
        .value_kind:     by_value
      - .offset:         72
        .size:           4
        .value_kind:     by_value
      - .offset:         76
        .size:           4
        .value_kind:     by_value
      - .offset:         80
        .size:           4
        .value_kind:     by_value
      - .offset:         84
        .size:           4
        .value_kind:     by_value
      - .offset:         88
        .size:           4
        .value_kind:     by_value
      - .offset:         92
        .size:           4
        .value_kind:     by_value
      - .offset:         96
        .size:           4
        .value_kind:     hidden_block_count_x
      - .offset:         100
        .size:           4
        .value_kind:     hidden_block_count_y
      - .offset:         104
        .size:           4
        .value_kind:     hidden_block_count_z
      - .offset:         108
        .size:           2
        .value_kind:     hidden_group_size_x
      - .offset:         110
        .size:           2
        .value_kind:     hidden_group_size_y
      - .offset:         112
        .size:           2
        .value_kind:     hidden_group_size_z
      - .offset:         114
        .size:           2
        .value_kind:     hidden_remainder_x
      - .offset:         116
        .size:           2
        .value_kind:     hidden_remainder_y
      - .offset:         118
        .size:           2
        .value_kind:     hidden_remainder_z
      - .offset:         136
        .size:           8
        .value_kind:     hidden_global_offset_x
      - .offset:         144
        .size:           8
        .value_kind:     hidden_global_offset_y
      - .offset:         152
        .size:           8
        .value_kind:     hidden_global_offset_z
      - .offset:         160
        .size:           2
        .value_kind:     hidden_grid_dims
      - .offset:         176
        .size:           8
        .value_kind:     hidden_hostcall_buffer
    .group_segment_fixed_size: 0
    .kernarg_segment_align: 8
    .kernarg_segment_size: 352
    .language:       OpenCL C
    .language_version:
      - 2
      - 0
    .max_flat_workgroup_size: 96
    .name:           _ZL9mul_mat_fIfLi64ELi11ELi3ELb1EEvPKT_PKfPKiPfiiiiiiiiiiiiiiii
    .private_segment_fixed_size: 16
    .sgpr_count:     36
    .sgpr_spill_count: 0
    .symbol:         _ZL9mul_mat_fIfLi64ELi11ELi3ELb1EEvPKT_PKfPKiPfiiiiiiiiiiiiiiii.kd
    .uniform_work_group_size: 1
    .uses_dynamic_stack: false
    .vgpr_count:     38
    .vgpr_spill_count: 0
    .wavefront_size: 32
    .workgroup_processor_mode: 1
  - .args:
      - .actual_access:  read_only
        .address_space:  global
        .offset:         0
        .size:           8
        .value_kind:     global_buffer
      - .actual_access:  read_only
        .address_space:  global
        .offset:         8
        .size:           8
        .value_kind:     global_buffer
      - .actual_access:  read_only
        .address_space:  global
        .offset:         16
        .size:           8
        .value_kind:     global_buffer
      - .actual_access:  read_only
        .address_space:  global
        .offset:         24
        .size:           8
        .value_kind:     global_buffer
      - .offset:         32
        .size:           4
        .value_kind:     by_value
      - .offset:         36
        .size:           4
        .value_kind:     by_value
      - .offset:         40
        .size:           4
        .value_kind:     by_value
      - .offset:         44
        .size:           4
        .value_kind:     by_value
      - .offset:         48
        .size:           4
        .value_kind:     by_value
      - .offset:         52
        .size:           4
        .value_kind:     by_value
      - .offset:         56
        .size:           4
        .value_kind:     by_value
      - .offset:         60
        .size:           4
        .value_kind:     by_value
      - .offset:         64
        .size:           4
        .value_kind:     by_value
      - .offset:         68
        .size:           4
        .value_kind:     by_value
      - .offset:         72
        .size:           4
        .value_kind:     by_value
      - .offset:         76
        .size:           4
        .value_kind:     by_value
      - .offset:         80
        .size:           4
        .value_kind:     by_value
      - .offset:         84
        .size:           4
        .value_kind:     by_value
      - .offset:         88
        .size:           4
        .value_kind:     by_value
      - .offset:         92
        .size:           4
        .value_kind:     by_value
      - .offset:         96
        .size:           4
        .value_kind:     hidden_block_count_x
      - .offset:         100
        .size:           4
        .value_kind:     hidden_block_count_y
      - .offset:         104
        .size:           4
        .value_kind:     hidden_block_count_z
      - .offset:         108
        .size:           2
        .value_kind:     hidden_group_size_x
      - .offset:         110
        .size:           2
        .value_kind:     hidden_group_size_y
      - .offset:         112
        .size:           2
        .value_kind:     hidden_group_size_z
      - .offset:         114
        .size:           2
        .value_kind:     hidden_remainder_x
      - .offset:         116
        .size:           2
        .value_kind:     hidden_remainder_y
      - .offset:         118
        .size:           2
        .value_kind:     hidden_remainder_z
      - .offset:         136
        .size:           8
        .value_kind:     hidden_global_offset_x
      - .offset:         144
        .size:           8
        .value_kind:     hidden_global_offset_y
      - .offset:         152
        .size:           8
        .value_kind:     hidden_global_offset_z
      - .offset:         160
        .size:           2
        .value_kind:     hidden_grid_dims
      - .offset:         176
        .size:           8
        .value_kind:     hidden_hostcall_buffer
    .group_segment_fixed_size: 0
    .kernarg_segment_align: 8
    .kernarg_segment_size: 352
    .language:       OpenCL C
    .language_version:
      - 2
      - 0
    .max_flat_workgroup_size: 96
    .name:           _ZL9mul_mat_fIfLi64ELi11ELi3ELb0EEvPKT_PKfPKiPfiiiiiiiiiiiiiiii
    .private_segment_fixed_size: 16
    .sgpr_count:     36
    .sgpr_spill_count: 0
    .symbol:         _ZL9mul_mat_fIfLi64ELi11ELi3ELb0EEvPKT_PKfPKiPfiiiiiiiiiiiiiiii.kd
    .uniform_work_group_size: 1
    .uses_dynamic_stack: false
    .vgpr_count:     38
    .vgpr_spill_count: 0
    .wavefront_size: 32
    .workgroup_processor_mode: 1
  - .args:
      - .actual_access:  read_only
        .address_space:  global
        .offset:         0
        .size:           8
        .value_kind:     global_buffer
      - .actual_access:  read_only
        .address_space:  global
        .offset:         8
        .size:           8
        .value_kind:     global_buffer
      - .actual_access:  read_only
        .address_space:  global
        .offset:         16
        .size:           8
        .value_kind:     global_buffer
      - .actual_access:  read_only
        .address_space:  global
        .offset:         24
        .size:           8
        .value_kind:     global_buffer
      - .actual_access:  read_only
        .address_space:  global
        .offset:         32
        .size:           8
        .value_kind:     global_buffer
      - .actual_access:  read_only
        .address_space:  global
        .offset:         40
        .size:           8
        .value_kind:     global_buffer
      - .offset:         48
        .size:           4
        .value_kind:     by_value
      - .offset:         52
        .size:           4
        .value_kind:     by_value
      - .offset:         56
        .size:           4
        .value_kind:     by_value
      - .offset:         60
        .size:           4
        .value_kind:     by_value
      - .offset:         64
        .size:           4
        .value_kind:     by_value
      - .offset:         68
        .size:           4
        .value_kind:     by_value
      - .offset:         72
        .size:           4
        .value_kind:     by_value
      - .offset:         76
        .size:           4
        .value_kind:     by_value
      - .offset:         80
        .size:           4
        .value_kind:     by_value
      - .offset:         84
        .size:           4
        .value_kind:     by_value
      - .offset:         88
        .size:           4
        .value_kind:     by_value
      - .offset:         92
        .size:           4
        .value_kind:     by_value
      - .offset:         96
        .size:           4
        .value_kind:     by_value
      - .offset:         100
        .size:           4
        .value_kind:     by_value
      - .offset:         104
        .size:           12
        .value_kind:     by_value
      - .offset:         116
        .size:           12
        .value_kind:     by_value
      - .offset:         128
        .size:           4
        .value_kind:     hidden_block_count_x
      - .offset:         132
        .size:           4
        .value_kind:     hidden_block_count_y
      - .offset:         136
        .size:           4
        .value_kind:     hidden_block_count_z
      - .offset:         140
        .size:           2
        .value_kind:     hidden_group_size_x
      - .offset:         142
        .size:           2
        .value_kind:     hidden_group_size_y
      - .offset:         144
        .size:           2
        .value_kind:     hidden_group_size_z
      - .offset:         146
        .size:           2
        .value_kind:     hidden_remainder_x
      - .offset:         148
        .size:           2
        .value_kind:     hidden_remainder_y
      - .offset:         150
        .size:           2
        .value_kind:     hidden_remainder_z
      - .offset:         168
        .size:           8
        .value_kind:     hidden_global_offset_x
      - .offset:         176
        .size:           8
        .value_kind:     hidden_global_offset_y
      - .offset:         184
        .size:           8
        .value_kind:     hidden_global_offset_z
      - .offset:         192
        .size:           2
        .value_kind:     hidden_grid_dims
      - .offset:         208
        .size:           8
        .value_kind:     hidden_hostcall_buffer
    .group_segment_fixed_size: 0
    .kernarg_segment_align: 8
    .kernarg_segment_size: 384
    .language:       OpenCL C
    .language_version:
      - 2
      - 0
    .max_flat_workgroup_size: 128
    .name:           _ZL13mul_mat_f_idsIfLi64ELi11ELi4EEvPKT_PKfPKiS6_S6_Pfiiiiiiiiiiiiii15HIP_vector_typeIjLj3EES9_
    .private_segment_fixed_size: 16
    .sgpr_count:     36
    .sgpr_spill_count: 0
    .symbol:         _ZL13mul_mat_f_idsIfLi64ELi11ELi4EEvPKT_PKfPKiS6_S6_Pfiiiiiiiiiiiiii15HIP_vector_typeIjLj3EES9_.kd
    .uniform_work_group_size: 1
    .uses_dynamic_stack: false
    .vgpr_count:     38
    .vgpr_spill_count: 0
    .wavefront_size: 32
    .workgroup_processor_mode: 1
  - .args:
      - .actual_access:  read_only
        .address_space:  global
        .offset:         0
        .size:           8
        .value_kind:     global_buffer
      - .actual_access:  read_only
        .address_space:  global
        .offset:         8
        .size:           8
        .value_kind:     global_buffer
      - .actual_access:  read_only
        .address_space:  global
        .offset:         16
        .size:           8
        .value_kind:     global_buffer
      - .actual_access:  read_only
        .address_space:  global
        .offset:         24
        .size:           8
        .value_kind:     global_buffer
      - .offset:         32
        .size:           4
        .value_kind:     by_value
      - .offset:         36
        .size:           4
        .value_kind:     by_value
      - .offset:         40
        .size:           4
        .value_kind:     by_value
      - .offset:         44
        .size:           4
        .value_kind:     by_value
      - .offset:         48
        .size:           4
        .value_kind:     by_value
      - .offset:         52
        .size:           4
        .value_kind:     by_value
      - .offset:         56
        .size:           4
        .value_kind:     by_value
      - .offset:         60
        .size:           4
        .value_kind:     by_value
      - .offset:         64
        .size:           4
        .value_kind:     by_value
      - .offset:         68
        .size:           4
        .value_kind:     by_value
      - .offset:         72
        .size:           4
        .value_kind:     by_value
      - .offset:         76
        .size:           4
        .value_kind:     by_value
      - .offset:         80
        .size:           4
        .value_kind:     by_value
      - .offset:         84
        .size:           4
        .value_kind:     by_value
      - .offset:         88
        .size:           4
        .value_kind:     by_value
      - .offset:         92
        .size:           4
        .value_kind:     by_value
      - .offset:         96
        .size:           4
        .value_kind:     hidden_block_count_x
      - .offset:         100
        .size:           4
        .value_kind:     hidden_block_count_y
      - .offset:         104
        .size:           4
        .value_kind:     hidden_block_count_z
      - .offset:         108
        .size:           2
        .value_kind:     hidden_group_size_x
      - .offset:         110
        .size:           2
        .value_kind:     hidden_group_size_y
      - .offset:         112
        .size:           2
        .value_kind:     hidden_group_size_z
      - .offset:         114
        .size:           2
        .value_kind:     hidden_remainder_x
      - .offset:         116
        .size:           2
        .value_kind:     hidden_remainder_y
      - .offset:         118
        .size:           2
        .value_kind:     hidden_remainder_z
      - .offset:         136
        .size:           8
        .value_kind:     hidden_global_offset_x
      - .offset:         144
        .size:           8
        .value_kind:     hidden_global_offset_y
      - .offset:         152
        .size:           8
        .value_kind:     hidden_global_offset_z
      - .offset:         160
        .size:           2
        .value_kind:     hidden_grid_dims
      - .offset:         176
        .size:           8
        .value_kind:     hidden_hostcall_buffer
    .group_segment_fixed_size: 0
    .kernarg_segment_align: 8
    .kernarg_segment_size: 352
    .language:       OpenCL C
    .language_version:
      - 2
      - 0
    .max_flat_workgroup_size: 128
    .name:           _ZL9mul_mat_fIfLi64ELi11ELi4ELb1EEvPKT_PKfPKiPfiiiiiiiiiiiiiiii
    .private_segment_fixed_size: 16
    .sgpr_count:     36
    .sgpr_spill_count: 0
    .symbol:         _ZL9mul_mat_fIfLi64ELi11ELi4ELb1EEvPKT_PKfPKiPfiiiiiiiiiiiiiiii.kd
    .uniform_work_group_size: 1
    .uses_dynamic_stack: false
    .vgpr_count:     38
    .vgpr_spill_count: 0
    .wavefront_size: 32
    .workgroup_processor_mode: 1
  - .args:
      - .actual_access:  read_only
        .address_space:  global
        .offset:         0
        .size:           8
        .value_kind:     global_buffer
      - .actual_access:  read_only
        .address_space:  global
        .offset:         8
        .size:           8
        .value_kind:     global_buffer
      - .actual_access:  read_only
        .address_space:  global
        .offset:         16
        .size:           8
        .value_kind:     global_buffer
      - .actual_access:  read_only
        .address_space:  global
        .offset:         24
        .size:           8
        .value_kind:     global_buffer
      - .offset:         32
        .size:           4
        .value_kind:     by_value
      - .offset:         36
        .size:           4
        .value_kind:     by_value
      - .offset:         40
        .size:           4
        .value_kind:     by_value
      - .offset:         44
        .size:           4
        .value_kind:     by_value
      - .offset:         48
        .size:           4
        .value_kind:     by_value
      - .offset:         52
        .size:           4
        .value_kind:     by_value
      - .offset:         56
        .size:           4
        .value_kind:     by_value
      - .offset:         60
        .size:           4
        .value_kind:     by_value
      - .offset:         64
        .size:           4
        .value_kind:     by_value
      - .offset:         68
        .size:           4
        .value_kind:     by_value
      - .offset:         72
        .size:           4
        .value_kind:     by_value
      - .offset:         76
        .size:           4
        .value_kind:     by_value
      - .offset:         80
        .size:           4
        .value_kind:     by_value
      - .offset:         84
        .size:           4
        .value_kind:     by_value
      - .offset:         88
        .size:           4
        .value_kind:     by_value
      - .offset:         92
        .size:           4
        .value_kind:     by_value
      - .offset:         96
        .size:           4
        .value_kind:     hidden_block_count_x
      - .offset:         100
        .size:           4
        .value_kind:     hidden_block_count_y
      - .offset:         104
        .size:           4
        .value_kind:     hidden_block_count_z
      - .offset:         108
        .size:           2
        .value_kind:     hidden_group_size_x
      - .offset:         110
        .size:           2
        .value_kind:     hidden_group_size_y
      - .offset:         112
        .size:           2
        .value_kind:     hidden_group_size_z
      - .offset:         114
        .size:           2
        .value_kind:     hidden_remainder_x
      - .offset:         116
        .size:           2
        .value_kind:     hidden_remainder_y
      - .offset:         118
        .size:           2
        .value_kind:     hidden_remainder_z
      - .offset:         136
        .size:           8
        .value_kind:     hidden_global_offset_x
      - .offset:         144
        .size:           8
        .value_kind:     hidden_global_offset_y
      - .offset:         152
        .size:           8
        .value_kind:     hidden_global_offset_z
      - .offset:         160
        .size:           2
        .value_kind:     hidden_grid_dims
      - .offset:         176
        .size:           8
        .value_kind:     hidden_hostcall_buffer
    .group_segment_fixed_size: 0
    .kernarg_segment_align: 8
    .kernarg_segment_size: 352
    .language:       OpenCL C
    .language_version:
      - 2
      - 0
    .max_flat_workgroup_size: 128
    .name:           _ZL9mul_mat_fIfLi64ELi11ELi4ELb0EEvPKT_PKfPKiPfiiiiiiiiiiiiiiii
    .private_segment_fixed_size: 16
    .sgpr_count:     36
    .sgpr_spill_count: 0
    .symbol:         _ZL9mul_mat_fIfLi64ELi11ELi4ELb0EEvPKT_PKfPKiPfiiiiiiiiiiiiiiii.kd
    .uniform_work_group_size: 1
    .uses_dynamic_stack: false
    .vgpr_count:     38
    .vgpr_spill_count: 0
    .wavefront_size: 32
    .workgroup_processor_mode: 1
  - .args:
      - .actual_access:  read_only
        .address_space:  global
        .offset:         0
        .size:           8
        .value_kind:     global_buffer
      - .actual_access:  read_only
        .address_space:  global
        .offset:         8
        .size:           8
        .value_kind:     global_buffer
      - .actual_access:  read_only
        .address_space:  global
        .offset:         16
        .size:           8
        .value_kind:     global_buffer
      - .actual_access:  read_only
        .address_space:  global
        .offset:         24
        .size:           8
        .value_kind:     global_buffer
      - .actual_access:  read_only
        .address_space:  global
        .offset:         32
        .size:           8
        .value_kind:     global_buffer
      - .actual_access:  read_only
        .address_space:  global
        .offset:         40
        .size:           8
        .value_kind:     global_buffer
      - .offset:         48
        .size:           4
        .value_kind:     by_value
      - .offset:         52
        .size:           4
        .value_kind:     by_value
      - .offset:         56
        .size:           4
        .value_kind:     by_value
      - .offset:         60
        .size:           4
        .value_kind:     by_value
      - .offset:         64
        .size:           4
        .value_kind:     by_value
      - .offset:         68
        .size:           4
        .value_kind:     by_value
      - .offset:         72
        .size:           4
        .value_kind:     by_value
      - .offset:         76
        .size:           4
        .value_kind:     by_value
      - .offset:         80
        .size:           4
        .value_kind:     by_value
      - .offset:         84
        .size:           4
        .value_kind:     by_value
      - .offset:         88
        .size:           4
        .value_kind:     by_value
      - .offset:         92
        .size:           4
        .value_kind:     by_value
      - .offset:         96
        .size:           4
        .value_kind:     by_value
      - .offset:         100
        .size:           4
        .value_kind:     by_value
      - .offset:         104
        .size:           12
        .value_kind:     by_value
      - .offset:         116
        .size:           12
        .value_kind:     by_value
      - .offset:         128
        .size:           4
        .value_kind:     hidden_block_count_x
      - .offset:         132
        .size:           4
        .value_kind:     hidden_block_count_y
      - .offset:         136
        .size:           4
        .value_kind:     hidden_block_count_z
      - .offset:         140
        .size:           2
        .value_kind:     hidden_group_size_x
      - .offset:         142
        .size:           2
        .value_kind:     hidden_group_size_y
      - .offset:         144
        .size:           2
        .value_kind:     hidden_group_size_z
      - .offset:         146
        .size:           2
        .value_kind:     hidden_remainder_x
      - .offset:         148
        .size:           2
        .value_kind:     hidden_remainder_y
      - .offset:         150
        .size:           2
        .value_kind:     hidden_remainder_z
      - .offset:         168
        .size:           8
        .value_kind:     hidden_global_offset_x
      - .offset:         176
        .size:           8
        .value_kind:     hidden_global_offset_y
      - .offset:         184
        .size:           8
        .value_kind:     hidden_global_offset_z
      - .offset:         192
        .size:           2
        .value_kind:     hidden_grid_dims
      - .offset:         208
        .size:           8
        .value_kind:     hidden_hostcall_buffer
    .group_segment_fixed_size: 0
    .kernarg_segment_align: 8
    .kernarg_segment_size: 384
    .language:       OpenCL C
    .language_version:
      - 2
      - 0
    .max_flat_workgroup_size: 160
    .name:           _ZL13mul_mat_f_idsIfLi64ELi11ELi5EEvPKT_PKfPKiS6_S6_Pfiiiiiiiiiiiiii15HIP_vector_typeIjLj3EES9_
    .private_segment_fixed_size: 16
    .sgpr_count:     36
    .sgpr_spill_count: 0
    .symbol:         _ZL13mul_mat_f_idsIfLi64ELi11ELi5EEvPKT_PKfPKiS6_S6_Pfiiiiiiiiiiiiii15HIP_vector_typeIjLj3EES9_.kd
    .uniform_work_group_size: 1
    .uses_dynamic_stack: false
    .vgpr_count:     38
    .vgpr_spill_count: 0
    .wavefront_size: 32
    .workgroup_processor_mode: 1
  - .args:
      - .actual_access:  read_only
        .address_space:  global
        .offset:         0
        .size:           8
        .value_kind:     global_buffer
      - .actual_access:  read_only
        .address_space:  global
        .offset:         8
        .size:           8
        .value_kind:     global_buffer
      - .actual_access:  read_only
        .address_space:  global
        .offset:         16
        .size:           8
        .value_kind:     global_buffer
      - .actual_access:  read_only
        .address_space:  global
        .offset:         24
        .size:           8
        .value_kind:     global_buffer
      - .offset:         32
        .size:           4
        .value_kind:     by_value
      - .offset:         36
        .size:           4
        .value_kind:     by_value
      - .offset:         40
        .size:           4
        .value_kind:     by_value
      - .offset:         44
        .size:           4
        .value_kind:     by_value
      - .offset:         48
        .size:           4
        .value_kind:     by_value
      - .offset:         52
        .size:           4
        .value_kind:     by_value
      - .offset:         56
        .size:           4
        .value_kind:     by_value
      - .offset:         60
        .size:           4
        .value_kind:     by_value
      - .offset:         64
        .size:           4
        .value_kind:     by_value
      - .offset:         68
        .size:           4
        .value_kind:     by_value
      - .offset:         72
        .size:           4
        .value_kind:     by_value
      - .offset:         76
        .size:           4
        .value_kind:     by_value
      - .offset:         80
        .size:           4
        .value_kind:     by_value
      - .offset:         84
        .size:           4
        .value_kind:     by_value
      - .offset:         88
        .size:           4
        .value_kind:     by_value
      - .offset:         92
        .size:           4
        .value_kind:     by_value
      - .offset:         96
        .size:           4
        .value_kind:     hidden_block_count_x
      - .offset:         100
        .size:           4
        .value_kind:     hidden_block_count_y
      - .offset:         104
        .size:           4
        .value_kind:     hidden_block_count_z
      - .offset:         108
        .size:           2
        .value_kind:     hidden_group_size_x
      - .offset:         110
        .size:           2
        .value_kind:     hidden_group_size_y
      - .offset:         112
        .size:           2
        .value_kind:     hidden_group_size_z
      - .offset:         114
        .size:           2
        .value_kind:     hidden_remainder_x
      - .offset:         116
        .size:           2
        .value_kind:     hidden_remainder_y
      - .offset:         118
        .size:           2
        .value_kind:     hidden_remainder_z
      - .offset:         136
        .size:           8
        .value_kind:     hidden_global_offset_x
      - .offset:         144
        .size:           8
        .value_kind:     hidden_global_offset_y
      - .offset:         152
        .size:           8
        .value_kind:     hidden_global_offset_z
      - .offset:         160
        .size:           2
        .value_kind:     hidden_grid_dims
      - .offset:         176
        .size:           8
        .value_kind:     hidden_hostcall_buffer
    .group_segment_fixed_size: 0
    .kernarg_segment_align: 8
    .kernarg_segment_size: 352
    .language:       OpenCL C
    .language_version:
      - 2
      - 0
    .max_flat_workgroup_size: 160
    .name:           _ZL9mul_mat_fIfLi64ELi11ELi5ELb1EEvPKT_PKfPKiPfiiiiiiiiiiiiiiii
    .private_segment_fixed_size: 16
    .sgpr_count:     36
    .sgpr_spill_count: 0
    .symbol:         _ZL9mul_mat_fIfLi64ELi11ELi5ELb1EEvPKT_PKfPKiPfiiiiiiiiiiiiiiii.kd
    .uniform_work_group_size: 1
    .uses_dynamic_stack: false
    .vgpr_count:     38
    .vgpr_spill_count: 0
    .wavefront_size: 32
    .workgroup_processor_mode: 1
  - .args:
      - .actual_access:  read_only
        .address_space:  global
        .offset:         0
        .size:           8
        .value_kind:     global_buffer
      - .actual_access:  read_only
        .address_space:  global
        .offset:         8
        .size:           8
        .value_kind:     global_buffer
      - .actual_access:  read_only
        .address_space:  global
        .offset:         16
        .size:           8
        .value_kind:     global_buffer
      - .actual_access:  read_only
        .address_space:  global
        .offset:         24
        .size:           8
        .value_kind:     global_buffer
      - .offset:         32
        .size:           4
        .value_kind:     by_value
      - .offset:         36
        .size:           4
        .value_kind:     by_value
      - .offset:         40
        .size:           4
        .value_kind:     by_value
      - .offset:         44
        .size:           4
        .value_kind:     by_value
      - .offset:         48
        .size:           4
        .value_kind:     by_value
      - .offset:         52
        .size:           4
        .value_kind:     by_value
      - .offset:         56
        .size:           4
        .value_kind:     by_value
      - .offset:         60
        .size:           4
        .value_kind:     by_value
      - .offset:         64
        .size:           4
        .value_kind:     by_value
      - .offset:         68
        .size:           4
        .value_kind:     by_value
      - .offset:         72
        .size:           4
        .value_kind:     by_value
      - .offset:         76
        .size:           4
        .value_kind:     by_value
      - .offset:         80
        .size:           4
        .value_kind:     by_value
      - .offset:         84
        .size:           4
        .value_kind:     by_value
      - .offset:         88
        .size:           4
        .value_kind:     by_value
      - .offset:         92
        .size:           4
        .value_kind:     by_value
      - .offset:         96
        .size:           4
        .value_kind:     hidden_block_count_x
      - .offset:         100
        .size:           4
        .value_kind:     hidden_block_count_y
      - .offset:         104
        .size:           4
        .value_kind:     hidden_block_count_z
      - .offset:         108
        .size:           2
        .value_kind:     hidden_group_size_x
      - .offset:         110
        .size:           2
        .value_kind:     hidden_group_size_y
      - .offset:         112
        .size:           2
        .value_kind:     hidden_group_size_z
      - .offset:         114
        .size:           2
        .value_kind:     hidden_remainder_x
      - .offset:         116
        .size:           2
        .value_kind:     hidden_remainder_y
      - .offset:         118
        .size:           2
        .value_kind:     hidden_remainder_z
      - .offset:         136
        .size:           8
        .value_kind:     hidden_global_offset_x
      - .offset:         144
        .size:           8
        .value_kind:     hidden_global_offset_y
      - .offset:         152
        .size:           8
        .value_kind:     hidden_global_offset_z
      - .offset:         160
        .size:           2
        .value_kind:     hidden_grid_dims
      - .offset:         176
        .size:           8
        .value_kind:     hidden_hostcall_buffer
    .group_segment_fixed_size: 0
    .kernarg_segment_align: 8
    .kernarg_segment_size: 352
    .language:       OpenCL C
    .language_version:
      - 2
      - 0
    .max_flat_workgroup_size: 160
    .name:           _ZL9mul_mat_fIfLi64ELi11ELi5ELb0EEvPKT_PKfPKiPfiiiiiiiiiiiiiiii
    .private_segment_fixed_size: 16
    .sgpr_count:     36
    .sgpr_spill_count: 0
    .symbol:         _ZL9mul_mat_fIfLi64ELi11ELi5ELb0EEvPKT_PKfPKiPfiiiiiiiiiiiiiiii.kd
    .uniform_work_group_size: 1
    .uses_dynamic_stack: false
    .vgpr_count:     38
    .vgpr_spill_count: 0
    .wavefront_size: 32
    .workgroup_processor_mode: 1
  - .args:
      - .actual_access:  read_only
        .address_space:  global
        .offset:         0
        .size:           8
        .value_kind:     global_buffer
      - .actual_access:  read_only
        .address_space:  global
        .offset:         8
        .size:           8
        .value_kind:     global_buffer
      - .actual_access:  read_only
        .address_space:  global
        .offset:         16
        .size:           8
        .value_kind:     global_buffer
      - .actual_access:  read_only
        .address_space:  global
        .offset:         24
        .size:           8
        .value_kind:     global_buffer
      - .actual_access:  read_only
        .address_space:  global
        .offset:         32
        .size:           8
        .value_kind:     global_buffer
      - .actual_access:  read_only
        .address_space:  global
        .offset:         40
        .size:           8
        .value_kind:     global_buffer
      - .offset:         48
        .size:           4
        .value_kind:     by_value
      - .offset:         52
        .size:           4
        .value_kind:     by_value
      - .offset:         56
        .size:           4
        .value_kind:     by_value
      - .offset:         60
        .size:           4
        .value_kind:     by_value
      - .offset:         64
        .size:           4
        .value_kind:     by_value
      - .offset:         68
        .size:           4
        .value_kind:     by_value
      - .offset:         72
        .size:           4
        .value_kind:     by_value
      - .offset:         76
        .size:           4
        .value_kind:     by_value
      - .offset:         80
        .size:           4
        .value_kind:     by_value
      - .offset:         84
        .size:           4
        .value_kind:     by_value
      - .offset:         88
        .size:           4
        .value_kind:     by_value
      - .offset:         92
        .size:           4
        .value_kind:     by_value
      - .offset:         96
        .size:           4
        .value_kind:     by_value
      - .offset:         100
        .size:           4
        .value_kind:     by_value
      - .offset:         104
        .size:           12
        .value_kind:     by_value
      - .offset:         116
        .size:           12
        .value_kind:     by_value
      - .offset:         128
        .size:           4
        .value_kind:     hidden_block_count_x
      - .offset:         132
        .size:           4
        .value_kind:     hidden_block_count_y
      - .offset:         136
        .size:           4
        .value_kind:     hidden_block_count_z
      - .offset:         140
        .size:           2
        .value_kind:     hidden_group_size_x
      - .offset:         142
        .size:           2
        .value_kind:     hidden_group_size_y
      - .offset:         144
        .size:           2
        .value_kind:     hidden_group_size_z
      - .offset:         146
        .size:           2
        .value_kind:     hidden_remainder_x
      - .offset:         148
        .size:           2
        .value_kind:     hidden_remainder_y
      - .offset:         150
        .size:           2
        .value_kind:     hidden_remainder_z
      - .offset:         168
        .size:           8
        .value_kind:     hidden_global_offset_x
      - .offset:         176
        .size:           8
        .value_kind:     hidden_global_offset_y
      - .offset:         184
        .size:           8
        .value_kind:     hidden_global_offset_z
      - .offset:         192
        .size:           2
        .value_kind:     hidden_grid_dims
      - .offset:         208
        .size:           8
        .value_kind:     hidden_hostcall_buffer
    .group_segment_fixed_size: 0
    .kernarg_segment_align: 8
    .kernarg_segment_size: 384
    .language:       OpenCL C
    .language_version:
      - 2
      - 0
    .max_flat_workgroup_size: 192
    .name:           _ZL13mul_mat_f_idsIfLi64ELi11ELi6EEvPKT_PKfPKiS6_S6_Pfiiiiiiiiiiiiii15HIP_vector_typeIjLj3EES9_
    .private_segment_fixed_size: 16
    .sgpr_count:     36
    .sgpr_spill_count: 0
    .symbol:         _ZL13mul_mat_f_idsIfLi64ELi11ELi6EEvPKT_PKfPKiS6_S6_Pfiiiiiiiiiiiiii15HIP_vector_typeIjLj3EES9_.kd
    .uniform_work_group_size: 1
    .uses_dynamic_stack: false
    .vgpr_count:     38
    .vgpr_spill_count: 0
    .wavefront_size: 32
    .workgroup_processor_mode: 1
  - .args:
      - .actual_access:  read_only
        .address_space:  global
        .offset:         0
        .size:           8
        .value_kind:     global_buffer
      - .actual_access:  read_only
        .address_space:  global
        .offset:         8
        .size:           8
        .value_kind:     global_buffer
      - .actual_access:  read_only
        .address_space:  global
        .offset:         16
        .size:           8
        .value_kind:     global_buffer
      - .actual_access:  read_only
        .address_space:  global
        .offset:         24
        .size:           8
        .value_kind:     global_buffer
      - .offset:         32
        .size:           4
        .value_kind:     by_value
      - .offset:         36
        .size:           4
        .value_kind:     by_value
      - .offset:         40
        .size:           4
        .value_kind:     by_value
      - .offset:         44
        .size:           4
        .value_kind:     by_value
      - .offset:         48
        .size:           4
        .value_kind:     by_value
      - .offset:         52
        .size:           4
        .value_kind:     by_value
      - .offset:         56
        .size:           4
        .value_kind:     by_value
      - .offset:         60
        .size:           4
        .value_kind:     by_value
      - .offset:         64
        .size:           4
        .value_kind:     by_value
      - .offset:         68
        .size:           4
        .value_kind:     by_value
      - .offset:         72
        .size:           4
        .value_kind:     by_value
      - .offset:         76
        .size:           4
        .value_kind:     by_value
      - .offset:         80
        .size:           4
        .value_kind:     by_value
      - .offset:         84
        .size:           4
        .value_kind:     by_value
      - .offset:         88
        .size:           4
        .value_kind:     by_value
      - .offset:         92
        .size:           4
        .value_kind:     by_value
      - .offset:         96
        .size:           4
        .value_kind:     hidden_block_count_x
      - .offset:         100
        .size:           4
        .value_kind:     hidden_block_count_y
      - .offset:         104
        .size:           4
        .value_kind:     hidden_block_count_z
      - .offset:         108
        .size:           2
        .value_kind:     hidden_group_size_x
      - .offset:         110
        .size:           2
        .value_kind:     hidden_group_size_y
      - .offset:         112
        .size:           2
        .value_kind:     hidden_group_size_z
      - .offset:         114
        .size:           2
        .value_kind:     hidden_remainder_x
      - .offset:         116
        .size:           2
        .value_kind:     hidden_remainder_y
      - .offset:         118
        .size:           2
        .value_kind:     hidden_remainder_z
      - .offset:         136
        .size:           8
        .value_kind:     hidden_global_offset_x
      - .offset:         144
        .size:           8
        .value_kind:     hidden_global_offset_y
      - .offset:         152
        .size:           8
        .value_kind:     hidden_global_offset_z
      - .offset:         160
        .size:           2
        .value_kind:     hidden_grid_dims
      - .offset:         176
        .size:           8
        .value_kind:     hidden_hostcall_buffer
    .group_segment_fixed_size: 0
    .kernarg_segment_align: 8
    .kernarg_segment_size: 352
    .language:       OpenCL C
    .language_version:
      - 2
      - 0
    .max_flat_workgroup_size: 192
    .name:           _ZL9mul_mat_fIfLi64ELi11ELi6ELb1EEvPKT_PKfPKiPfiiiiiiiiiiiiiiii
    .private_segment_fixed_size: 16
    .sgpr_count:     36
    .sgpr_spill_count: 0
    .symbol:         _ZL9mul_mat_fIfLi64ELi11ELi6ELb1EEvPKT_PKfPKiPfiiiiiiiiiiiiiiii.kd
    .uniform_work_group_size: 1
    .uses_dynamic_stack: false
    .vgpr_count:     38
    .vgpr_spill_count: 0
    .wavefront_size: 32
    .workgroup_processor_mode: 1
  - .args:
      - .actual_access:  read_only
        .address_space:  global
        .offset:         0
        .size:           8
        .value_kind:     global_buffer
      - .actual_access:  read_only
        .address_space:  global
        .offset:         8
        .size:           8
        .value_kind:     global_buffer
      - .actual_access:  read_only
        .address_space:  global
        .offset:         16
        .size:           8
        .value_kind:     global_buffer
      - .actual_access:  read_only
        .address_space:  global
        .offset:         24
        .size:           8
        .value_kind:     global_buffer
      - .offset:         32
        .size:           4
        .value_kind:     by_value
      - .offset:         36
        .size:           4
        .value_kind:     by_value
      - .offset:         40
        .size:           4
        .value_kind:     by_value
      - .offset:         44
        .size:           4
        .value_kind:     by_value
      - .offset:         48
        .size:           4
        .value_kind:     by_value
      - .offset:         52
        .size:           4
        .value_kind:     by_value
      - .offset:         56
        .size:           4
        .value_kind:     by_value
      - .offset:         60
        .size:           4
        .value_kind:     by_value
      - .offset:         64
        .size:           4
        .value_kind:     by_value
      - .offset:         68
        .size:           4
        .value_kind:     by_value
      - .offset:         72
        .size:           4
        .value_kind:     by_value
      - .offset:         76
        .size:           4
        .value_kind:     by_value
      - .offset:         80
        .size:           4
        .value_kind:     by_value
      - .offset:         84
        .size:           4
        .value_kind:     by_value
      - .offset:         88
        .size:           4
        .value_kind:     by_value
      - .offset:         92
        .size:           4
        .value_kind:     by_value
      - .offset:         96
        .size:           4
        .value_kind:     hidden_block_count_x
      - .offset:         100
        .size:           4
        .value_kind:     hidden_block_count_y
      - .offset:         104
        .size:           4
        .value_kind:     hidden_block_count_z
      - .offset:         108
        .size:           2
        .value_kind:     hidden_group_size_x
      - .offset:         110
        .size:           2
        .value_kind:     hidden_group_size_y
      - .offset:         112
        .size:           2
        .value_kind:     hidden_group_size_z
      - .offset:         114
        .size:           2
        .value_kind:     hidden_remainder_x
      - .offset:         116
        .size:           2
        .value_kind:     hidden_remainder_y
      - .offset:         118
        .size:           2
        .value_kind:     hidden_remainder_z
      - .offset:         136
        .size:           8
        .value_kind:     hidden_global_offset_x
      - .offset:         144
        .size:           8
        .value_kind:     hidden_global_offset_y
      - .offset:         152
        .size:           8
        .value_kind:     hidden_global_offset_z
      - .offset:         160
        .size:           2
        .value_kind:     hidden_grid_dims
      - .offset:         176
        .size:           8
        .value_kind:     hidden_hostcall_buffer
    .group_segment_fixed_size: 0
    .kernarg_segment_align: 8
    .kernarg_segment_size: 352
    .language:       OpenCL C
    .language_version:
      - 2
      - 0
    .max_flat_workgroup_size: 192
    .name:           _ZL9mul_mat_fIfLi64ELi11ELi6ELb0EEvPKT_PKfPKiPfiiiiiiiiiiiiiiii
    .private_segment_fixed_size: 16
    .sgpr_count:     36
    .sgpr_spill_count: 0
    .symbol:         _ZL9mul_mat_fIfLi64ELi11ELi6ELb0EEvPKT_PKfPKiPfiiiiiiiiiiiiiiii.kd
    .uniform_work_group_size: 1
    .uses_dynamic_stack: false
    .vgpr_count:     38
    .vgpr_spill_count: 0
    .wavefront_size: 32
    .workgroup_processor_mode: 1
  - .args:
      - .actual_access:  read_only
        .address_space:  global
        .offset:         0
        .size:           8
        .value_kind:     global_buffer
      - .actual_access:  read_only
        .address_space:  global
        .offset:         8
        .size:           8
        .value_kind:     global_buffer
      - .actual_access:  read_only
        .address_space:  global
        .offset:         16
        .size:           8
        .value_kind:     global_buffer
      - .actual_access:  read_only
        .address_space:  global
        .offset:         24
        .size:           8
        .value_kind:     global_buffer
      - .actual_access:  read_only
        .address_space:  global
        .offset:         32
        .size:           8
        .value_kind:     global_buffer
      - .actual_access:  read_only
        .address_space:  global
        .offset:         40
        .size:           8
        .value_kind:     global_buffer
      - .offset:         48
        .size:           4
        .value_kind:     by_value
      - .offset:         52
        .size:           4
        .value_kind:     by_value
      - .offset:         56
        .size:           4
        .value_kind:     by_value
      - .offset:         60
        .size:           4
        .value_kind:     by_value
      - .offset:         64
        .size:           4
        .value_kind:     by_value
      - .offset:         68
        .size:           4
        .value_kind:     by_value
      - .offset:         72
        .size:           4
        .value_kind:     by_value
      - .offset:         76
        .size:           4
        .value_kind:     by_value
      - .offset:         80
        .size:           4
        .value_kind:     by_value
      - .offset:         84
        .size:           4
        .value_kind:     by_value
      - .offset:         88
        .size:           4
        .value_kind:     by_value
      - .offset:         92
        .size:           4
        .value_kind:     by_value
      - .offset:         96
        .size:           4
        .value_kind:     by_value
      - .offset:         100
        .size:           4
        .value_kind:     by_value
      - .offset:         104
        .size:           12
        .value_kind:     by_value
      - .offset:         116
        .size:           12
        .value_kind:     by_value
      - .offset:         128
        .size:           4
        .value_kind:     hidden_block_count_x
      - .offset:         132
        .size:           4
        .value_kind:     hidden_block_count_y
      - .offset:         136
        .size:           4
        .value_kind:     hidden_block_count_z
      - .offset:         140
        .size:           2
        .value_kind:     hidden_group_size_x
      - .offset:         142
        .size:           2
        .value_kind:     hidden_group_size_y
      - .offset:         144
        .size:           2
        .value_kind:     hidden_group_size_z
      - .offset:         146
        .size:           2
        .value_kind:     hidden_remainder_x
      - .offset:         148
        .size:           2
        .value_kind:     hidden_remainder_y
      - .offset:         150
        .size:           2
        .value_kind:     hidden_remainder_z
      - .offset:         168
        .size:           8
        .value_kind:     hidden_global_offset_x
      - .offset:         176
        .size:           8
        .value_kind:     hidden_global_offset_y
      - .offset:         184
        .size:           8
        .value_kind:     hidden_global_offset_z
      - .offset:         192
        .size:           2
        .value_kind:     hidden_grid_dims
      - .offset:         208
        .size:           8
        .value_kind:     hidden_hostcall_buffer
    .group_segment_fixed_size: 0
    .kernarg_segment_align: 8
    .kernarg_segment_size: 384
    .language:       OpenCL C
    .language_version:
      - 2
      - 0
    .max_flat_workgroup_size: 224
    .name:           _ZL13mul_mat_f_idsIfLi64ELi11ELi7EEvPKT_PKfPKiS6_S6_Pfiiiiiiiiiiiiii15HIP_vector_typeIjLj3EES9_
    .private_segment_fixed_size: 16
    .sgpr_count:     36
    .sgpr_spill_count: 0
    .symbol:         _ZL13mul_mat_f_idsIfLi64ELi11ELi7EEvPKT_PKfPKiS6_S6_Pfiiiiiiiiiiiiii15HIP_vector_typeIjLj3EES9_.kd
    .uniform_work_group_size: 1
    .uses_dynamic_stack: false
    .vgpr_count:     38
    .vgpr_spill_count: 0
    .wavefront_size: 32
    .workgroup_processor_mode: 1
  - .args:
      - .actual_access:  read_only
        .address_space:  global
        .offset:         0
        .size:           8
        .value_kind:     global_buffer
      - .actual_access:  read_only
        .address_space:  global
        .offset:         8
        .size:           8
        .value_kind:     global_buffer
      - .actual_access:  read_only
        .address_space:  global
        .offset:         16
        .size:           8
        .value_kind:     global_buffer
      - .actual_access:  read_only
        .address_space:  global
        .offset:         24
        .size:           8
        .value_kind:     global_buffer
      - .offset:         32
        .size:           4
        .value_kind:     by_value
      - .offset:         36
        .size:           4
        .value_kind:     by_value
      - .offset:         40
        .size:           4
        .value_kind:     by_value
      - .offset:         44
        .size:           4
        .value_kind:     by_value
      - .offset:         48
        .size:           4
        .value_kind:     by_value
      - .offset:         52
        .size:           4
        .value_kind:     by_value
      - .offset:         56
        .size:           4
        .value_kind:     by_value
      - .offset:         60
        .size:           4
        .value_kind:     by_value
      - .offset:         64
        .size:           4
        .value_kind:     by_value
      - .offset:         68
        .size:           4
        .value_kind:     by_value
      - .offset:         72
        .size:           4
        .value_kind:     by_value
      - .offset:         76
        .size:           4
        .value_kind:     by_value
      - .offset:         80
        .size:           4
        .value_kind:     by_value
      - .offset:         84
        .size:           4
        .value_kind:     by_value
      - .offset:         88
        .size:           4
        .value_kind:     by_value
      - .offset:         92
        .size:           4
        .value_kind:     by_value
      - .offset:         96
        .size:           4
        .value_kind:     hidden_block_count_x
      - .offset:         100
        .size:           4
        .value_kind:     hidden_block_count_y
      - .offset:         104
        .size:           4
        .value_kind:     hidden_block_count_z
      - .offset:         108
        .size:           2
        .value_kind:     hidden_group_size_x
      - .offset:         110
        .size:           2
        .value_kind:     hidden_group_size_y
      - .offset:         112
        .size:           2
        .value_kind:     hidden_group_size_z
      - .offset:         114
        .size:           2
        .value_kind:     hidden_remainder_x
      - .offset:         116
        .size:           2
        .value_kind:     hidden_remainder_y
      - .offset:         118
        .size:           2
        .value_kind:     hidden_remainder_z
      - .offset:         136
        .size:           8
        .value_kind:     hidden_global_offset_x
      - .offset:         144
        .size:           8
        .value_kind:     hidden_global_offset_y
      - .offset:         152
        .size:           8
        .value_kind:     hidden_global_offset_z
      - .offset:         160
        .size:           2
        .value_kind:     hidden_grid_dims
      - .offset:         176
        .size:           8
        .value_kind:     hidden_hostcall_buffer
    .group_segment_fixed_size: 0
    .kernarg_segment_align: 8
    .kernarg_segment_size: 352
    .language:       OpenCL C
    .language_version:
      - 2
      - 0
    .max_flat_workgroup_size: 224
    .name:           _ZL9mul_mat_fIfLi64ELi11ELi7ELb1EEvPKT_PKfPKiPfiiiiiiiiiiiiiiii
    .private_segment_fixed_size: 16
    .sgpr_count:     36
    .sgpr_spill_count: 0
    .symbol:         _ZL9mul_mat_fIfLi64ELi11ELi7ELb1EEvPKT_PKfPKiPfiiiiiiiiiiiiiiii.kd
    .uniform_work_group_size: 1
    .uses_dynamic_stack: false
    .vgpr_count:     38
    .vgpr_spill_count: 0
    .wavefront_size: 32
    .workgroup_processor_mode: 1
  - .args:
      - .actual_access:  read_only
        .address_space:  global
        .offset:         0
        .size:           8
        .value_kind:     global_buffer
      - .actual_access:  read_only
        .address_space:  global
        .offset:         8
        .size:           8
        .value_kind:     global_buffer
      - .actual_access:  read_only
        .address_space:  global
        .offset:         16
        .size:           8
        .value_kind:     global_buffer
      - .actual_access:  read_only
        .address_space:  global
        .offset:         24
        .size:           8
        .value_kind:     global_buffer
      - .offset:         32
        .size:           4
        .value_kind:     by_value
      - .offset:         36
        .size:           4
        .value_kind:     by_value
      - .offset:         40
        .size:           4
        .value_kind:     by_value
      - .offset:         44
        .size:           4
        .value_kind:     by_value
      - .offset:         48
        .size:           4
        .value_kind:     by_value
      - .offset:         52
        .size:           4
        .value_kind:     by_value
      - .offset:         56
        .size:           4
        .value_kind:     by_value
      - .offset:         60
        .size:           4
        .value_kind:     by_value
      - .offset:         64
        .size:           4
        .value_kind:     by_value
      - .offset:         68
        .size:           4
        .value_kind:     by_value
      - .offset:         72
        .size:           4
        .value_kind:     by_value
      - .offset:         76
        .size:           4
        .value_kind:     by_value
      - .offset:         80
        .size:           4
        .value_kind:     by_value
      - .offset:         84
        .size:           4
        .value_kind:     by_value
      - .offset:         88
        .size:           4
        .value_kind:     by_value
      - .offset:         92
        .size:           4
        .value_kind:     by_value
      - .offset:         96
        .size:           4
        .value_kind:     hidden_block_count_x
      - .offset:         100
        .size:           4
        .value_kind:     hidden_block_count_y
      - .offset:         104
        .size:           4
        .value_kind:     hidden_block_count_z
      - .offset:         108
        .size:           2
        .value_kind:     hidden_group_size_x
      - .offset:         110
        .size:           2
        .value_kind:     hidden_group_size_y
      - .offset:         112
        .size:           2
        .value_kind:     hidden_group_size_z
      - .offset:         114
        .size:           2
        .value_kind:     hidden_remainder_x
      - .offset:         116
        .size:           2
        .value_kind:     hidden_remainder_y
      - .offset:         118
        .size:           2
        .value_kind:     hidden_remainder_z
      - .offset:         136
        .size:           8
        .value_kind:     hidden_global_offset_x
      - .offset:         144
        .size:           8
        .value_kind:     hidden_global_offset_y
      - .offset:         152
        .size:           8
        .value_kind:     hidden_global_offset_z
      - .offset:         160
        .size:           2
        .value_kind:     hidden_grid_dims
      - .offset:         176
        .size:           8
        .value_kind:     hidden_hostcall_buffer
    .group_segment_fixed_size: 0
    .kernarg_segment_align: 8
    .kernarg_segment_size: 352
    .language:       OpenCL C
    .language_version:
      - 2
      - 0
    .max_flat_workgroup_size: 224
    .name:           _ZL9mul_mat_fIfLi64ELi11ELi7ELb0EEvPKT_PKfPKiPfiiiiiiiiiiiiiiii
    .private_segment_fixed_size: 16
    .sgpr_count:     36
    .sgpr_spill_count: 0
    .symbol:         _ZL9mul_mat_fIfLi64ELi11ELi7ELb0EEvPKT_PKfPKiPfiiiiiiiiiiiiiiii.kd
    .uniform_work_group_size: 1
    .uses_dynamic_stack: false
    .vgpr_count:     38
    .vgpr_spill_count: 0
    .wavefront_size: 32
    .workgroup_processor_mode: 1
  - .args:
      - .actual_access:  read_only
        .address_space:  global
        .offset:         0
        .size:           8
        .value_kind:     global_buffer
      - .actual_access:  read_only
        .address_space:  global
        .offset:         8
        .size:           8
        .value_kind:     global_buffer
      - .actual_access:  read_only
        .address_space:  global
        .offset:         16
        .size:           8
        .value_kind:     global_buffer
      - .actual_access:  read_only
        .address_space:  global
        .offset:         24
        .size:           8
        .value_kind:     global_buffer
      - .actual_access:  read_only
        .address_space:  global
        .offset:         32
        .size:           8
        .value_kind:     global_buffer
      - .actual_access:  read_only
        .address_space:  global
        .offset:         40
        .size:           8
        .value_kind:     global_buffer
      - .offset:         48
        .size:           4
        .value_kind:     by_value
      - .offset:         52
        .size:           4
        .value_kind:     by_value
      - .offset:         56
        .size:           4
        .value_kind:     by_value
      - .offset:         60
        .size:           4
        .value_kind:     by_value
      - .offset:         64
        .size:           4
        .value_kind:     by_value
      - .offset:         68
        .size:           4
        .value_kind:     by_value
      - .offset:         72
        .size:           4
        .value_kind:     by_value
      - .offset:         76
        .size:           4
        .value_kind:     by_value
      - .offset:         80
        .size:           4
        .value_kind:     by_value
      - .offset:         84
        .size:           4
        .value_kind:     by_value
      - .offset:         88
        .size:           4
        .value_kind:     by_value
      - .offset:         92
        .size:           4
        .value_kind:     by_value
      - .offset:         96
        .size:           4
        .value_kind:     by_value
      - .offset:         100
        .size:           4
        .value_kind:     by_value
      - .offset:         104
        .size:           12
        .value_kind:     by_value
      - .offset:         116
        .size:           12
        .value_kind:     by_value
      - .offset:         128
        .size:           4
        .value_kind:     hidden_block_count_x
      - .offset:         132
        .size:           4
        .value_kind:     hidden_block_count_y
      - .offset:         136
        .size:           4
        .value_kind:     hidden_block_count_z
      - .offset:         140
        .size:           2
        .value_kind:     hidden_group_size_x
      - .offset:         142
        .size:           2
        .value_kind:     hidden_group_size_y
      - .offset:         144
        .size:           2
        .value_kind:     hidden_group_size_z
      - .offset:         146
        .size:           2
        .value_kind:     hidden_remainder_x
      - .offset:         148
        .size:           2
        .value_kind:     hidden_remainder_y
      - .offset:         150
        .size:           2
        .value_kind:     hidden_remainder_z
      - .offset:         168
        .size:           8
        .value_kind:     hidden_global_offset_x
      - .offset:         176
        .size:           8
        .value_kind:     hidden_global_offset_y
      - .offset:         184
        .size:           8
        .value_kind:     hidden_global_offset_z
      - .offset:         192
        .size:           2
        .value_kind:     hidden_grid_dims
      - .offset:         208
        .size:           8
        .value_kind:     hidden_hostcall_buffer
    .group_segment_fixed_size: 0
    .kernarg_segment_align: 8
    .kernarg_segment_size: 384
    .language:       OpenCL C
    .language_version:
      - 2
      - 0
    .max_flat_workgroup_size: 256
    .name:           _ZL13mul_mat_f_idsIfLi64ELi11ELi8EEvPKT_PKfPKiS6_S6_Pfiiiiiiiiiiiiii15HIP_vector_typeIjLj3EES9_
    .private_segment_fixed_size: 16
    .sgpr_count:     36
    .sgpr_spill_count: 0
    .symbol:         _ZL13mul_mat_f_idsIfLi64ELi11ELi8EEvPKT_PKfPKiS6_S6_Pfiiiiiiiiiiiiii15HIP_vector_typeIjLj3EES9_.kd
    .uniform_work_group_size: 1
    .uses_dynamic_stack: false
    .vgpr_count:     38
    .vgpr_spill_count: 0
    .wavefront_size: 32
    .workgroup_processor_mode: 1
  - .args:
      - .actual_access:  read_only
        .address_space:  global
        .offset:         0
        .size:           8
        .value_kind:     global_buffer
      - .actual_access:  read_only
        .address_space:  global
        .offset:         8
        .size:           8
        .value_kind:     global_buffer
      - .actual_access:  read_only
        .address_space:  global
        .offset:         16
        .size:           8
        .value_kind:     global_buffer
      - .actual_access:  read_only
        .address_space:  global
        .offset:         24
        .size:           8
        .value_kind:     global_buffer
      - .offset:         32
        .size:           4
        .value_kind:     by_value
      - .offset:         36
        .size:           4
        .value_kind:     by_value
      - .offset:         40
        .size:           4
        .value_kind:     by_value
      - .offset:         44
        .size:           4
        .value_kind:     by_value
      - .offset:         48
        .size:           4
        .value_kind:     by_value
      - .offset:         52
        .size:           4
        .value_kind:     by_value
      - .offset:         56
        .size:           4
        .value_kind:     by_value
      - .offset:         60
        .size:           4
        .value_kind:     by_value
      - .offset:         64
        .size:           4
        .value_kind:     by_value
      - .offset:         68
        .size:           4
        .value_kind:     by_value
      - .offset:         72
        .size:           4
        .value_kind:     by_value
      - .offset:         76
        .size:           4
        .value_kind:     by_value
      - .offset:         80
        .size:           4
        .value_kind:     by_value
      - .offset:         84
        .size:           4
        .value_kind:     by_value
      - .offset:         88
        .size:           4
        .value_kind:     by_value
      - .offset:         92
        .size:           4
        .value_kind:     by_value
      - .offset:         96
        .size:           4
        .value_kind:     hidden_block_count_x
      - .offset:         100
        .size:           4
        .value_kind:     hidden_block_count_y
      - .offset:         104
        .size:           4
        .value_kind:     hidden_block_count_z
      - .offset:         108
        .size:           2
        .value_kind:     hidden_group_size_x
      - .offset:         110
        .size:           2
        .value_kind:     hidden_group_size_y
      - .offset:         112
        .size:           2
        .value_kind:     hidden_group_size_z
      - .offset:         114
        .size:           2
        .value_kind:     hidden_remainder_x
      - .offset:         116
        .size:           2
        .value_kind:     hidden_remainder_y
      - .offset:         118
        .size:           2
        .value_kind:     hidden_remainder_z
      - .offset:         136
        .size:           8
        .value_kind:     hidden_global_offset_x
      - .offset:         144
        .size:           8
        .value_kind:     hidden_global_offset_y
      - .offset:         152
        .size:           8
        .value_kind:     hidden_global_offset_z
      - .offset:         160
        .size:           2
        .value_kind:     hidden_grid_dims
      - .offset:         176
        .size:           8
        .value_kind:     hidden_hostcall_buffer
    .group_segment_fixed_size: 0
    .kernarg_segment_align: 8
    .kernarg_segment_size: 352
    .language:       OpenCL C
    .language_version:
      - 2
      - 0
    .max_flat_workgroup_size: 256
    .name:           _ZL9mul_mat_fIfLi64ELi11ELi8ELb1EEvPKT_PKfPKiPfiiiiiiiiiiiiiiii
    .private_segment_fixed_size: 16
    .sgpr_count:     36
    .sgpr_spill_count: 0
    .symbol:         _ZL9mul_mat_fIfLi64ELi11ELi8ELb1EEvPKT_PKfPKiPfiiiiiiiiiiiiiiii.kd
    .uniform_work_group_size: 1
    .uses_dynamic_stack: false
    .vgpr_count:     38
    .vgpr_spill_count: 0
    .wavefront_size: 32
    .workgroup_processor_mode: 1
  - .args:
      - .actual_access:  read_only
        .address_space:  global
        .offset:         0
        .size:           8
        .value_kind:     global_buffer
      - .actual_access:  read_only
        .address_space:  global
        .offset:         8
        .size:           8
        .value_kind:     global_buffer
      - .actual_access:  read_only
        .address_space:  global
        .offset:         16
        .size:           8
        .value_kind:     global_buffer
      - .actual_access:  read_only
        .address_space:  global
        .offset:         24
        .size:           8
        .value_kind:     global_buffer
      - .offset:         32
        .size:           4
        .value_kind:     by_value
      - .offset:         36
        .size:           4
        .value_kind:     by_value
      - .offset:         40
        .size:           4
        .value_kind:     by_value
      - .offset:         44
        .size:           4
        .value_kind:     by_value
      - .offset:         48
        .size:           4
        .value_kind:     by_value
      - .offset:         52
        .size:           4
        .value_kind:     by_value
      - .offset:         56
        .size:           4
        .value_kind:     by_value
      - .offset:         60
        .size:           4
        .value_kind:     by_value
      - .offset:         64
        .size:           4
        .value_kind:     by_value
      - .offset:         68
        .size:           4
        .value_kind:     by_value
      - .offset:         72
        .size:           4
        .value_kind:     by_value
      - .offset:         76
        .size:           4
        .value_kind:     by_value
      - .offset:         80
        .size:           4
        .value_kind:     by_value
      - .offset:         84
        .size:           4
        .value_kind:     by_value
      - .offset:         88
        .size:           4
        .value_kind:     by_value
      - .offset:         92
        .size:           4
        .value_kind:     by_value
      - .offset:         96
        .size:           4
        .value_kind:     hidden_block_count_x
      - .offset:         100
        .size:           4
        .value_kind:     hidden_block_count_y
      - .offset:         104
        .size:           4
        .value_kind:     hidden_block_count_z
      - .offset:         108
        .size:           2
        .value_kind:     hidden_group_size_x
      - .offset:         110
        .size:           2
        .value_kind:     hidden_group_size_y
      - .offset:         112
        .size:           2
        .value_kind:     hidden_group_size_z
      - .offset:         114
        .size:           2
        .value_kind:     hidden_remainder_x
      - .offset:         116
        .size:           2
        .value_kind:     hidden_remainder_y
      - .offset:         118
        .size:           2
        .value_kind:     hidden_remainder_z
      - .offset:         136
        .size:           8
        .value_kind:     hidden_global_offset_x
      - .offset:         144
        .size:           8
        .value_kind:     hidden_global_offset_y
      - .offset:         152
        .size:           8
        .value_kind:     hidden_global_offset_z
      - .offset:         160
        .size:           2
        .value_kind:     hidden_grid_dims
      - .offset:         176
        .size:           8
        .value_kind:     hidden_hostcall_buffer
    .group_segment_fixed_size: 0
    .kernarg_segment_align: 8
    .kernarg_segment_size: 352
    .language:       OpenCL C
    .language_version:
      - 2
      - 0
    .max_flat_workgroup_size: 256
    .name:           _ZL9mul_mat_fIfLi64ELi11ELi8ELb0EEvPKT_PKfPKiPfiiiiiiiiiiiiiiii
    .private_segment_fixed_size: 16
    .sgpr_count:     36
    .sgpr_spill_count: 0
    .symbol:         _ZL9mul_mat_fIfLi64ELi11ELi8ELb0EEvPKT_PKfPKiPfiiiiiiiiiiiiiiii.kd
    .uniform_work_group_size: 1
    .uses_dynamic_stack: false
    .vgpr_count:     38
    .vgpr_spill_count: 0
    .wavefront_size: 32
    .workgroup_processor_mode: 1
  - .args:
      - .actual_access:  read_only
        .address_space:  global
        .offset:         0
        .size:           8
        .value_kind:     global_buffer
      - .actual_access:  read_only
        .address_space:  global
        .offset:         8
        .size:           8
        .value_kind:     global_buffer
      - .actual_access:  read_only
        .address_space:  global
        .offset:         16
        .size:           8
        .value_kind:     global_buffer
      - .actual_access:  read_only
        .address_space:  global
        .offset:         24
        .size:           8
        .value_kind:     global_buffer
      - .actual_access:  read_only
        .address_space:  global
        .offset:         32
        .size:           8
        .value_kind:     global_buffer
      - .actual_access:  read_only
        .address_space:  global
        .offset:         40
        .size:           8
        .value_kind:     global_buffer
      - .offset:         48
        .size:           4
        .value_kind:     by_value
      - .offset:         52
        .size:           4
        .value_kind:     by_value
      - .offset:         56
        .size:           4
        .value_kind:     by_value
      - .offset:         60
        .size:           4
        .value_kind:     by_value
      - .offset:         64
        .size:           4
        .value_kind:     by_value
      - .offset:         68
        .size:           4
        .value_kind:     by_value
      - .offset:         72
        .size:           4
        .value_kind:     by_value
      - .offset:         76
        .size:           4
        .value_kind:     by_value
      - .offset:         80
        .size:           4
        .value_kind:     by_value
      - .offset:         84
        .size:           4
        .value_kind:     by_value
      - .offset:         88
        .size:           4
        .value_kind:     by_value
      - .offset:         92
        .size:           4
        .value_kind:     by_value
      - .offset:         96
        .size:           4
        .value_kind:     by_value
      - .offset:         100
        .size:           4
        .value_kind:     by_value
      - .offset:         104
        .size:           12
        .value_kind:     by_value
      - .offset:         116
        .size:           12
        .value_kind:     by_value
      - .offset:         128
        .size:           4
        .value_kind:     hidden_block_count_x
      - .offset:         132
        .size:           4
        .value_kind:     hidden_block_count_y
      - .offset:         136
        .size:           4
        .value_kind:     hidden_block_count_z
      - .offset:         140
        .size:           2
        .value_kind:     hidden_group_size_x
      - .offset:         142
        .size:           2
        .value_kind:     hidden_group_size_y
      - .offset:         144
        .size:           2
        .value_kind:     hidden_group_size_z
      - .offset:         146
        .size:           2
        .value_kind:     hidden_remainder_x
      - .offset:         148
        .size:           2
        .value_kind:     hidden_remainder_y
      - .offset:         150
        .size:           2
        .value_kind:     hidden_remainder_z
      - .offset:         168
        .size:           8
        .value_kind:     hidden_global_offset_x
      - .offset:         176
        .size:           8
        .value_kind:     hidden_global_offset_y
      - .offset:         184
        .size:           8
        .value_kind:     hidden_global_offset_z
      - .offset:         192
        .size:           2
        .value_kind:     hidden_grid_dims
      - .offset:         208
        .size:           8
        .value_kind:     hidden_hostcall_buffer
    .group_segment_fixed_size: 0
    .kernarg_segment_align: 8
    .kernarg_segment_size: 384
    .language:       OpenCL C
    .language_version:
      - 2
      - 0
    .max_flat_workgroup_size: 32
    .name:           _ZL13mul_mat_f_idsI7__half2Li64ELi11ELi1EEvPKT_PKfPKiS7_S7_Pfiiiiiiiiiiiiii15HIP_vector_typeIjLj3EESA_
    .private_segment_fixed_size: 16
    .sgpr_count:     36
    .sgpr_spill_count: 0
    .symbol:         _ZL13mul_mat_f_idsI7__half2Li64ELi11ELi1EEvPKT_PKfPKiS7_S7_Pfiiiiiiiiiiiiii15HIP_vector_typeIjLj3EESA_.kd
    .uniform_work_group_size: 1
    .uses_dynamic_stack: false
    .vgpr_count:     38
    .vgpr_spill_count: 0
    .wavefront_size: 32
    .workgroup_processor_mode: 1
  - .args:
      - .actual_access:  read_only
        .address_space:  global
        .offset:         0
        .size:           8
        .value_kind:     global_buffer
      - .actual_access:  read_only
        .address_space:  global
        .offset:         8
        .size:           8
        .value_kind:     global_buffer
      - .actual_access:  read_only
        .address_space:  global
        .offset:         16
        .size:           8
        .value_kind:     global_buffer
      - .actual_access:  read_only
        .address_space:  global
        .offset:         24
        .size:           8
        .value_kind:     global_buffer
      - .offset:         32
        .size:           4
        .value_kind:     by_value
      - .offset:         36
        .size:           4
        .value_kind:     by_value
      - .offset:         40
        .size:           4
        .value_kind:     by_value
      - .offset:         44
        .size:           4
        .value_kind:     by_value
      - .offset:         48
        .size:           4
        .value_kind:     by_value
      - .offset:         52
        .size:           4
        .value_kind:     by_value
      - .offset:         56
        .size:           4
        .value_kind:     by_value
      - .offset:         60
        .size:           4
        .value_kind:     by_value
      - .offset:         64
        .size:           4
        .value_kind:     by_value
      - .offset:         68
        .size:           4
        .value_kind:     by_value
      - .offset:         72
        .size:           4
        .value_kind:     by_value
      - .offset:         76
        .size:           4
        .value_kind:     by_value
      - .offset:         80
        .size:           4
        .value_kind:     by_value
      - .offset:         84
        .size:           4
        .value_kind:     by_value
      - .offset:         88
        .size:           4
        .value_kind:     by_value
      - .offset:         92
        .size:           4
        .value_kind:     by_value
      - .offset:         96
        .size:           4
        .value_kind:     hidden_block_count_x
      - .offset:         100
        .size:           4
        .value_kind:     hidden_block_count_y
      - .offset:         104
        .size:           4
        .value_kind:     hidden_block_count_z
      - .offset:         108
        .size:           2
        .value_kind:     hidden_group_size_x
      - .offset:         110
        .size:           2
        .value_kind:     hidden_group_size_y
      - .offset:         112
        .size:           2
        .value_kind:     hidden_group_size_z
      - .offset:         114
        .size:           2
        .value_kind:     hidden_remainder_x
      - .offset:         116
        .size:           2
        .value_kind:     hidden_remainder_y
      - .offset:         118
        .size:           2
        .value_kind:     hidden_remainder_z
      - .offset:         136
        .size:           8
        .value_kind:     hidden_global_offset_x
      - .offset:         144
        .size:           8
        .value_kind:     hidden_global_offset_y
      - .offset:         152
        .size:           8
        .value_kind:     hidden_global_offset_z
      - .offset:         160
        .size:           2
        .value_kind:     hidden_grid_dims
      - .offset:         176
        .size:           8
        .value_kind:     hidden_hostcall_buffer
    .group_segment_fixed_size: 0
    .kernarg_segment_align: 8
    .kernarg_segment_size: 352
    .language:       OpenCL C
    .language_version:
      - 2
      - 0
    .max_flat_workgroup_size: 32
    .name:           _ZL9mul_mat_fI7__half2Li64ELi11ELi1ELb1EEvPKT_PKfPKiPfiiiiiiiiiiiiiiii
    .private_segment_fixed_size: 16
    .sgpr_count:     36
    .sgpr_spill_count: 0
    .symbol:         _ZL9mul_mat_fI7__half2Li64ELi11ELi1ELb1EEvPKT_PKfPKiPfiiiiiiiiiiiiiiii.kd
    .uniform_work_group_size: 1
    .uses_dynamic_stack: false
    .vgpr_count:     38
    .vgpr_spill_count: 0
    .wavefront_size: 32
    .workgroup_processor_mode: 1
  - .args:
      - .actual_access:  read_only
        .address_space:  global
        .offset:         0
        .size:           8
        .value_kind:     global_buffer
      - .actual_access:  read_only
        .address_space:  global
        .offset:         8
        .size:           8
        .value_kind:     global_buffer
      - .actual_access:  read_only
        .address_space:  global
        .offset:         16
        .size:           8
        .value_kind:     global_buffer
      - .actual_access:  read_only
        .address_space:  global
        .offset:         24
        .size:           8
        .value_kind:     global_buffer
      - .offset:         32
        .size:           4
        .value_kind:     by_value
      - .offset:         36
        .size:           4
        .value_kind:     by_value
      - .offset:         40
        .size:           4
        .value_kind:     by_value
      - .offset:         44
        .size:           4
        .value_kind:     by_value
      - .offset:         48
        .size:           4
        .value_kind:     by_value
      - .offset:         52
        .size:           4
        .value_kind:     by_value
      - .offset:         56
        .size:           4
        .value_kind:     by_value
      - .offset:         60
        .size:           4
        .value_kind:     by_value
      - .offset:         64
        .size:           4
        .value_kind:     by_value
      - .offset:         68
        .size:           4
        .value_kind:     by_value
      - .offset:         72
        .size:           4
        .value_kind:     by_value
      - .offset:         76
        .size:           4
        .value_kind:     by_value
      - .offset:         80
        .size:           4
        .value_kind:     by_value
      - .offset:         84
        .size:           4
        .value_kind:     by_value
      - .offset:         88
        .size:           4
        .value_kind:     by_value
      - .offset:         92
        .size:           4
        .value_kind:     by_value
      - .offset:         96
        .size:           4
        .value_kind:     hidden_block_count_x
      - .offset:         100
        .size:           4
        .value_kind:     hidden_block_count_y
      - .offset:         104
        .size:           4
        .value_kind:     hidden_block_count_z
      - .offset:         108
        .size:           2
        .value_kind:     hidden_group_size_x
      - .offset:         110
        .size:           2
        .value_kind:     hidden_group_size_y
      - .offset:         112
        .size:           2
        .value_kind:     hidden_group_size_z
      - .offset:         114
        .size:           2
        .value_kind:     hidden_remainder_x
      - .offset:         116
        .size:           2
        .value_kind:     hidden_remainder_y
      - .offset:         118
        .size:           2
        .value_kind:     hidden_remainder_z
      - .offset:         136
        .size:           8
        .value_kind:     hidden_global_offset_x
      - .offset:         144
        .size:           8
        .value_kind:     hidden_global_offset_y
      - .offset:         152
        .size:           8
        .value_kind:     hidden_global_offset_z
      - .offset:         160
        .size:           2
        .value_kind:     hidden_grid_dims
      - .offset:         176
        .size:           8
        .value_kind:     hidden_hostcall_buffer
    .group_segment_fixed_size: 0
    .kernarg_segment_align: 8
    .kernarg_segment_size: 352
    .language:       OpenCL C
    .language_version:
      - 2
      - 0
    .max_flat_workgroup_size: 32
    .name:           _ZL9mul_mat_fI7__half2Li64ELi11ELi1ELb0EEvPKT_PKfPKiPfiiiiiiiiiiiiiiii
    .private_segment_fixed_size: 16
    .sgpr_count:     36
    .sgpr_spill_count: 0
    .symbol:         _ZL9mul_mat_fI7__half2Li64ELi11ELi1ELb0EEvPKT_PKfPKiPfiiiiiiiiiiiiiiii.kd
    .uniform_work_group_size: 1
    .uses_dynamic_stack: false
    .vgpr_count:     38
    .vgpr_spill_count: 0
    .wavefront_size: 32
    .workgroup_processor_mode: 1
  - .args:
      - .actual_access:  read_only
        .address_space:  global
        .offset:         0
        .size:           8
        .value_kind:     global_buffer
      - .actual_access:  read_only
        .address_space:  global
        .offset:         8
        .size:           8
        .value_kind:     global_buffer
      - .actual_access:  read_only
        .address_space:  global
        .offset:         16
        .size:           8
        .value_kind:     global_buffer
      - .actual_access:  read_only
        .address_space:  global
        .offset:         24
        .size:           8
        .value_kind:     global_buffer
      - .actual_access:  read_only
        .address_space:  global
        .offset:         32
        .size:           8
        .value_kind:     global_buffer
      - .actual_access:  read_only
        .address_space:  global
        .offset:         40
        .size:           8
        .value_kind:     global_buffer
      - .offset:         48
        .size:           4
        .value_kind:     by_value
      - .offset:         52
        .size:           4
        .value_kind:     by_value
      - .offset:         56
        .size:           4
        .value_kind:     by_value
      - .offset:         60
        .size:           4
        .value_kind:     by_value
      - .offset:         64
        .size:           4
        .value_kind:     by_value
      - .offset:         68
        .size:           4
        .value_kind:     by_value
      - .offset:         72
        .size:           4
        .value_kind:     by_value
      - .offset:         76
        .size:           4
        .value_kind:     by_value
      - .offset:         80
        .size:           4
        .value_kind:     by_value
      - .offset:         84
        .size:           4
        .value_kind:     by_value
      - .offset:         88
        .size:           4
        .value_kind:     by_value
      - .offset:         92
        .size:           4
        .value_kind:     by_value
      - .offset:         96
        .size:           4
        .value_kind:     by_value
      - .offset:         100
        .size:           4
        .value_kind:     by_value
      - .offset:         104
        .size:           12
        .value_kind:     by_value
      - .offset:         116
        .size:           12
        .value_kind:     by_value
      - .offset:         128
        .size:           4
        .value_kind:     hidden_block_count_x
      - .offset:         132
        .size:           4
        .value_kind:     hidden_block_count_y
      - .offset:         136
        .size:           4
        .value_kind:     hidden_block_count_z
      - .offset:         140
        .size:           2
        .value_kind:     hidden_group_size_x
      - .offset:         142
        .size:           2
        .value_kind:     hidden_group_size_y
      - .offset:         144
        .size:           2
        .value_kind:     hidden_group_size_z
      - .offset:         146
        .size:           2
        .value_kind:     hidden_remainder_x
      - .offset:         148
        .size:           2
        .value_kind:     hidden_remainder_y
      - .offset:         150
        .size:           2
        .value_kind:     hidden_remainder_z
      - .offset:         168
        .size:           8
        .value_kind:     hidden_global_offset_x
      - .offset:         176
        .size:           8
        .value_kind:     hidden_global_offset_y
      - .offset:         184
        .size:           8
        .value_kind:     hidden_global_offset_z
      - .offset:         192
        .size:           2
        .value_kind:     hidden_grid_dims
      - .offset:         208
        .size:           8
        .value_kind:     hidden_hostcall_buffer
    .group_segment_fixed_size: 0
    .kernarg_segment_align: 8
    .kernarg_segment_size: 384
    .language:       OpenCL C
    .language_version:
      - 2
      - 0
    .max_flat_workgroup_size: 64
    .name:           _ZL13mul_mat_f_idsI7__half2Li64ELi11ELi2EEvPKT_PKfPKiS7_S7_Pfiiiiiiiiiiiiii15HIP_vector_typeIjLj3EESA_
    .private_segment_fixed_size: 16
    .sgpr_count:     36
    .sgpr_spill_count: 0
    .symbol:         _ZL13mul_mat_f_idsI7__half2Li64ELi11ELi2EEvPKT_PKfPKiS7_S7_Pfiiiiiiiiiiiiii15HIP_vector_typeIjLj3EESA_.kd
    .uniform_work_group_size: 1
    .uses_dynamic_stack: false
    .vgpr_count:     38
    .vgpr_spill_count: 0
    .wavefront_size: 32
    .workgroup_processor_mode: 1
  - .args:
      - .actual_access:  read_only
        .address_space:  global
        .offset:         0
        .size:           8
        .value_kind:     global_buffer
      - .actual_access:  read_only
        .address_space:  global
        .offset:         8
        .size:           8
        .value_kind:     global_buffer
      - .actual_access:  read_only
        .address_space:  global
        .offset:         16
        .size:           8
        .value_kind:     global_buffer
      - .actual_access:  read_only
        .address_space:  global
        .offset:         24
        .size:           8
        .value_kind:     global_buffer
      - .offset:         32
        .size:           4
        .value_kind:     by_value
      - .offset:         36
        .size:           4
        .value_kind:     by_value
      - .offset:         40
        .size:           4
        .value_kind:     by_value
      - .offset:         44
        .size:           4
        .value_kind:     by_value
      - .offset:         48
        .size:           4
        .value_kind:     by_value
      - .offset:         52
        .size:           4
        .value_kind:     by_value
      - .offset:         56
        .size:           4
        .value_kind:     by_value
      - .offset:         60
        .size:           4
        .value_kind:     by_value
      - .offset:         64
        .size:           4
        .value_kind:     by_value
      - .offset:         68
        .size:           4
        .value_kind:     by_value
      - .offset:         72
        .size:           4
        .value_kind:     by_value
      - .offset:         76
        .size:           4
        .value_kind:     by_value
      - .offset:         80
        .size:           4
        .value_kind:     by_value
      - .offset:         84
        .size:           4
        .value_kind:     by_value
      - .offset:         88
        .size:           4
        .value_kind:     by_value
      - .offset:         92
        .size:           4
        .value_kind:     by_value
      - .offset:         96
        .size:           4
        .value_kind:     hidden_block_count_x
      - .offset:         100
        .size:           4
        .value_kind:     hidden_block_count_y
      - .offset:         104
        .size:           4
        .value_kind:     hidden_block_count_z
      - .offset:         108
        .size:           2
        .value_kind:     hidden_group_size_x
      - .offset:         110
        .size:           2
        .value_kind:     hidden_group_size_y
      - .offset:         112
        .size:           2
        .value_kind:     hidden_group_size_z
      - .offset:         114
        .size:           2
        .value_kind:     hidden_remainder_x
      - .offset:         116
        .size:           2
        .value_kind:     hidden_remainder_y
      - .offset:         118
        .size:           2
        .value_kind:     hidden_remainder_z
      - .offset:         136
        .size:           8
        .value_kind:     hidden_global_offset_x
      - .offset:         144
        .size:           8
        .value_kind:     hidden_global_offset_y
      - .offset:         152
        .size:           8
        .value_kind:     hidden_global_offset_z
      - .offset:         160
        .size:           2
        .value_kind:     hidden_grid_dims
      - .offset:         176
        .size:           8
        .value_kind:     hidden_hostcall_buffer
    .group_segment_fixed_size: 0
    .kernarg_segment_align: 8
    .kernarg_segment_size: 352
    .language:       OpenCL C
    .language_version:
      - 2
      - 0
    .max_flat_workgroup_size: 64
    .name:           _ZL9mul_mat_fI7__half2Li64ELi11ELi2ELb1EEvPKT_PKfPKiPfiiiiiiiiiiiiiiii
    .private_segment_fixed_size: 16
    .sgpr_count:     36
    .sgpr_spill_count: 0
    .symbol:         _ZL9mul_mat_fI7__half2Li64ELi11ELi2ELb1EEvPKT_PKfPKiPfiiiiiiiiiiiiiiii.kd
    .uniform_work_group_size: 1
    .uses_dynamic_stack: false
    .vgpr_count:     38
    .vgpr_spill_count: 0
    .wavefront_size: 32
    .workgroup_processor_mode: 1
  - .args:
      - .actual_access:  read_only
        .address_space:  global
        .offset:         0
        .size:           8
        .value_kind:     global_buffer
      - .actual_access:  read_only
        .address_space:  global
        .offset:         8
        .size:           8
        .value_kind:     global_buffer
      - .actual_access:  read_only
        .address_space:  global
        .offset:         16
        .size:           8
        .value_kind:     global_buffer
      - .actual_access:  read_only
        .address_space:  global
        .offset:         24
        .size:           8
        .value_kind:     global_buffer
      - .offset:         32
        .size:           4
        .value_kind:     by_value
      - .offset:         36
        .size:           4
        .value_kind:     by_value
      - .offset:         40
        .size:           4
        .value_kind:     by_value
      - .offset:         44
        .size:           4
        .value_kind:     by_value
      - .offset:         48
        .size:           4
        .value_kind:     by_value
      - .offset:         52
        .size:           4
        .value_kind:     by_value
      - .offset:         56
        .size:           4
        .value_kind:     by_value
      - .offset:         60
        .size:           4
        .value_kind:     by_value
      - .offset:         64
        .size:           4
        .value_kind:     by_value
      - .offset:         68
        .size:           4
        .value_kind:     by_value
      - .offset:         72
        .size:           4
        .value_kind:     by_value
      - .offset:         76
        .size:           4
        .value_kind:     by_value
      - .offset:         80
        .size:           4
        .value_kind:     by_value
      - .offset:         84
        .size:           4
        .value_kind:     by_value
      - .offset:         88
        .size:           4
        .value_kind:     by_value
      - .offset:         92
        .size:           4
        .value_kind:     by_value
      - .offset:         96
        .size:           4
        .value_kind:     hidden_block_count_x
      - .offset:         100
        .size:           4
        .value_kind:     hidden_block_count_y
      - .offset:         104
        .size:           4
        .value_kind:     hidden_block_count_z
      - .offset:         108
        .size:           2
        .value_kind:     hidden_group_size_x
      - .offset:         110
        .size:           2
        .value_kind:     hidden_group_size_y
      - .offset:         112
        .size:           2
        .value_kind:     hidden_group_size_z
      - .offset:         114
        .size:           2
        .value_kind:     hidden_remainder_x
      - .offset:         116
        .size:           2
        .value_kind:     hidden_remainder_y
      - .offset:         118
        .size:           2
        .value_kind:     hidden_remainder_z
      - .offset:         136
        .size:           8
        .value_kind:     hidden_global_offset_x
      - .offset:         144
        .size:           8
        .value_kind:     hidden_global_offset_y
      - .offset:         152
        .size:           8
        .value_kind:     hidden_global_offset_z
      - .offset:         160
        .size:           2
        .value_kind:     hidden_grid_dims
      - .offset:         176
        .size:           8
        .value_kind:     hidden_hostcall_buffer
    .group_segment_fixed_size: 0
    .kernarg_segment_align: 8
    .kernarg_segment_size: 352
    .language:       OpenCL C
    .language_version:
      - 2
      - 0
    .max_flat_workgroup_size: 64
    .name:           _ZL9mul_mat_fI7__half2Li64ELi11ELi2ELb0EEvPKT_PKfPKiPfiiiiiiiiiiiiiiii
    .private_segment_fixed_size: 16
    .sgpr_count:     36
    .sgpr_spill_count: 0
    .symbol:         _ZL9mul_mat_fI7__half2Li64ELi11ELi2ELb0EEvPKT_PKfPKiPfiiiiiiiiiiiiiiii.kd
    .uniform_work_group_size: 1
    .uses_dynamic_stack: false
    .vgpr_count:     38
    .vgpr_spill_count: 0
    .wavefront_size: 32
    .workgroup_processor_mode: 1
  - .args:
      - .actual_access:  read_only
        .address_space:  global
        .offset:         0
        .size:           8
        .value_kind:     global_buffer
      - .actual_access:  read_only
        .address_space:  global
        .offset:         8
        .size:           8
        .value_kind:     global_buffer
      - .actual_access:  read_only
        .address_space:  global
        .offset:         16
        .size:           8
        .value_kind:     global_buffer
      - .actual_access:  read_only
        .address_space:  global
        .offset:         24
        .size:           8
        .value_kind:     global_buffer
      - .actual_access:  read_only
        .address_space:  global
        .offset:         32
        .size:           8
        .value_kind:     global_buffer
      - .actual_access:  read_only
        .address_space:  global
        .offset:         40
        .size:           8
        .value_kind:     global_buffer
      - .offset:         48
        .size:           4
        .value_kind:     by_value
      - .offset:         52
        .size:           4
        .value_kind:     by_value
      - .offset:         56
        .size:           4
        .value_kind:     by_value
      - .offset:         60
        .size:           4
        .value_kind:     by_value
      - .offset:         64
        .size:           4
        .value_kind:     by_value
      - .offset:         68
        .size:           4
        .value_kind:     by_value
      - .offset:         72
        .size:           4
        .value_kind:     by_value
      - .offset:         76
        .size:           4
        .value_kind:     by_value
      - .offset:         80
        .size:           4
        .value_kind:     by_value
      - .offset:         84
        .size:           4
        .value_kind:     by_value
      - .offset:         88
        .size:           4
        .value_kind:     by_value
      - .offset:         92
        .size:           4
        .value_kind:     by_value
      - .offset:         96
        .size:           4
        .value_kind:     by_value
      - .offset:         100
        .size:           4
        .value_kind:     by_value
      - .offset:         104
        .size:           12
        .value_kind:     by_value
      - .offset:         116
        .size:           12
        .value_kind:     by_value
      - .offset:         128
        .size:           4
        .value_kind:     hidden_block_count_x
      - .offset:         132
        .size:           4
        .value_kind:     hidden_block_count_y
      - .offset:         136
        .size:           4
        .value_kind:     hidden_block_count_z
      - .offset:         140
        .size:           2
        .value_kind:     hidden_group_size_x
      - .offset:         142
        .size:           2
        .value_kind:     hidden_group_size_y
      - .offset:         144
        .size:           2
        .value_kind:     hidden_group_size_z
      - .offset:         146
        .size:           2
        .value_kind:     hidden_remainder_x
      - .offset:         148
        .size:           2
        .value_kind:     hidden_remainder_y
      - .offset:         150
        .size:           2
        .value_kind:     hidden_remainder_z
      - .offset:         168
        .size:           8
        .value_kind:     hidden_global_offset_x
      - .offset:         176
        .size:           8
        .value_kind:     hidden_global_offset_y
      - .offset:         184
        .size:           8
        .value_kind:     hidden_global_offset_z
      - .offset:         192
        .size:           2
        .value_kind:     hidden_grid_dims
      - .offset:         208
        .size:           8
        .value_kind:     hidden_hostcall_buffer
    .group_segment_fixed_size: 0
    .kernarg_segment_align: 8
    .kernarg_segment_size: 384
    .language:       OpenCL C
    .language_version:
      - 2
      - 0
    .max_flat_workgroup_size: 96
    .name:           _ZL13mul_mat_f_idsI7__half2Li64ELi11ELi3EEvPKT_PKfPKiS7_S7_Pfiiiiiiiiiiiiii15HIP_vector_typeIjLj3EESA_
    .private_segment_fixed_size: 16
    .sgpr_count:     36
    .sgpr_spill_count: 0
    .symbol:         _ZL13mul_mat_f_idsI7__half2Li64ELi11ELi3EEvPKT_PKfPKiS7_S7_Pfiiiiiiiiiiiiii15HIP_vector_typeIjLj3EESA_.kd
    .uniform_work_group_size: 1
    .uses_dynamic_stack: false
    .vgpr_count:     38
    .vgpr_spill_count: 0
    .wavefront_size: 32
    .workgroup_processor_mode: 1
  - .args:
      - .actual_access:  read_only
        .address_space:  global
        .offset:         0
        .size:           8
        .value_kind:     global_buffer
      - .actual_access:  read_only
        .address_space:  global
        .offset:         8
        .size:           8
        .value_kind:     global_buffer
      - .actual_access:  read_only
        .address_space:  global
        .offset:         16
        .size:           8
        .value_kind:     global_buffer
      - .actual_access:  read_only
        .address_space:  global
        .offset:         24
        .size:           8
        .value_kind:     global_buffer
      - .offset:         32
        .size:           4
        .value_kind:     by_value
      - .offset:         36
        .size:           4
        .value_kind:     by_value
      - .offset:         40
        .size:           4
        .value_kind:     by_value
      - .offset:         44
        .size:           4
        .value_kind:     by_value
      - .offset:         48
        .size:           4
        .value_kind:     by_value
      - .offset:         52
        .size:           4
        .value_kind:     by_value
      - .offset:         56
        .size:           4
        .value_kind:     by_value
      - .offset:         60
        .size:           4
        .value_kind:     by_value
      - .offset:         64
        .size:           4
        .value_kind:     by_value
      - .offset:         68
        .size:           4
        .value_kind:     by_value
      - .offset:         72
        .size:           4
        .value_kind:     by_value
      - .offset:         76
        .size:           4
        .value_kind:     by_value
      - .offset:         80
        .size:           4
        .value_kind:     by_value
      - .offset:         84
        .size:           4
        .value_kind:     by_value
      - .offset:         88
        .size:           4
        .value_kind:     by_value
      - .offset:         92
        .size:           4
        .value_kind:     by_value
      - .offset:         96
        .size:           4
        .value_kind:     hidden_block_count_x
      - .offset:         100
        .size:           4
        .value_kind:     hidden_block_count_y
      - .offset:         104
        .size:           4
        .value_kind:     hidden_block_count_z
      - .offset:         108
        .size:           2
        .value_kind:     hidden_group_size_x
      - .offset:         110
        .size:           2
        .value_kind:     hidden_group_size_y
      - .offset:         112
        .size:           2
        .value_kind:     hidden_group_size_z
      - .offset:         114
        .size:           2
        .value_kind:     hidden_remainder_x
      - .offset:         116
        .size:           2
        .value_kind:     hidden_remainder_y
      - .offset:         118
        .size:           2
        .value_kind:     hidden_remainder_z
      - .offset:         136
        .size:           8
        .value_kind:     hidden_global_offset_x
      - .offset:         144
        .size:           8
        .value_kind:     hidden_global_offset_y
      - .offset:         152
        .size:           8
        .value_kind:     hidden_global_offset_z
      - .offset:         160
        .size:           2
        .value_kind:     hidden_grid_dims
      - .offset:         176
        .size:           8
        .value_kind:     hidden_hostcall_buffer
    .group_segment_fixed_size: 0
    .kernarg_segment_align: 8
    .kernarg_segment_size: 352
    .language:       OpenCL C
    .language_version:
      - 2
      - 0
    .max_flat_workgroup_size: 96
    .name:           _ZL9mul_mat_fI7__half2Li64ELi11ELi3ELb1EEvPKT_PKfPKiPfiiiiiiiiiiiiiiii
    .private_segment_fixed_size: 16
    .sgpr_count:     36
    .sgpr_spill_count: 0
    .symbol:         _ZL9mul_mat_fI7__half2Li64ELi11ELi3ELb1EEvPKT_PKfPKiPfiiiiiiiiiiiiiiii.kd
    .uniform_work_group_size: 1
    .uses_dynamic_stack: false
    .vgpr_count:     38
    .vgpr_spill_count: 0
    .wavefront_size: 32
    .workgroup_processor_mode: 1
  - .args:
      - .actual_access:  read_only
        .address_space:  global
        .offset:         0
        .size:           8
        .value_kind:     global_buffer
      - .actual_access:  read_only
        .address_space:  global
        .offset:         8
        .size:           8
        .value_kind:     global_buffer
      - .actual_access:  read_only
        .address_space:  global
        .offset:         16
        .size:           8
        .value_kind:     global_buffer
      - .actual_access:  read_only
        .address_space:  global
        .offset:         24
        .size:           8
        .value_kind:     global_buffer
      - .offset:         32
        .size:           4
        .value_kind:     by_value
      - .offset:         36
        .size:           4
        .value_kind:     by_value
      - .offset:         40
        .size:           4
        .value_kind:     by_value
      - .offset:         44
        .size:           4
        .value_kind:     by_value
      - .offset:         48
        .size:           4
        .value_kind:     by_value
      - .offset:         52
        .size:           4
        .value_kind:     by_value
      - .offset:         56
        .size:           4
        .value_kind:     by_value
      - .offset:         60
        .size:           4
        .value_kind:     by_value
      - .offset:         64
        .size:           4
        .value_kind:     by_value
      - .offset:         68
        .size:           4
        .value_kind:     by_value
      - .offset:         72
        .size:           4
        .value_kind:     by_value
      - .offset:         76
        .size:           4
        .value_kind:     by_value
      - .offset:         80
        .size:           4
        .value_kind:     by_value
      - .offset:         84
        .size:           4
        .value_kind:     by_value
      - .offset:         88
        .size:           4
        .value_kind:     by_value
      - .offset:         92
        .size:           4
        .value_kind:     by_value
      - .offset:         96
        .size:           4
        .value_kind:     hidden_block_count_x
      - .offset:         100
        .size:           4
        .value_kind:     hidden_block_count_y
      - .offset:         104
        .size:           4
        .value_kind:     hidden_block_count_z
      - .offset:         108
        .size:           2
        .value_kind:     hidden_group_size_x
      - .offset:         110
        .size:           2
        .value_kind:     hidden_group_size_y
      - .offset:         112
        .size:           2
        .value_kind:     hidden_group_size_z
      - .offset:         114
        .size:           2
        .value_kind:     hidden_remainder_x
      - .offset:         116
        .size:           2
        .value_kind:     hidden_remainder_y
      - .offset:         118
        .size:           2
        .value_kind:     hidden_remainder_z
      - .offset:         136
        .size:           8
        .value_kind:     hidden_global_offset_x
      - .offset:         144
        .size:           8
        .value_kind:     hidden_global_offset_y
      - .offset:         152
        .size:           8
        .value_kind:     hidden_global_offset_z
      - .offset:         160
        .size:           2
        .value_kind:     hidden_grid_dims
      - .offset:         176
        .size:           8
        .value_kind:     hidden_hostcall_buffer
    .group_segment_fixed_size: 0
    .kernarg_segment_align: 8
    .kernarg_segment_size: 352
    .language:       OpenCL C
    .language_version:
      - 2
      - 0
    .max_flat_workgroup_size: 96
    .name:           _ZL9mul_mat_fI7__half2Li64ELi11ELi3ELb0EEvPKT_PKfPKiPfiiiiiiiiiiiiiiii
    .private_segment_fixed_size: 16
    .sgpr_count:     36
    .sgpr_spill_count: 0
    .symbol:         _ZL9mul_mat_fI7__half2Li64ELi11ELi3ELb0EEvPKT_PKfPKiPfiiiiiiiiiiiiiiii.kd
    .uniform_work_group_size: 1
    .uses_dynamic_stack: false
    .vgpr_count:     38
    .vgpr_spill_count: 0
    .wavefront_size: 32
    .workgroup_processor_mode: 1
  - .args:
      - .actual_access:  read_only
        .address_space:  global
        .offset:         0
        .size:           8
        .value_kind:     global_buffer
      - .actual_access:  read_only
        .address_space:  global
        .offset:         8
        .size:           8
        .value_kind:     global_buffer
      - .actual_access:  read_only
        .address_space:  global
        .offset:         16
        .size:           8
        .value_kind:     global_buffer
      - .actual_access:  read_only
        .address_space:  global
        .offset:         24
        .size:           8
        .value_kind:     global_buffer
      - .actual_access:  read_only
        .address_space:  global
        .offset:         32
        .size:           8
        .value_kind:     global_buffer
      - .actual_access:  read_only
        .address_space:  global
        .offset:         40
        .size:           8
        .value_kind:     global_buffer
      - .offset:         48
        .size:           4
        .value_kind:     by_value
      - .offset:         52
        .size:           4
        .value_kind:     by_value
      - .offset:         56
        .size:           4
        .value_kind:     by_value
      - .offset:         60
        .size:           4
        .value_kind:     by_value
      - .offset:         64
        .size:           4
        .value_kind:     by_value
      - .offset:         68
        .size:           4
        .value_kind:     by_value
      - .offset:         72
        .size:           4
        .value_kind:     by_value
      - .offset:         76
        .size:           4
        .value_kind:     by_value
      - .offset:         80
        .size:           4
        .value_kind:     by_value
      - .offset:         84
        .size:           4
        .value_kind:     by_value
      - .offset:         88
        .size:           4
        .value_kind:     by_value
      - .offset:         92
        .size:           4
        .value_kind:     by_value
      - .offset:         96
        .size:           4
        .value_kind:     by_value
      - .offset:         100
        .size:           4
        .value_kind:     by_value
      - .offset:         104
        .size:           12
        .value_kind:     by_value
      - .offset:         116
        .size:           12
        .value_kind:     by_value
      - .offset:         128
        .size:           4
        .value_kind:     hidden_block_count_x
      - .offset:         132
        .size:           4
        .value_kind:     hidden_block_count_y
      - .offset:         136
        .size:           4
        .value_kind:     hidden_block_count_z
      - .offset:         140
        .size:           2
        .value_kind:     hidden_group_size_x
      - .offset:         142
        .size:           2
        .value_kind:     hidden_group_size_y
      - .offset:         144
        .size:           2
        .value_kind:     hidden_group_size_z
      - .offset:         146
        .size:           2
        .value_kind:     hidden_remainder_x
      - .offset:         148
        .size:           2
        .value_kind:     hidden_remainder_y
      - .offset:         150
        .size:           2
        .value_kind:     hidden_remainder_z
      - .offset:         168
        .size:           8
        .value_kind:     hidden_global_offset_x
      - .offset:         176
        .size:           8
        .value_kind:     hidden_global_offset_y
      - .offset:         184
        .size:           8
        .value_kind:     hidden_global_offset_z
      - .offset:         192
        .size:           2
        .value_kind:     hidden_grid_dims
      - .offset:         208
        .size:           8
        .value_kind:     hidden_hostcall_buffer
    .group_segment_fixed_size: 0
    .kernarg_segment_align: 8
    .kernarg_segment_size: 384
    .language:       OpenCL C
    .language_version:
      - 2
      - 0
    .max_flat_workgroup_size: 128
    .name:           _ZL13mul_mat_f_idsI7__half2Li64ELi11ELi4EEvPKT_PKfPKiS7_S7_Pfiiiiiiiiiiiiii15HIP_vector_typeIjLj3EESA_
    .private_segment_fixed_size: 16
    .sgpr_count:     36
    .sgpr_spill_count: 0
    .symbol:         _ZL13mul_mat_f_idsI7__half2Li64ELi11ELi4EEvPKT_PKfPKiS7_S7_Pfiiiiiiiiiiiiii15HIP_vector_typeIjLj3EESA_.kd
    .uniform_work_group_size: 1
    .uses_dynamic_stack: false
    .vgpr_count:     38
    .vgpr_spill_count: 0
    .wavefront_size: 32
    .workgroup_processor_mode: 1
  - .args:
      - .actual_access:  read_only
        .address_space:  global
        .offset:         0
        .size:           8
        .value_kind:     global_buffer
      - .actual_access:  read_only
        .address_space:  global
        .offset:         8
        .size:           8
        .value_kind:     global_buffer
      - .actual_access:  read_only
        .address_space:  global
        .offset:         16
        .size:           8
        .value_kind:     global_buffer
      - .actual_access:  read_only
        .address_space:  global
        .offset:         24
        .size:           8
        .value_kind:     global_buffer
      - .offset:         32
        .size:           4
        .value_kind:     by_value
      - .offset:         36
        .size:           4
        .value_kind:     by_value
      - .offset:         40
        .size:           4
        .value_kind:     by_value
      - .offset:         44
        .size:           4
        .value_kind:     by_value
      - .offset:         48
        .size:           4
        .value_kind:     by_value
      - .offset:         52
        .size:           4
        .value_kind:     by_value
      - .offset:         56
        .size:           4
        .value_kind:     by_value
      - .offset:         60
        .size:           4
        .value_kind:     by_value
      - .offset:         64
        .size:           4
        .value_kind:     by_value
      - .offset:         68
        .size:           4
        .value_kind:     by_value
      - .offset:         72
        .size:           4
        .value_kind:     by_value
      - .offset:         76
        .size:           4
        .value_kind:     by_value
      - .offset:         80
        .size:           4
        .value_kind:     by_value
      - .offset:         84
        .size:           4
        .value_kind:     by_value
      - .offset:         88
        .size:           4
        .value_kind:     by_value
      - .offset:         92
        .size:           4
        .value_kind:     by_value
      - .offset:         96
        .size:           4
        .value_kind:     hidden_block_count_x
      - .offset:         100
        .size:           4
        .value_kind:     hidden_block_count_y
      - .offset:         104
        .size:           4
        .value_kind:     hidden_block_count_z
      - .offset:         108
        .size:           2
        .value_kind:     hidden_group_size_x
      - .offset:         110
        .size:           2
        .value_kind:     hidden_group_size_y
      - .offset:         112
        .size:           2
        .value_kind:     hidden_group_size_z
      - .offset:         114
        .size:           2
        .value_kind:     hidden_remainder_x
      - .offset:         116
        .size:           2
        .value_kind:     hidden_remainder_y
      - .offset:         118
        .size:           2
        .value_kind:     hidden_remainder_z
      - .offset:         136
        .size:           8
        .value_kind:     hidden_global_offset_x
      - .offset:         144
        .size:           8
        .value_kind:     hidden_global_offset_y
      - .offset:         152
        .size:           8
        .value_kind:     hidden_global_offset_z
      - .offset:         160
        .size:           2
        .value_kind:     hidden_grid_dims
      - .offset:         176
        .size:           8
        .value_kind:     hidden_hostcall_buffer
    .group_segment_fixed_size: 0
    .kernarg_segment_align: 8
    .kernarg_segment_size: 352
    .language:       OpenCL C
    .language_version:
      - 2
      - 0
    .max_flat_workgroup_size: 128
    .name:           _ZL9mul_mat_fI7__half2Li64ELi11ELi4ELb1EEvPKT_PKfPKiPfiiiiiiiiiiiiiiii
    .private_segment_fixed_size: 16
    .sgpr_count:     36
    .sgpr_spill_count: 0
    .symbol:         _ZL9mul_mat_fI7__half2Li64ELi11ELi4ELb1EEvPKT_PKfPKiPfiiiiiiiiiiiiiiii.kd
    .uniform_work_group_size: 1
    .uses_dynamic_stack: false
    .vgpr_count:     38
    .vgpr_spill_count: 0
    .wavefront_size: 32
    .workgroup_processor_mode: 1
  - .args:
      - .actual_access:  read_only
        .address_space:  global
        .offset:         0
        .size:           8
        .value_kind:     global_buffer
      - .actual_access:  read_only
        .address_space:  global
        .offset:         8
        .size:           8
        .value_kind:     global_buffer
      - .actual_access:  read_only
        .address_space:  global
        .offset:         16
        .size:           8
        .value_kind:     global_buffer
      - .actual_access:  read_only
        .address_space:  global
        .offset:         24
        .size:           8
        .value_kind:     global_buffer
      - .offset:         32
        .size:           4
        .value_kind:     by_value
      - .offset:         36
        .size:           4
        .value_kind:     by_value
      - .offset:         40
        .size:           4
        .value_kind:     by_value
      - .offset:         44
        .size:           4
        .value_kind:     by_value
      - .offset:         48
        .size:           4
        .value_kind:     by_value
      - .offset:         52
        .size:           4
        .value_kind:     by_value
      - .offset:         56
        .size:           4
        .value_kind:     by_value
      - .offset:         60
        .size:           4
        .value_kind:     by_value
      - .offset:         64
        .size:           4
        .value_kind:     by_value
      - .offset:         68
        .size:           4
        .value_kind:     by_value
      - .offset:         72
        .size:           4
        .value_kind:     by_value
      - .offset:         76
        .size:           4
        .value_kind:     by_value
      - .offset:         80
        .size:           4
        .value_kind:     by_value
      - .offset:         84
        .size:           4
        .value_kind:     by_value
      - .offset:         88
        .size:           4
        .value_kind:     by_value
      - .offset:         92
        .size:           4
        .value_kind:     by_value
      - .offset:         96
        .size:           4
        .value_kind:     hidden_block_count_x
      - .offset:         100
        .size:           4
        .value_kind:     hidden_block_count_y
      - .offset:         104
        .size:           4
        .value_kind:     hidden_block_count_z
      - .offset:         108
        .size:           2
        .value_kind:     hidden_group_size_x
      - .offset:         110
        .size:           2
        .value_kind:     hidden_group_size_y
      - .offset:         112
        .size:           2
        .value_kind:     hidden_group_size_z
      - .offset:         114
        .size:           2
        .value_kind:     hidden_remainder_x
      - .offset:         116
        .size:           2
        .value_kind:     hidden_remainder_y
      - .offset:         118
        .size:           2
        .value_kind:     hidden_remainder_z
      - .offset:         136
        .size:           8
        .value_kind:     hidden_global_offset_x
      - .offset:         144
        .size:           8
        .value_kind:     hidden_global_offset_y
      - .offset:         152
        .size:           8
        .value_kind:     hidden_global_offset_z
      - .offset:         160
        .size:           2
        .value_kind:     hidden_grid_dims
      - .offset:         176
        .size:           8
        .value_kind:     hidden_hostcall_buffer
    .group_segment_fixed_size: 0
    .kernarg_segment_align: 8
    .kernarg_segment_size: 352
    .language:       OpenCL C
    .language_version:
      - 2
      - 0
    .max_flat_workgroup_size: 128
    .name:           _ZL9mul_mat_fI7__half2Li64ELi11ELi4ELb0EEvPKT_PKfPKiPfiiiiiiiiiiiiiiii
    .private_segment_fixed_size: 16
    .sgpr_count:     36
    .sgpr_spill_count: 0
    .symbol:         _ZL9mul_mat_fI7__half2Li64ELi11ELi4ELb0EEvPKT_PKfPKiPfiiiiiiiiiiiiiiii.kd
    .uniform_work_group_size: 1
    .uses_dynamic_stack: false
    .vgpr_count:     38
    .vgpr_spill_count: 0
    .wavefront_size: 32
    .workgroup_processor_mode: 1
  - .args:
      - .actual_access:  read_only
        .address_space:  global
        .offset:         0
        .size:           8
        .value_kind:     global_buffer
      - .actual_access:  read_only
        .address_space:  global
        .offset:         8
        .size:           8
        .value_kind:     global_buffer
      - .actual_access:  read_only
        .address_space:  global
        .offset:         16
        .size:           8
        .value_kind:     global_buffer
      - .actual_access:  read_only
        .address_space:  global
        .offset:         24
        .size:           8
        .value_kind:     global_buffer
      - .actual_access:  read_only
        .address_space:  global
        .offset:         32
        .size:           8
        .value_kind:     global_buffer
      - .actual_access:  read_only
        .address_space:  global
        .offset:         40
        .size:           8
        .value_kind:     global_buffer
      - .offset:         48
        .size:           4
        .value_kind:     by_value
      - .offset:         52
        .size:           4
        .value_kind:     by_value
      - .offset:         56
        .size:           4
        .value_kind:     by_value
      - .offset:         60
        .size:           4
        .value_kind:     by_value
      - .offset:         64
        .size:           4
        .value_kind:     by_value
      - .offset:         68
        .size:           4
        .value_kind:     by_value
      - .offset:         72
        .size:           4
        .value_kind:     by_value
      - .offset:         76
        .size:           4
        .value_kind:     by_value
      - .offset:         80
        .size:           4
        .value_kind:     by_value
      - .offset:         84
        .size:           4
        .value_kind:     by_value
      - .offset:         88
        .size:           4
        .value_kind:     by_value
      - .offset:         92
        .size:           4
        .value_kind:     by_value
      - .offset:         96
        .size:           4
        .value_kind:     by_value
      - .offset:         100
        .size:           4
        .value_kind:     by_value
      - .offset:         104
        .size:           12
        .value_kind:     by_value
      - .offset:         116
        .size:           12
        .value_kind:     by_value
      - .offset:         128
        .size:           4
        .value_kind:     hidden_block_count_x
      - .offset:         132
        .size:           4
        .value_kind:     hidden_block_count_y
      - .offset:         136
        .size:           4
        .value_kind:     hidden_block_count_z
      - .offset:         140
        .size:           2
        .value_kind:     hidden_group_size_x
      - .offset:         142
        .size:           2
        .value_kind:     hidden_group_size_y
      - .offset:         144
        .size:           2
        .value_kind:     hidden_group_size_z
      - .offset:         146
        .size:           2
        .value_kind:     hidden_remainder_x
      - .offset:         148
        .size:           2
        .value_kind:     hidden_remainder_y
      - .offset:         150
        .size:           2
        .value_kind:     hidden_remainder_z
      - .offset:         168
        .size:           8
        .value_kind:     hidden_global_offset_x
      - .offset:         176
        .size:           8
        .value_kind:     hidden_global_offset_y
      - .offset:         184
        .size:           8
        .value_kind:     hidden_global_offset_z
      - .offset:         192
        .size:           2
        .value_kind:     hidden_grid_dims
      - .offset:         208
        .size:           8
        .value_kind:     hidden_hostcall_buffer
    .group_segment_fixed_size: 0
    .kernarg_segment_align: 8
    .kernarg_segment_size: 384
    .language:       OpenCL C
    .language_version:
      - 2
      - 0
    .max_flat_workgroup_size: 160
    .name:           _ZL13mul_mat_f_idsI7__half2Li64ELi11ELi5EEvPKT_PKfPKiS7_S7_Pfiiiiiiiiiiiiii15HIP_vector_typeIjLj3EESA_
    .private_segment_fixed_size: 16
    .sgpr_count:     36
    .sgpr_spill_count: 0
    .symbol:         _ZL13mul_mat_f_idsI7__half2Li64ELi11ELi5EEvPKT_PKfPKiS7_S7_Pfiiiiiiiiiiiiii15HIP_vector_typeIjLj3EESA_.kd
    .uniform_work_group_size: 1
    .uses_dynamic_stack: false
    .vgpr_count:     38
    .vgpr_spill_count: 0
    .wavefront_size: 32
    .workgroup_processor_mode: 1
  - .args:
      - .actual_access:  read_only
        .address_space:  global
        .offset:         0
        .size:           8
        .value_kind:     global_buffer
      - .actual_access:  read_only
        .address_space:  global
        .offset:         8
        .size:           8
        .value_kind:     global_buffer
      - .actual_access:  read_only
        .address_space:  global
        .offset:         16
        .size:           8
        .value_kind:     global_buffer
      - .actual_access:  read_only
        .address_space:  global
        .offset:         24
        .size:           8
        .value_kind:     global_buffer
      - .offset:         32
        .size:           4
        .value_kind:     by_value
      - .offset:         36
        .size:           4
        .value_kind:     by_value
      - .offset:         40
        .size:           4
        .value_kind:     by_value
      - .offset:         44
        .size:           4
        .value_kind:     by_value
      - .offset:         48
        .size:           4
        .value_kind:     by_value
      - .offset:         52
        .size:           4
        .value_kind:     by_value
      - .offset:         56
        .size:           4
        .value_kind:     by_value
      - .offset:         60
        .size:           4
        .value_kind:     by_value
      - .offset:         64
        .size:           4
        .value_kind:     by_value
      - .offset:         68
        .size:           4
        .value_kind:     by_value
      - .offset:         72
        .size:           4
        .value_kind:     by_value
      - .offset:         76
        .size:           4
        .value_kind:     by_value
      - .offset:         80
        .size:           4
        .value_kind:     by_value
      - .offset:         84
        .size:           4
        .value_kind:     by_value
      - .offset:         88
        .size:           4
        .value_kind:     by_value
      - .offset:         92
        .size:           4
        .value_kind:     by_value
      - .offset:         96
        .size:           4
        .value_kind:     hidden_block_count_x
      - .offset:         100
        .size:           4
        .value_kind:     hidden_block_count_y
      - .offset:         104
        .size:           4
        .value_kind:     hidden_block_count_z
      - .offset:         108
        .size:           2
        .value_kind:     hidden_group_size_x
      - .offset:         110
        .size:           2
        .value_kind:     hidden_group_size_y
      - .offset:         112
        .size:           2
        .value_kind:     hidden_group_size_z
      - .offset:         114
        .size:           2
        .value_kind:     hidden_remainder_x
      - .offset:         116
        .size:           2
        .value_kind:     hidden_remainder_y
      - .offset:         118
        .size:           2
        .value_kind:     hidden_remainder_z
      - .offset:         136
        .size:           8
        .value_kind:     hidden_global_offset_x
      - .offset:         144
        .size:           8
        .value_kind:     hidden_global_offset_y
      - .offset:         152
        .size:           8
        .value_kind:     hidden_global_offset_z
      - .offset:         160
        .size:           2
        .value_kind:     hidden_grid_dims
      - .offset:         176
        .size:           8
        .value_kind:     hidden_hostcall_buffer
    .group_segment_fixed_size: 0
    .kernarg_segment_align: 8
    .kernarg_segment_size: 352
    .language:       OpenCL C
    .language_version:
      - 2
      - 0
    .max_flat_workgroup_size: 160
    .name:           _ZL9mul_mat_fI7__half2Li64ELi11ELi5ELb1EEvPKT_PKfPKiPfiiiiiiiiiiiiiiii
    .private_segment_fixed_size: 16
    .sgpr_count:     36
    .sgpr_spill_count: 0
    .symbol:         _ZL9mul_mat_fI7__half2Li64ELi11ELi5ELb1EEvPKT_PKfPKiPfiiiiiiiiiiiiiiii.kd
    .uniform_work_group_size: 1
    .uses_dynamic_stack: false
    .vgpr_count:     38
    .vgpr_spill_count: 0
    .wavefront_size: 32
    .workgroup_processor_mode: 1
  - .args:
      - .actual_access:  read_only
        .address_space:  global
        .offset:         0
        .size:           8
        .value_kind:     global_buffer
      - .actual_access:  read_only
        .address_space:  global
        .offset:         8
        .size:           8
        .value_kind:     global_buffer
      - .actual_access:  read_only
        .address_space:  global
        .offset:         16
        .size:           8
        .value_kind:     global_buffer
      - .actual_access:  read_only
        .address_space:  global
        .offset:         24
        .size:           8
        .value_kind:     global_buffer
      - .offset:         32
        .size:           4
        .value_kind:     by_value
      - .offset:         36
        .size:           4
        .value_kind:     by_value
      - .offset:         40
        .size:           4
        .value_kind:     by_value
      - .offset:         44
        .size:           4
        .value_kind:     by_value
      - .offset:         48
        .size:           4
        .value_kind:     by_value
      - .offset:         52
        .size:           4
        .value_kind:     by_value
      - .offset:         56
        .size:           4
        .value_kind:     by_value
      - .offset:         60
        .size:           4
        .value_kind:     by_value
      - .offset:         64
        .size:           4
        .value_kind:     by_value
      - .offset:         68
        .size:           4
        .value_kind:     by_value
      - .offset:         72
        .size:           4
        .value_kind:     by_value
      - .offset:         76
        .size:           4
        .value_kind:     by_value
      - .offset:         80
        .size:           4
        .value_kind:     by_value
      - .offset:         84
        .size:           4
        .value_kind:     by_value
      - .offset:         88
        .size:           4
        .value_kind:     by_value
      - .offset:         92
        .size:           4
        .value_kind:     by_value
      - .offset:         96
        .size:           4
        .value_kind:     hidden_block_count_x
      - .offset:         100
        .size:           4
        .value_kind:     hidden_block_count_y
      - .offset:         104
        .size:           4
        .value_kind:     hidden_block_count_z
      - .offset:         108
        .size:           2
        .value_kind:     hidden_group_size_x
      - .offset:         110
        .size:           2
        .value_kind:     hidden_group_size_y
      - .offset:         112
        .size:           2
        .value_kind:     hidden_group_size_z
      - .offset:         114
        .size:           2
        .value_kind:     hidden_remainder_x
      - .offset:         116
        .size:           2
        .value_kind:     hidden_remainder_y
      - .offset:         118
        .size:           2
        .value_kind:     hidden_remainder_z
      - .offset:         136
        .size:           8
        .value_kind:     hidden_global_offset_x
      - .offset:         144
        .size:           8
        .value_kind:     hidden_global_offset_y
      - .offset:         152
        .size:           8
        .value_kind:     hidden_global_offset_z
      - .offset:         160
        .size:           2
        .value_kind:     hidden_grid_dims
      - .offset:         176
        .size:           8
        .value_kind:     hidden_hostcall_buffer
    .group_segment_fixed_size: 0
    .kernarg_segment_align: 8
    .kernarg_segment_size: 352
    .language:       OpenCL C
    .language_version:
      - 2
      - 0
    .max_flat_workgroup_size: 160
    .name:           _ZL9mul_mat_fI7__half2Li64ELi11ELi5ELb0EEvPKT_PKfPKiPfiiiiiiiiiiiiiiii
    .private_segment_fixed_size: 16
    .sgpr_count:     36
    .sgpr_spill_count: 0
    .symbol:         _ZL9mul_mat_fI7__half2Li64ELi11ELi5ELb0EEvPKT_PKfPKiPfiiiiiiiiiiiiiiii.kd
    .uniform_work_group_size: 1
    .uses_dynamic_stack: false
    .vgpr_count:     38
    .vgpr_spill_count: 0
    .wavefront_size: 32
    .workgroup_processor_mode: 1
  - .args:
      - .actual_access:  read_only
        .address_space:  global
        .offset:         0
        .size:           8
        .value_kind:     global_buffer
      - .actual_access:  read_only
        .address_space:  global
        .offset:         8
        .size:           8
        .value_kind:     global_buffer
      - .actual_access:  read_only
        .address_space:  global
        .offset:         16
        .size:           8
        .value_kind:     global_buffer
      - .actual_access:  read_only
        .address_space:  global
        .offset:         24
        .size:           8
        .value_kind:     global_buffer
      - .actual_access:  read_only
        .address_space:  global
        .offset:         32
        .size:           8
        .value_kind:     global_buffer
      - .actual_access:  read_only
        .address_space:  global
        .offset:         40
        .size:           8
        .value_kind:     global_buffer
      - .offset:         48
        .size:           4
        .value_kind:     by_value
      - .offset:         52
        .size:           4
        .value_kind:     by_value
      - .offset:         56
        .size:           4
        .value_kind:     by_value
      - .offset:         60
        .size:           4
        .value_kind:     by_value
      - .offset:         64
        .size:           4
        .value_kind:     by_value
      - .offset:         68
        .size:           4
        .value_kind:     by_value
      - .offset:         72
        .size:           4
        .value_kind:     by_value
      - .offset:         76
        .size:           4
        .value_kind:     by_value
      - .offset:         80
        .size:           4
        .value_kind:     by_value
      - .offset:         84
        .size:           4
        .value_kind:     by_value
      - .offset:         88
        .size:           4
        .value_kind:     by_value
      - .offset:         92
        .size:           4
        .value_kind:     by_value
      - .offset:         96
        .size:           4
        .value_kind:     by_value
      - .offset:         100
        .size:           4
        .value_kind:     by_value
      - .offset:         104
        .size:           12
        .value_kind:     by_value
      - .offset:         116
        .size:           12
        .value_kind:     by_value
      - .offset:         128
        .size:           4
        .value_kind:     hidden_block_count_x
      - .offset:         132
        .size:           4
        .value_kind:     hidden_block_count_y
      - .offset:         136
        .size:           4
        .value_kind:     hidden_block_count_z
      - .offset:         140
        .size:           2
        .value_kind:     hidden_group_size_x
      - .offset:         142
        .size:           2
        .value_kind:     hidden_group_size_y
      - .offset:         144
        .size:           2
        .value_kind:     hidden_group_size_z
      - .offset:         146
        .size:           2
        .value_kind:     hidden_remainder_x
      - .offset:         148
        .size:           2
        .value_kind:     hidden_remainder_y
      - .offset:         150
        .size:           2
        .value_kind:     hidden_remainder_z
      - .offset:         168
        .size:           8
        .value_kind:     hidden_global_offset_x
      - .offset:         176
        .size:           8
        .value_kind:     hidden_global_offset_y
      - .offset:         184
        .size:           8
        .value_kind:     hidden_global_offset_z
      - .offset:         192
        .size:           2
        .value_kind:     hidden_grid_dims
      - .offset:         208
        .size:           8
        .value_kind:     hidden_hostcall_buffer
    .group_segment_fixed_size: 0
    .kernarg_segment_align: 8
    .kernarg_segment_size: 384
    .language:       OpenCL C
    .language_version:
      - 2
      - 0
    .max_flat_workgroup_size: 192
    .name:           _ZL13mul_mat_f_idsI7__half2Li64ELi11ELi6EEvPKT_PKfPKiS7_S7_Pfiiiiiiiiiiiiii15HIP_vector_typeIjLj3EESA_
    .private_segment_fixed_size: 16
    .sgpr_count:     36
    .sgpr_spill_count: 0
    .symbol:         _ZL13mul_mat_f_idsI7__half2Li64ELi11ELi6EEvPKT_PKfPKiS7_S7_Pfiiiiiiiiiiiiii15HIP_vector_typeIjLj3EESA_.kd
    .uniform_work_group_size: 1
    .uses_dynamic_stack: false
    .vgpr_count:     38
    .vgpr_spill_count: 0
    .wavefront_size: 32
    .workgroup_processor_mode: 1
  - .args:
      - .actual_access:  read_only
        .address_space:  global
        .offset:         0
        .size:           8
        .value_kind:     global_buffer
      - .actual_access:  read_only
        .address_space:  global
        .offset:         8
        .size:           8
        .value_kind:     global_buffer
      - .actual_access:  read_only
        .address_space:  global
        .offset:         16
        .size:           8
        .value_kind:     global_buffer
      - .actual_access:  read_only
        .address_space:  global
        .offset:         24
        .size:           8
        .value_kind:     global_buffer
      - .offset:         32
        .size:           4
        .value_kind:     by_value
      - .offset:         36
        .size:           4
        .value_kind:     by_value
      - .offset:         40
        .size:           4
        .value_kind:     by_value
      - .offset:         44
        .size:           4
        .value_kind:     by_value
      - .offset:         48
        .size:           4
        .value_kind:     by_value
      - .offset:         52
        .size:           4
        .value_kind:     by_value
      - .offset:         56
        .size:           4
        .value_kind:     by_value
      - .offset:         60
        .size:           4
        .value_kind:     by_value
      - .offset:         64
        .size:           4
        .value_kind:     by_value
      - .offset:         68
        .size:           4
        .value_kind:     by_value
      - .offset:         72
        .size:           4
        .value_kind:     by_value
      - .offset:         76
        .size:           4
        .value_kind:     by_value
      - .offset:         80
        .size:           4
        .value_kind:     by_value
      - .offset:         84
        .size:           4
        .value_kind:     by_value
      - .offset:         88
        .size:           4
        .value_kind:     by_value
      - .offset:         92
        .size:           4
        .value_kind:     by_value
      - .offset:         96
        .size:           4
        .value_kind:     hidden_block_count_x
      - .offset:         100
        .size:           4
        .value_kind:     hidden_block_count_y
      - .offset:         104
        .size:           4
        .value_kind:     hidden_block_count_z
      - .offset:         108
        .size:           2
        .value_kind:     hidden_group_size_x
      - .offset:         110
        .size:           2
        .value_kind:     hidden_group_size_y
      - .offset:         112
        .size:           2
        .value_kind:     hidden_group_size_z
      - .offset:         114
        .size:           2
        .value_kind:     hidden_remainder_x
      - .offset:         116
        .size:           2
        .value_kind:     hidden_remainder_y
      - .offset:         118
        .size:           2
        .value_kind:     hidden_remainder_z
      - .offset:         136
        .size:           8
        .value_kind:     hidden_global_offset_x
      - .offset:         144
        .size:           8
        .value_kind:     hidden_global_offset_y
      - .offset:         152
        .size:           8
        .value_kind:     hidden_global_offset_z
      - .offset:         160
        .size:           2
        .value_kind:     hidden_grid_dims
      - .offset:         176
        .size:           8
        .value_kind:     hidden_hostcall_buffer
    .group_segment_fixed_size: 0
    .kernarg_segment_align: 8
    .kernarg_segment_size: 352
    .language:       OpenCL C
    .language_version:
      - 2
      - 0
    .max_flat_workgroup_size: 192
    .name:           _ZL9mul_mat_fI7__half2Li64ELi11ELi6ELb1EEvPKT_PKfPKiPfiiiiiiiiiiiiiiii
    .private_segment_fixed_size: 16
    .sgpr_count:     36
    .sgpr_spill_count: 0
    .symbol:         _ZL9mul_mat_fI7__half2Li64ELi11ELi6ELb1EEvPKT_PKfPKiPfiiiiiiiiiiiiiiii.kd
    .uniform_work_group_size: 1
    .uses_dynamic_stack: false
    .vgpr_count:     38
    .vgpr_spill_count: 0
    .wavefront_size: 32
    .workgroup_processor_mode: 1
  - .args:
      - .actual_access:  read_only
        .address_space:  global
        .offset:         0
        .size:           8
        .value_kind:     global_buffer
      - .actual_access:  read_only
        .address_space:  global
        .offset:         8
        .size:           8
        .value_kind:     global_buffer
      - .actual_access:  read_only
        .address_space:  global
        .offset:         16
        .size:           8
        .value_kind:     global_buffer
      - .actual_access:  read_only
        .address_space:  global
        .offset:         24
        .size:           8
        .value_kind:     global_buffer
      - .offset:         32
        .size:           4
        .value_kind:     by_value
      - .offset:         36
        .size:           4
        .value_kind:     by_value
      - .offset:         40
        .size:           4
        .value_kind:     by_value
      - .offset:         44
        .size:           4
        .value_kind:     by_value
      - .offset:         48
        .size:           4
        .value_kind:     by_value
      - .offset:         52
        .size:           4
        .value_kind:     by_value
      - .offset:         56
        .size:           4
        .value_kind:     by_value
      - .offset:         60
        .size:           4
        .value_kind:     by_value
      - .offset:         64
        .size:           4
        .value_kind:     by_value
      - .offset:         68
        .size:           4
        .value_kind:     by_value
      - .offset:         72
        .size:           4
        .value_kind:     by_value
      - .offset:         76
        .size:           4
        .value_kind:     by_value
      - .offset:         80
        .size:           4
        .value_kind:     by_value
      - .offset:         84
        .size:           4
        .value_kind:     by_value
      - .offset:         88
        .size:           4
        .value_kind:     by_value
      - .offset:         92
        .size:           4
        .value_kind:     by_value
      - .offset:         96
        .size:           4
        .value_kind:     hidden_block_count_x
      - .offset:         100
        .size:           4
        .value_kind:     hidden_block_count_y
      - .offset:         104
        .size:           4
        .value_kind:     hidden_block_count_z
      - .offset:         108
        .size:           2
        .value_kind:     hidden_group_size_x
      - .offset:         110
        .size:           2
        .value_kind:     hidden_group_size_y
      - .offset:         112
        .size:           2
        .value_kind:     hidden_group_size_z
      - .offset:         114
        .size:           2
        .value_kind:     hidden_remainder_x
      - .offset:         116
        .size:           2
        .value_kind:     hidden_remainder_y
      - .offset:         118
        .size:           2
        .value_kind:     hidden_remainder_z
      - .offset:         136
        .size:           8
        .value_kind:     hidden_global_offset_x
      - .offset:         144
        .size:           8
        .value_kind:     hidden_global_offset_y
      - .offset:         152
        .size:           8
        .value_kind:     hidden_global_offset_z
      - .offset:         160
        .size:           2
        .value_kind:     hidden_grid_dims
      - .offset:         176
        .size:           8
        .value_kind:     hidden_hostcall_buffer
    .group_segment_fixed_size: 0
    .kernarg_segment_align: 8
    .kernarg_segment_size: 352
    .language:       OpenCL C
    .language_version:
      - 2
      - 0
    .max_flat_workgroup_size: 192
    .name:           _ZL9mul_mat_fI7__half2Li64ELi11ELi6ELb0EEvPKT_PKfPKiPfiiiiiiiiiiiiiiii
    .private_segment_fixed_size: 16
    .sgpr_count:     36
    .sgpr_spill_count: 0
    .symbol:         _ZL9mul_mat_fI7__half2Li64ELi11ELi6ELb0EEvPKT_PKfPKiPfiiiiiiiiiiiiiiii.kd
    .uniform_work_group_size: 1
    .uses_dynamic_stack: false
    .vgpr_count:     38
    .vgpr_spill_count: 0
    .wavefront_size: 32
    .workgroup_processor_mode: 1
  - .args:
      - .actual_access:  read_only
        .address_space:  global
        .offset:         0
        .size:           8
        .value_kind:     global_buffer
      - .actual_access:  read_only
        .address_space:  global
        .offset:         8
        .size:           8
        .value_kind:     global_buffer
      - .actual_access:  read_only
        .address_space:  global
        .offset:         16
        .size:           8
        .value_kind:     global_buffer
      - .actual_access:  read_only
        .address_space:  global
        .offset:         24
        .size:           8
        .value_kind:     global_buffer
      - .actual_access:  read_only
        .address_space:  global
        .offset:         32
        .size:           8
        .value_kind:     global_buffer
      - .actual_access:  read_only
        .address_space:  global
        .offset:         40
        .size:           8
        .value_kind:     global_buffer
      - .offset:         48
        .size:           4
        .value_kind:     by_value
      - .offset:         52
        .size:           4
        .value_kind:     by_value
      - .offset:         56
        .size:           4
        .value_kind:     by_value
      - .offset:         60
        .size:           4
        .value_kind:     by_value
      - .offset:         64
        .size:           4
        .value_kind:     by_value
      - .offset:         68
        .size:           4
        .value_kind:     by_value
      - .offset:         72
        .size:           4
        .value_kind:     by_value
      - .offset:         76
        .size:           4
        .value_kind:     by_value
      - .offset:         80
        .size:           4
        .value_kind:     by_value
      - .offset:         84
        .size:           4
        .value_kind:     by_value
      - .offset:         88
        .size:           4
        .value_kind:     by_value
      - .offset:         92
        .size:           4
        .value_kind:     by_value
      - .offset:         96
        .size:           4
        .value_kind:     by_value
      - .offset:         100
        .size:           4
        .value_kind:     by_value
      - .offset:         104
        .size:           12
        .value_kind:     by_value
      - .offset:         116
        .size:           12
        .value_kind:     by_value
      - .offset:         128
        .size:           4
        .value_kind:     hidden_block_count_x
      - .offset:         132
        .size:           4
        .value_kind:     hidden_block_count_y
      - .offset:         136
        .size:           4
        .value_kind:     hidden_block_count_z
      - .offset:         140
        .size:           2
        .value_kind:     hidden_group_size_x
      - .offset:         142
        .size:           2
        .value_kind:     hidden_group_size_y
      - .offset:         144
        .size:           2
        .value_kind:     hidden_group_size_z
      - .offset:         146
        .size:           2
        .value_kind:     hidden_remainder_x
      - .offset:         148
        .size:           2
        .value_kind:     hidden_remainder_y
      - .offset:         150
        .size:           2
        .value_kind:     hidden_remainder_z
      - .offset:         168
        .size:           8
        .value_kind:     hidden_global_offset_x
      - .offset:         176
        .size:           8
        .value_kind:     hidden_global_offset_y
      - .offset:         184
        .size:           8
        .value_kind:     hidden_global_offset_z
      - .offset:         192
        .size:           2
        .value_kind:     hidden_grid_dims
      - .offset:         208
        .size:           8
        .value_kind:     hidden_hostcall_buffer
    .group_segment_fixed_size: 0
    .kernarg_segment_align: 8
    .kernarg_segment_size: 384
    .language:       OpenCL C
    .language_version:
      - 2
      - 0
    .max_flat_workgroup_size: 224
    .name:           _ZL13mul_mat_f_idsI7__half2Li64ELi11ELi7EEvPKT_PKfPKiS7_S7_Pfiiiiiiiiiiiiii15HIP_vector_typeIjLj3EESA_
    .private_segment_fixed_size: 16
    .sgpr_count:     36
    .sgpr_spill_count: 0
    .symbol:         _ZL13mul_mat_f_idsI7__half2Li64ELi11ELi7EEvPKT_PKfPKiS7_S7_Pfiiiiiiiiiiiiii15HIP_vector_typeIjLj3EESA_.kd
    .uniform_work_group_size: 1
    .uses_dynamic_stack: false
    .vgpr_count:     38
    .vgpr_spill_count: 0
    .wavefront_size: 32
    .workgroup_processor_mode: 1
  - .args:
      - .actual_access:  read_only
        .address_space:  global
        .offset:         0
        .size:           8
        .value_kind:     global_buffer
      - .actual_access:  read_only
        .address_space:  global
        .offset:         8
        .size:           8
        .value_kind:     global_buffer
      - .actual_access:  read_only
        .address_space:  global
        .offset:         16
        .size:           8
        .value_kind:     global_buffer
      - .actual_access:  read_only
        .address_space:  global
        .offset:         24
        .size:           8
        .value_kind:     global_buffer
      - .offset:         32
        .size:           4
        .value_kind:     by_value
      - .offset:         36
        .size:           4
        .value_kind:     by_value
      - .offset:         40
        .size:           4
        .value_kind:     by_value
      - .offset:         44
        .size:           4
        .value_kind:     by_value
      - .offset:         48
        .size:           4
        .value_kind:     by_value
      - .offset:         52
        .size:           4
        .value_kind:     by_value
      - .offset:         56
        .size:           4
        .value_kind:     by_value
      - .offset:         60
        .size:           4
        .value_kind:     by_value
      - .offset:         64
        .size:           4
        .value_kind:     by_value
      - .offset:         68
        .size:           4
        .value_kind:     by_value
      - .offset:         72
        .size:           4
        .value_kind:     by_value
      - .offset:         76
        .size:           4
        .value_kind:     by_value
      - .offset:         80
        .size:           4
        .value_kind:     by_value
      - .offset:         84
        .size:           4
        .value_kind:     by_value
      - .offset:         88
        .size:           4
        .value_kind:     by_value
      - .offset:         92
        .size:           4
        .value_kind:     by_value
      - .offset:         96
        .size:           4
        .value_kind:     hidden_block_count_x
      - .offset:         100
        .size:           4
        .value_kind:     hidden_block_count_y
      - .offset:         104
        .size:           4
        .value_kind:     hidden_block_count_z
      - .offset:         108
        .size:           2
        .value_kind:     hidden_group_size_x
      - .offset:         110
        .size:           2
        .value_kind:     hidden_group_size_y
      - .offset:         112
        .size:           2
        .value_kind:     hidden_group_size_z
      - .offset:         114
        .size:           2
        .value_kind:     hidden_remainder_x
      - .offset:         116
        .size:           2
        .value_kind:     hidden_remainder_y
      - .offset:         118
        .size:           2
        .value_kind:     hidden_remainder_z
      - .offset:         136
        .size:           8
        .value_kind:     hidden_global_offset_x
      - .offset:         144
        .size:           8
        .value_kind:     hidden_global_offset_y
      - .offset:         152
        .size:           8
        .value_kind:     hidden_global_offset_z
      - .offset:         160
        .size:           2
        .value_kind:     hidden_grid_dims
      - .offset:         176
        .size:           8
        .value_kind:     hidden_hostcall_buffer
    .group_segment_fixed_size: 0
    .kernarg_segment_align: 8
    .kernarg_segment_size: 352
    .language:       OpenCL C
    .language_version:
      - 2
      - 0
    .max_flat_workgroup_size: 224
    .name:           _ZL9mul_mat_fI7__half2Li64ELi11ELi7ELb1EEvPKT_PKfPKiPfiiiiiiiiiiiiiiii
    .private_segment_fixed_size: 16
    .sgpr_count:     36
    .sgpr_spill_count: 0
    .symbol:         _ZL9mul_mat_fI7__half2Li64ELi11ELi7ELb1EEvPKT_PKfPKiPfiiiiiiiiiiiiiiii.kd
    .uniform_work_group_size: 1
    .uses_dynamic_stack: false
    .vgpr_count:     38
    .vgpr_spill_count: 0
    .wavefront_size: 32
    .workgroup_processor_mode: 1
  - .args:
      - .actual_access:  read_only
        .address_space:  global
        .offset:         0
        .size:           8
        .value_kind:     global_buffer
      - .actual_access:  read_only
        .address_space:  global
        .offset:         8
        .size:           8
        .value_kind:     global_buffer
      - .actual_access:  read_only
        .address_space:  global
        .offset:         16
        .size:           8
        .value_kind:     global_buffer
      - .actual_access:  read_only
        .address_space:  global
        .offset:         24
        .size:           8
        .value_kind:     global_buffer
      - .offset:         32
        .size:           4
        .value_kind:     by_value
      - .offset:         36
        .size:           4
        .value_kind:     by_value
      - .offset:         40
        .size:           4
        .value_kind:     by_value
      - .offset:         44
        .size:           4
        .value_kind:     by_value
      - .offset:         48
        .size:           4
        .value_kind:     by_value
      - .offset:         52
        .size:           4
        .value_kind:     by_value
      - .offset:         56
        .size:           4
        .value_kind:     by_value
      - .offset:         60
        .size:           4
        .value_kind:     by_value
      - .offset:         64
        .size:           4
        .value_kind:     by_value
      - .offset:         68
        .size:           4
        .value_kind:     by_value
      - .offset:         72
        .size:           4
        .value_kind:     by_value
      - .offset:         76
        .size:           4
        .value_kind:     by_value
      - .offset:         80
        .size:           4
        .value_kind:     by_value
      - .offset:         84
        .size:           4
        .value_kind:     by_value
      - .offset:         88
        .size:           4
        .value_kind:     by_value
      - .offset:         92
        .size:           4
        .value_kind:     by_value
      - .offset:         96
        .size:           4
        .value_kind:     hidden_block_count_x
      - .offset:         100
        .size:           4
        .value_kind:     hidden_block_count_y
      - .offset:         104
        .size:           4
        .value_kind:     hidden_block_count_z
      - .offset:         108
        .size:           2
        .value_kind:     hidden_group_size_x
      - .offset:         110
        .size:           2
        .value_kind:     hidden_group_size_y
      - .offset:         112
        .size:           2
        .value_kind:     hidden_group_size_z
      - .offset:         114
        .size:           2
        .value_kind:     hidden_remainder_x
      - .offset:         116
        .size:           2
        .value_kind:     hidden_remainder_y
      - .offset:         118
        .size:           2
        .value_kind:     hidden_remainder_z
      - .offset:         136
        .size:           8
        .value_kind:     hidden_global_offset_x
      - .offset:         144
        .size:           8
        .value_kind:     hidden_global_offset_y
      - .offset:         152
        .size:           8
        .value_kind:     hidden_global_offset_z
      - .offset:         160
        .size:           2
        .value_kind:     hidden_grid_dims
      - .offset:         176
        .size:           8
        .value_kind:     hidden_hostcall_buffer
    .group_segment_fixed_size: 0
    .kernarg_segment_align: 8
    .kernarg_segment_size: 352
    .language:       OpenCL C
    .language_version:
      - 2
      - 0
    .max_flat_workgroup_size: 224
    .name:           _ZL9mul_mat_fI7__half2Li64ELi11ELi7ELb0EEvPKT_PKfPKiPfiiiiiiiiiiiiiiii
    .private_segment_fixed_size: 16
    .sgpr_count:     36
    .sgpr_spill_count: 0
    .symbol:         _ZL9mul_mat_fI7__half2Li64ELi11ELi7ELb0EEvPKT_PKfPKiPfiiiiiiiiiiiiiiii.kd
    .uniform_work_group_size: 1
    .uses_dynamic_stack: false
    .vgpr_count:     38
    .vgpr_spill_count: 0
    .wavefront_size: 32
    .workgroup_processor_mode: 1
  - .args:
      - .actual_access:  read_only
        .address_space:  global
        .offset:         0
        .size:           8
        .value_kind:     global_buffer
      - .actual_access:  read_only
        .address_space:  global
        .offset:         8
        .size:           8
        .value_kind:     global_buffer
      - .actual_access:  read_only
        .address_space:  global
        .offset:         16
        .size:           8
        .value_kind:     global_buffer
      - .actual_access:  read_only
        .address_space:  global
        .offset:         24
        .size:           8
        .value_kind:     global_buffer
      - .actual_access:  read_only
        .address_space:  global
        .offset:         32
        .size:           8
        .value_kind:     global_buffer
      - .actual_access:  read_only
        .address_space:  global
        .offset:         40
        .size:           8
        .value_kind:     global_buffer
      - .offset:         48
        .size:           4
        .value_kind:     by_value
      - .offset:         52
        .size:           4
        .value_kind:     by_value
      - .offset:         56
        .size:           4
        .value_kind:     by_value
      - .offset:         60
        .size:           4
        .value_kind:     by_value
      - .offset:         64
        .size:           4
        .value_kind:     by_value
      - .offset:         68
        .size:           4
        .value_kind:     by_value
      - .offset:         72
        .size:           4
        .value_kind:     by_value
      - .offset:         76
        .size:           4
        .value_kind:     by_value
      - .offset:         80
        .size:           4
        .value_kind:     by_value
      - .offset:         84
        .size:           4
        .value_kind:     by_value
      - .offset:         88
        .size:           4
        .value_kind:     by_value
      - .offset:         92
        .size:           4
        .value_kind:     by_value
      - .offset:         96
        .size:           4
        .value_kind:     by_value
      - .offset:         100
        .size:           4
        .value_kind:     by_value
      - .offset:         104
        .size:           12
        .value_kind:     by_value
      - .offset:         116
        .size:           12
        .value_kind:     by_value
      - .offset:         128
        .size:           4
        .value_kind:     hidden_block_count_x
      - .offset:         132
        .size:           4
        .value_kind:     hidden_block_count_y
      - .offset:         136
        .size:           4
        .value_kind:     hidden_block_count_z
      - .offset:         140
        .size:           2
        .value_kind:     hidden_group_size_x
      - .offset:         142
        .size:           2
        .value_kind:     hidden_group_size_y
      - .offset:         144
        .size:           2
        .value_kind:     hidden_group_size_z
      - .offset:         146
        .size:           2
        .value_kind:     hidden_remainder_x
      - .offset:         148
        .size:           2
        .value_kind:     hidden_remainder_y
      - .offset:         150
        .size:           2
        .value_kind:     hidden_remainder_z
      - .offset:         168
        .size:           8
        .value_kind:     hidden_global_offset_x
      - .offset:         176
        .size:           8
        .value_kind:     hidden_global_offset_y
      - .offset:         184
        .size:           8
        .value_kind:     hidden_global_offset_z
      - .offset:         192
        .size:           2
        .value_kind:     hidden_grid_dims
      - .offset:         208
        .size:           8
        .value_kind:     hidden_hostcall_buffer
    .group_segment_fixed_size: 0
    .kernarg_segment_align: 8
    .kernarg_segment_size: 384
    .language:       OpenCL C
    .language_version:
      - 2
      - 0
    .max_flat_workgroup_size: 256
    .name:           _ZL13mul_mat_f_idsI7__half2Li64ELi11ELi8EEvPKT_PKfPKiS7_S7_Pfiiiiiiiiiiiiii15HIP_vector_typeIjLj3EESA_
    .private_segment_fixed_size: 16
    .sgpr_count:     36
    .sgpr_spill_count: 0
    .symbol:         _ZL13mul_mat_f_idsI7__half2Li64ELi11ELi8EEvPKT_PKfPKiS7_S7_Pfiiiiiiiiiiiiii15HIP_vector_typeIjLj3EESA_.kd
    .uniform_work_group_size: 1
    .uses_dynamic_stack: false
    .vgpr_count:     38
    .vgpr_spill_count: 0
    .wavefront_size: 32
    .workgroup_processor_mode: 1
  - .args:
      - .actual_access:  read_only
        .address_space:  global
        .offset:         0
        .size:           8
        .value_kind:     global_buffer
      - .actual_access:  read_only
        .address_space:  global
        .offset:         8
        .size:           8
        .value_kind:     global_buffer
      - .actual_access:  read_only
        .address_space:  global
        .offset:         16
        .size:           8
        .value_kind:     global_buffer
      - .actual_access:  read_only
        .address_space:  global
        .offset:         24
        .size:           8
        .value_kind:     global_buffer
      - .offset:         32
        .size:           4
        .value_kind:     by_value
      - .offset:         36
        .size:           4
        .value_kind:     by_value
      - .offset:         40
        .size:           4
        .value_kind:     by_value
      - .offset:         44
        .size:           4
        .value_kind:     by_value
      - .offset:         48
        .size:           4
        .value_kind:     by_value
      - .offset:         52
        .size:           4
        .value_kind:     by_value
      - .offset:         56
        .size:           4
        .value_kind:     by_value
      - .offset:         60
        .size:           4
        .value_kind:     by_value
      - .offset:         64
        .size:           4
        .value_kind:     by_value
      - .offset:         68
        .size:           4
        .value_kind:     by_value
      - .offset:         72
        .size:           4
        .value_kind:     by_value
      - .offset:         76
        .size:           4
        .value_kind:     by_value
      - .offset:         80
        .size:           4
        .value_kind:     by_value
      - .offset:         84
        .size:           4
        .value_kind:     by_value
      - .offset:         88
        .size:           4
        .value_kind:     by_value
      - .offset:         92
        .size:           4
        .value_kind:     by_value
      - .offset:         96
        .size:           4
        .value_kind:     hidden_block_count_x
      - .offset:         100
        .size:           4
        .value_kind:     hidden_block_count_y
      - .offset:         104
        .size:           4
        .value_kind:     hidden_block_count_z
      - .offset:         108
        .size:           2
        .value_kind:     hidden_group_size_x
      - .offset:         110
        .size:           2
        .value_kind:     hidden_group_size_y
      - .offset:         112
        .size:           2
        .value_kind:     hidden_group_size_z
      - .offset:         114
        .size:           2
        .value_kind:     hidden_remainder_x
      - .offset:         116
        .size:           2
        .value_kind:     hidden_remainder_y
      - .offset:         118
        .size:           2
        .value_kind:     hidden_remainder_z
      - .offset:         136
        .size:           8
        .value_kind:     hidden_global_offset_x
      - .offset:         144
        .size:           8
        .value_kind:     hidden_global_offset_y
      - .offset:         152
        .size:           8
        .value_kind:     hidden_global_offset_z
      - .offset:         160
        .size:           2
        .value_kind:     hidden_grid_dims
      - .offset:         176
        .size:           8
        .value_kind:     hidden_hostcall_buffer
    .group_segment_fixed_size: 0
    .kernarg_segment_align: 8
    .kernarg_segment_size: 352
    .language:       OpenCL C
    .language_version:
      - 2
      - 0
    .max_flat_workgroup_size: 256
    .name:           _ZL9mul_mat_fI7__half2Li64ELi11ELi8ELb1EEvPKT_PKfPKiPfiiiiiiiiiiiiiiii
    .private_segment_fixed_size: 16
    .sgpr_count:     36
    .sgpr_spill_count: 0
    .symbol:         _ZL9mul_mat_fI7__half2Li64ELi11ELi8ELb1EEvPKT_PKfPKiPfiiiiiiiiiiiiiiii.kd
    .uniform_work_group_size: 1
    .uses_dynamic_stack: false
    .vgpr_count:     38
    .vgpr_spill_count: 0
    .wavefront_size: 32
    .workgroup_processor_mode: 1
  - .args:
      - .actual_access:  read_only
        .address_space:  global
        .offset:         0
        .size:           8
        .value_kind:     global_buffer
      - .actual_access:  read_only
        .address_space:  global
        .offset:         8
        .size:           8
        .value_kind:     global_buffer
      - .actual_access:  read_only
        .address_space:  global
        .offset:         16
        .size:           8
        .value_kind:     global_buffer
      - .actual_access:  read_only
        .address_space:  global
        .offset:         24
        .size:           8
        .value_kind:     global_buffer
      - .offset:         32
        .size:           4
        .value_kind:     by_value
      - .offset:         36
        .size:           4
        .value_kind:     by_value
      - .offset:         40
        .size:           4
        .value_kind:     by_value
      - .offset:         44
        .size:           4
        .value_kind:     by_value
      - .offset:         48
        .size:           4
        .value_kind:     by_value
      - .offset:         52
        .size:           4
        .value_kind:     by_value
      - .offset:         56
        .size:           4
        .value_kind:     by_value
      - .offset:         60
        .size:           4
        .value_kind:     by_value
      - .offset:         64
        .size:           4
        .value_kind:     by_value
      - .offset:         68
        .size:           4
        .value_kind:     by_value
      - .offset:         72
        .size:           4
        .value_kind:     by_value
      - .offset:         76
        .size:           4
        .value_kind:     by_value
      - .offset:         80
        .size:           4
        .value_kind:     by_value
      - .offset:         84
        .size:           4
        .value_kind:     by_value
      - .offset:         88
        .size:           4
        .value_kind:     by_value
      - .offset:         92
        .size:           4
        .value_kind:     by_value
      - .offset:         96
        .size:           4
        .value_kind:     hidden_block_count_x
      - .offset:         100
        .size:           4
        .value_kind:     hidden_block_count_y
      - .offset:         104
        .size:           4
        .value_kind:     hidden_block_count_z
      - .offset:         108
        .size:           2
        .value_kind:     hidden_group_size_x
      - .offset:         110
        .size:           2
        .value_kind:     hidden_group_size_y
      - .offset:         112
        .size:           2
        .value_kind:     hidden_group_size_z
      - .offset:         114
        .size:           2
        .value_kind:     hidden_remainder_x
      - .offset:         116
        .size:           2
        .value_kind:     hidden_remainder_y
      - .offset:         118
        .size:           2
        .value_kind:     hidden_remainder_z
      - .offset:         136
        .size:           8
        .value_kind:     hidden_global_offset_x
      - .offset:         144
        .size:           8
        .value_kind:     hidden_global_offset_y
      - .offset:         152
        .size:           8
        .value_kind:     hidden_global_offset_z
      - .offset:         160
        .size:           2
        .value_kind:     hidden_grid_dims
      - .offset:         176
        .size:           8
        .value_kind:     hidden_hostcall_buffer
    .group_segment_fixed_size: 0
    .kernarg_segment_align: 8
    .kernarg_segment_size: 352
    .language:       OpenCL C
    .language_version:
      - 2
      - 0
    .max_flat_workgroup_size: 256
    .name:           _ZL9mul_mat_fI7__half2Li64ELi11ELi8ELb0EEvPKT_PKfPKiPfiiiiiiiiiiiiiiii
    .private_segment_fixed_size: 16
    .sgpr_count:     36
    .sgpr_spill_count: 0
    .symbol:         _ZL9mul_mat_fI7__half2Li64ELi11ELi8ELb0EEvPKT_PKfPKiPfiiiiiiiiiiiiiiii.kd
    .uniform_work_group_size: 1
    .uses_dynamic_stack: false
    .vgpr_count:     38
    .vgpr_spill_count: 0
    .wavefront_size: 32
    .workgroup_processor_mode: 1
  - .args:
      - .actual_access:  read_only
        .address_space:  global
        .offset:         0
        .size:           8
        .value_kind:     global_buffer
      - .actual_access:  read_only
        .address_space:  global
        .offset:         8
        .size:           8
        .value_kind:     global_buffer
      - .actual_access:  read_only
        .address_space:  global
        .offset:         16
        .size:           8
        .value_kind:     global_buffer
      - .actual_access:  read_only
        .address_space:  global
        .offset:         24
        .size:           8
        .value_kind:     global_buffer
      - .actual_access:  read_only
        .address_space:  global
        .offset:         32
        .size:           8
        .value_kind:     global_buffer
      - .actual_access:  read_only
        .address_space:  global
        .offset:         40
        .size:           8
        .value_kind:     global_buffer
      - .offset:         48
        .size:           4
        .value_kind:     by_value
      - .offset:         52
        .size:           4
        .value_kind:     by_value
      - .offset:         56
        .size:           4
        .value_kind:     by_value
      - .offset:         60
        .size:           4
        .value_kind:     by_value
      - .offset:         64
        .size:           4
        .value_kind:     by_value
      - .offset:         68
        .size:           4
        .value_kind:     by_value
      - .offset:         72
        .size:           4
        .value_kind:     by_value
      - .offset:         76
        .size:           4
        .value_kind:     by_value
      - .offset:         80
        .size:           4
        .value_kind:     by_value
      - .offset:         84
        .size:           4
        .value_kind:     by_value
      - .offset:         88
        .size:           4
        .value_kind:     by_value
      - .offset:         92
        .size:           4
        .value_kind:     by_value
      - .offset:         96
        .size:           4
        .value_kind:     by_value
      - .offset:         100
        .size:           4
        .value_kind:     by_value
      - .offset:         104
        .size:           12
        .value_kind:     by_value
      - .offset:         116
        .size:           12
        .value_kind:     by_value
      - .offset:         128
        .size:           4
        .value_kind:     hidden_block_count_x
      - .offset:         132
        .size:           4
        .value_kind:     hidden_block_count_y
      - .offset:         136
        .size:           4
        .value_kind:     hidden_block_count_z
      - .offset:         140
        .size:           2
        .value_kind:     hidden_group_size_x
      - .offset:         142
        .size:           2
        .value_kind:     hidden_group_size_y
      - .offset:         144
        .size:           2
        .value_kind:     hidden_group_size_z
      - .offset:         146
        .size:           2
        .value_kind:     hidden_remainder_x
      - .offset:         148
        .size:           2
        .value_kind:     hidden_remainder_y
      - .offset:         150
        .size:           2
        .value_kind:     hidden_remainder_z
      - .offset:         168
        .size:           8
        .value_kind:     hidden_global_offset_x
      - .offset:         176
        .size:           8
        .value_kind:     hidden_global_offset_y
      - .offset:         184
        .size:           8
        .value_kind:     hidden_global_offset_z
      - .offset:         192
        .size:           2
        .value_kind:     hidden_grid_dims
      - .offset:         208
        .size:           8
        .value_kind:     hidden_hostcall_buffer
    .group_segment_fixed_size: 0
    .kernarg_segment_align: 8
    .kernarg_segment_size: 384
    .language:       OpenCL C
    .language_version:
      - 2
      - 0
    .max_flat_workgroup_size: 32
    .name:           _ZL13mul_mat_f_idsI15__hip_bfloat162Li64ELi11ELi1EEvPKT_PKfPKiS7_S7_Pfiiiiiiiiiiiiii15HIP_vector_typeIjLj3EESA_
    .private_segment_fixed_size: 16
    .sgpr_count:     36
    .sgpr_spill_count: 0
    .symbol:         _ZL13mul_mat_f_idsI15__hip_bfloat162Li64ELi11ELi1EEvPKT_PKfPKiS7_S7_Pfiiiiiiiiiiiiii15HIP_vector_typeIjLj3EESA_.kd
    .uniform_work_group_size: 1
    .uses_dynamic_stack: false
    .vgpr_count:     38
    .vgpr_spill_count: 0
    .wavefront_size: 32
    .workgroup_processor_mode: 1
  - .args:
      - .actual_access:  read_only
        .address_space:  global
        .offset:         0
        .size:           8
        .value_kind:     global_buffer
      - .actual_access:  read_only
        .address_space:  global
        .offset:         8
        .size:           8
        .value_kind:     global_buffer
      - .actual_access:  read_only
        .address_space:  global
        .offset:         16
        .size:           8
        .value_kind:     global_buffer
      - .actual_access:  read_only
        .address_space:  global
        .offset:         24
        .size:           8
        .value_kind:     global_buffer
      - .offset:         32
        .size:           4
        .value_kind:     by_value
      - .offset:         36
        .size:           4
        .value_kind:     by_value
      - .offset:         40
        .size:           4
        .value_kind:     by_value
      - .offset:         44
        .size:           4
        .value_kind:     by_value
      - .offset:         48
        .size:           4
        .value_kind:     by_value
      - .offset:         52
        .size:           4
        .value_kind:     by_value
      - .offset:         56
        .size:           4
        .value_kind:     by_value
      - .offset:         60
        .size:           4
        .value_kind:     by_value
      - .offset:         64
        .size:           4
        .value_kind:     by_value
      - .offset:         68
        .size:           4
        .value_kind:     by_value
      - .offset:         72
        .size:           4
        .value_kind:     by_value
      - .offset:         76
        .size:           4
        .value_kind:     by_value
      - .offset:         80
        .size:           4
        .value_kind:     by_value
      - .offset:         84
        .size:           4
        .value_kind:     by_value
      - .offset:         88
        .size:           4
        .value_kind:     by_value
      - .offset:         92
        .size:           4
        .value_kind:     by_value
      - .offset:         96
        .size:           4
        .value_kind:     hidden_block_count_x
      - .offset:         100
        .size:           4
        .value_kind:     hidden_block_count_y
      - .offset:         104
        .size:           4
        .value_kind:     hidden_block_count_z
      - .offset:         108
        .size:           2
        .value_kind:     hidden_group_size_x
      - .offset:         110
        .size:           2
        .value_kind:     hidden_group_size_y
      - .offset:         112
        .size:           2
        .value_kind:     hidden_group_size_z
      - .offset:         114
        .size:           2
        .value_kind:     hidden_remainder_x
      - .offset:         116
        .size:           2
        .value_kind:     hidden_remainder_y
      - .offset:         118
        .size:           2
        .value_kind:     hidden_remainder_z
      - .offset:         136
        .size:           8
        .value_kind:     hidden_global_offset_x
      - .offset:         144
        .size:           8
        .value_kind:     hidden_global_offset_y
      - .offset:         152
        .size:           8
        .value_kind:     hidden_global_offset_z
      - .offset:         160
        .size:           2
        .value_kind:     hidden_grid_dims
      - .offset:         176
        .size:           8
        .value_kind:     hidden_hostcall_buffer
    .group_segment_fixed_size: 0
    .kernarg_segment_align: 8
    .kernarg_segment_size: 352
    .language:       OpenCL C
    .language_version:
      - 2
      - 0
    .max_flat_workgroup_size: 32
    .name:           _ZL9mul_mat_fI15__hip_bfloat162Li64ELi11ELi1ELb1EEvPKT_PKfPKiPfiiiiiiiiiiiiiiii
    .private_segment_fixed_size: 16
    .sgpr_count:     36
    .sgpr_spill_count: 0
    .symbol:         _ZL9mul_mat_fI15__hip_bfloat162Li64ELi11ELi1ELb1EEvPKT_PKfPKiPfiiiiiiiiiiiiiiii.kd
    .uniform_work_group_size: 1
    .uses_dynamic_stack: false
    .vgpr_count:     38
    .vgpr_spill_count: 0
    .wavefront_size: 32
    .workgroup_processor_mode: 1
  - .args:
      - .actual_access:  read_only
        .address_space:  global
        .offset:         0
        .size:           8
        .value_kind:     global_buffer
      - .actual_access:  read_only
        .address_space:  global
        .offset:         8
        .size:           8
        .value_kind:     global_buffer
      - .actual_access:  read_only
        .address_space:  global
        .offset:         16
        .size:           8
        .value_kind:     global_buffer
      - .actual_access:  read_only
        .address_space:  global
        .offset:         24
        .size:           8
        .value_kind:     global_buffer
      - .offset:         32
        .size:           4
        .value_kind:     by_value
      - .offset:         36
        .size:           4
        .value_kind:     by_value
      - .offset:         40
        .size:           4
        .value_kind:     by_value
      - .offset:         44
        .size:           4
        .value_kind:     by_value
      - .offset:         48
        .size:           4
        .value_kind:     by_value
      - .offset:         52
        .size:           4
        .value_kind:     by_value
      - .offset:         56
        .size:           4
        .value_kind:     by_value
      - .offset:         60
        .size:           4
        .value_kind:     by_value
      - .offset:         64
        .size:           4
        .value_kind:     by_value
      - .offset:         68
        .size:           4
        .value_kind:     by_value
      - .offset:         72
        .size:           4
        .value_kind:     by_value
      - .offset:         76
        .size:           4
        .value_kind:     by_value
      - .offset:         80
        .size:           4
        .value_kind:     by_value
      - .offset:         84
        .size:           4
        .value_kind:     by_value
      - .offset:         88
        .size:           4
        .value_kind:     by_value
      - .offset:         92
        .size:           4
        .value_kind:     by_value
      - .offset:         96
        .size:           4
        .value_kind:     hidden_block_count_x
      - .offset:         100
        .size:           4
        .value_kind:     hidden_block_count_y
      - .offset:         104
        .size:           4
        .value_kind:     hidden_block_count_z
      - .offset:         108
        .size:           2
        .value_kind:     hidden_group_size_x
      - .offset:         110
        .size:           2
        .value_kind:     hidden_group_size_y
      - .offset:         112
        .size:           2
        .value_kind:     hidden_group_size_z
      - .offset:         114
        .size:           2
        .value_kind:     hidden_remainder_x
      - .offset:         116
        .size:           2
        .value_kind:     hidden_remainder_y
      - .offset:         118
        .size:           2
        .value_kind:     hidden_remainder_z
      - .offset:         136
        .size:           8
        .value_kind:     hidden_global_offset_x
      - .offset:         144
        .size:           8
        .value_kind:     hidden_global_offset_y
      - .offset:         152
        .size:           8
        .value_kind:     hidden_global_offset_z
      - .offset:         160
        .size:           2
        .value_kind:     hidden_grid_dims
      - .offset:         176
        .size:           8
        .value_kind:     hidden_hostcall_buffer
    .group_segment_fixed_size: 0
    .kernarg_segment_align: 8
    .kernarg_segment_size: 352
    .language:       OpenCL C
    .language_version:
      - 2
      - 0
    .max_flat_workgroup_size: 32
    .name:           _ZL9mul_mat_fI15__hip_bfloat162Li64ELi11ELi1ELb0EEvPKT_PKfPKiPfiiiiiiiiiiiiiiii
    .private_segment_fixed_size: 16
    .sgpr_count:     36
    .sgpr_spill_count: 0
    .symbol:         _ZL9mul_mat_fI15__hip_bfloat162Li64ELi11ELi1ELb0EEvPKT_PKfPKiPfiiiiiiiiiiiiiiii.kd
    .uniform_work_group_size: 1
    .uses_dynamic_stack: false
    .vgpr_count:     38
    .vgpr_spill_count: 0
    .wavefront_size: 32
    .workgroup_processor_mode: 1
  - .args:
      - .actual_access:  read_only
        .address_space:  global
        .offset:         0
        .size:           8
        .value_kind:     global_buffer
      - .actual_access:  read_only
        .address_space:  global
        .offset:         8
        .size:           8
        .value_kind:     global_buffer
      - .actual_access:  read_only
        .address_space:  global
        .offset:         16
        .size:           8
        .value_kind:     global_buffer
      - .actual_access:  read_only
        .address_space:  global
        .offset:         24
        .size:           8
        .value_kind:     global_buffer
      - .actual_access:  read_only
        .address_space:  global
        .offset:         32
        .size:           8
        .value_kind:     global_buffer
      - .actual_access:  read_only
        .address_space:  global
        .offset:         40
        .size:           8
        .value_kind:     global_buffer
      - .offset:         48
        .size:           4
        .value_kind:     by_value
      - .offset:         52
        .size:           4
        .value_kind:     by_value
      - .offset:         56
        .size:           4
        .value_kind:     by_value
      - .offset:         60
        .size:           4
        .value_kind:     by_value
      - .offset:         64
        .size:           4
        .value_kind:     by_value
      - .offset:         68
        .size:           4
        .value_kind:     by_value
      - .offset:         72
        .size:           4
        .value_kind:     by_value
      - .offset:         76
        .size:           4
        .value_kind:     by_value
      - .offset:         80
        .size:           4
        .value_kind:     by_value
      - .offset:         84
        .size:           4
        .value_kind:     by_value
      - .offset:         88
        .size:           4
        .value_kind:     by_value
      - .offset:         92
        .size:           4
        .value_kind:     by_value
      - .offset:         96
        .size:           4
        .value_kind:     by_value
      - .offset:         100
        .size:           4
        .value_kind:     by_value
      - .offset:         104
        .size:           12
        .value_kind:     by_value
      - .offset:         116
        .size:           12
        .value_kind:     by_value
      - .offset:         128
        .size:           4
        .value_kind:     hidden_block_count_x
      - .offset:         132
        .size:           4
        .value_kind:     hidden_block_count_y
      - .offset:         136
        .size:           4
        .value_kind:     hidden_block_count_z
      - .offset:         140
        .size:           2
        .value_kind:     hidden_group_size_x
      - .offset:         142
        .size:           2
        .value_kind:     hidden_group_size_y
      - .offset:         144
        .size:           2
        .value_kind:     hidden_group_size_z
      - .offset:         146
        .size:           2
        .value_kind:     hidden_remainder_x
      - .offset:         148
        .size:           2
        .value_kind:     hidden_remainder_y
      - .offset:         150
        .size:           2
        .value_kind:     hidden_remainder_z
      - .offset:         168
        .size:           8
        .value_kind:     hidden_global_offset_x
      - .offset:         176
        .size:           8
        .value_kind:     hidden_global_offset_y
      - .offset:         184
        .size:           8
        .value_kind:     hidden_global_offset_z
      - .offset:         192
        .size:           2
        .value_kind:     hidden_grid_dims
      - .offset:         208
        .size:           8
        .value_kind:     hidden_hostcall_buffer
    .group_segment_fixed_size: 0
    .kernarg_segment_align: 8
    .kernarg_segment_size: 384
    .language:       OpenCL C
    .language_version:
      - 2
      - 0
    .max_flat_workgroup_size: 64
    .name:           _ZL13mul_mat_f_idsI15__hip_bfloat162Li64ELi11ELi2EEvPKT_PKfPKiS7_S7_Pfiiiiiiiiiiiiii15HIP_vector_typeIjLj3EESA_
    .private_segment_fixed_size: 16
    .sgpr_count:     36
    .sgpr_spill_count: 0
    .symbol:         _ZL13mul_mat_f_idsI15__hip_bfloat162Li64ELi11ELi2EEvPKT_PKfPKiS7_S7_Pfiiiiiiiiiiiiii15HIP_vector_typeIjLj3EESA_.kd
    .uniform_work_group_size: 1
    .uses_dynamic_stack: false
    .vgpr_count:     38
    .vgpr_spill_count: 0
    .wavefront_size: 32
    .workgroup_processor_mode: 1
  - .args:
      - .actual_access:  read_only
        .address_space:  global
        .offset:         0
        .size:           8
        .value_kind:     global_buffer
      - .actual_access:  read_only
        .address_space:  global
        .offset:         8
        .size:           8
        .value_kind:     global_buffer
      - .actual_access:  read_only
        .address_space:  global
        .offset:         16
        .size:           8
        .value_kind:     global_buffer
      - .actual_access:  read_only
        .address_space:  global
        .offset:         24
        .size:           8
        .value_kind:     global_buffer
      - .offset:         32
        .size:           4
        .value_kind:     by_value
      - .offset:         36
        .size:           4
        .value_kind:     by_value
      - .offset:         40
        .size:           4
        .value_kind:     by_value
      - .offset:         44
        .size:           4
        .value_kind:     by_value
      - .offset:         48
        .size:           4
        .value_kind:     by_value
      - .offset:         52
        .size:           4
        .value_kind:     by_value
      - .offset:         56
        .size:           4
        .value_kind:     by_value
      - .offset:         60
        .size:           4
        .value_kind:     by_value
      - .offset:         64
        .size:           4
        .value_kind:     by_value
      - .offset:         68
        .size:           4
        .value_kind:     by_value
      - .offset:         72
        .size:           4
        .value_kind:     by_value
      - .offset:         76
        .size:           4
        .value_kind:     by_value
      - .offset:         80
        .size:           4
        .value_kind:     by_value
      - .offset:         84
        .size:           4
        .value_kind:     by_value
      - .offset:         88
        .size:           4
        .value_kind:     by_value
      - .offset:         92
        .size:           4
        .value_kind:     by_value
      - .offset:         96
        .size:           4
        .value_kind:     hidden_block_count_x
      - .offset:         100
        .size:           4
        .value_kind:     hidden_block_count_y
      - .offset:         104
        .size:           4
        .value_kind:     hidden_block_count_z
      - .offset:         108
        .size:           2
        .value_kind:     hidden_group_size_x
      - .offset:         110
        .size:           2
        .value_kind:     hidden_group_size_y
      - .offset:         112
        .size:           2
        .value_kind:     hidden_group_size_z
      - .offset:         114
        .size:           2
        .value_kind:     hidden_remainder_x
      - .offset:         116
        .size:           2
        .value_kind:     hidden_remainder_y
      - .offset:         118
        .size:           2
        .value_kind:     hidden_remainder_z
      - .offset:         136
        .size:           8
        .value_kind:     hidden_global_offset_x
      - .offset:         144
        .size:           8
        .value_kind:     hidden_global_offset_y
      - .offset:         152
        .size:           8
        .value_kind:     hidden_global_offset_z
      - .offset:         160
        .size:           2
        .value_kind:     hidden_grid_dims
      - .offset:         176
        .size:           8
        .value_kind:     hidden_hostcall_buffer
    .group_segment_fixed_size: 0
    .kernarg_segment_align: 8
    .kernarg_segment_size: 352
    .language:       OpenCL C
    .language_version:
      - 2
      - 0
    .max_flat_workgroup_size: 64
    .name:           _ZL9mul_mat_fI15__hip_bfloat162Li64ELi11ELi2ELb1EEvPKT_PKfPKiPfiiiiiiiiiiiiiiii
    .private_segment_fixed_size: 16
    .sgpr_count:     36
    .sgpr_spill_count: 0
    .symbol:         _ZL9mul_mat_fI15__hip_bfloat162Li64ELi11ELi2ELb1EEvPKT_PKfPKiPfiiiiiiiiiiiiiiii.kd
    .uniform_work_group_size: 1
    .uses_dynamic_stack: false
    .vgpr_count:     38
    .vgpr_spill_count: 0
    .wavefront_size: 32
    .workgroup_processor_mode: 1
  - .args:
      - .actual_access:  read_only
        .address_space:  global
        .offset:         0
        .size:           8
        .value_kind:     global_buffer
      - .actual_access:  read_only
        .address_space:  global
        .offset:         8
        .size:           8
        .value_kind:     global_buffer
      - .actual_access:  read_only
        .address_space:  global
        .offset:         16
        .size:           8
        .value_kind:     global_buffer
      - .actual_access:  read_only
        .address_space:  global
        .offset:         24
        .size:           8
        .value_kind:     global_buffer
      - .offset:         32
        .size:           4
        .value_kind:     by_value
      - .offset:         36
        .size:           4
        .value_kind:     by_value
      - .offset:         40
        .size:           4
        .value_kind:     by_value
      - .offset:         44
        .size:           4
        .value_kind:     by_value
      - .offset:         48
        .size:           4
        .value_kind:     by_value
      - .offset:         52
        .size:           4
        .value_kind:     by_value
      - .offset:         56
        .size:           4
        .value_kind:     by_value
      - .offset:         60
        .size:           4
        .value_kind:     by_value
      - .offset:         64
        .size:           4
        .value_kind:     by_value
      - .offset:         68
        .size:           4
        .value_kind:     by_value
      - .offset:         72
        .size:           4
        .value_kind:     by_value
      - .offset:         76
        .size:           4
        .value_kind:     by_value
      - .offset:         80
        .size:           4
        .value_kind:     by_value
      - .offset:         84
        .size:           4
        .value_kind:     by_value
      - .offset:         88
        .size:           4
        .value_kind:     by_value
      - .offset:         92
        .size:           4
        .value_kind:     by_value
      - .offset:         96
        .size:           4
        .value_kind:     hidden_block_count_x
      - .offset:         100
        .size:           4
        .value_kind:     hidden_block_count_y
      - .offset:         104
        .size:           4
        .value_kind:     hidden_block_count_z
      - .offset:         108
        .size:           2
        .value_kind:     hidden_group_size_x
      - .offset:         110
        .size:           2
        .value_kind:     hidden_group_size_y
      - .offset:         112
        .size:           2
        .value_kind:     hidden_group_size_z
      - .offset:         114
        .size:           2
        .value_kind:     hidden_remainder_x
      - .offset:         116
        .size:           2
        .value_kind:     hidden_remainder_y
      - .offset:         118
        .size:           2
        .value_kind:     hidden_remainder_z
      - .offset:         136
        .size:           8
        .value_kind:     hidden_global_offset_x
      - .offset:         144
        .size:           8
        .value_kind:     hidden_global_offset_y
      - .offset:         152
        .size:           8
        .value_kind:     hidden_global_offset_z
      - .offset:         160
        .size:           2
        .value_kind:     hidden_grid_dims
      - .offset:         176
        .size:           8
        .value_kind:     hidden_hostcall_buffer
    .group_segment_fixed_size: 0
    .kernarg_segment_align: 8
    .kernarg_segment_size: 352
    .language:       OpenCL C
    .language_version:
      - 2
      - 0
    .max_flat_workgroup_size: 64
    .name:           _ZL9mul_mat_fI15__hip_bfloat162Li64ELi11ELi2ELb0EEvPKT_PKfPKiPfiiiiiiiiiiiiiiii
    .private_segment_fixed_size: 16
    .sgpr_count:     36
    .sgpr_spill_count: 0
    .symbol:         _ZL9mul_mat_fI15__hip_bfloat162Li64ELi11ELi2ELb0EEvPKT_PKfPKiPfiiiiiiiiiiiiiiii.kd
    .uniform_work_group_size: 1
    .uses_dynamic_stack: false
    .vgpr_count:     38
    .vgpr_spill_count: 0
    .wavefront_size: 32
    .workgroup_processor_mode: 1
  - .args:
      - .actual_access:  read_only
        .address_space:  global
        .offset:         0
        .size:           8
        .value_kind:     global_buffer
      - .actual_access:  read_only
        .address_space:  global
        .offset:         8
        .size:           8
        .value_kind:     global_buffer
      - .actual_access:  read_only
        .address_space:  global
        .offset:         16
        .size:           8
        .value_kind:     global_buffer
      - .actual_access:  read_only
        .address_space:  global
        .offset:         24
        .size:           8
        .value_kind:     global_buffer
      - .actual_access:  read_only
        .address_space:  global
        .offset:         32
        .size:           8
        .value_kind:     global_buffer
      - .actual_access:  read_only
        .address_space:  global
        .offset:         40
        .size:           8
        .value_kind:     global_buffer
      - .offset:         48
        .size:           4
        .value_kind:     by_value
      - .offset:         52
        .size:           4
        .value_kind:     by_value
      - .offset:         56
        .size:           4
        .value_kind:     by_value
      - .offset:         60
        .size:           4
        .value_kind:     by_value
      - .offset:         64
        .size:           4
        .value_kind:     by_value
      - .offset:         68
        .size:           4
        .value_kind:     by_value
      - .offset:         72
        .size:           4
        .value_kind:     by_value
      - .offset:         76
        .size:           4
        .value_kind:     by_value
      - .offset:         80
        .size:           4
        .value_kind:     by_value
      - .offset:         84
        .size:           4
        .value_kind:     by_value
      - .offset:         88
        .size:           4
        .value_kind:     by_value
      - .offset:         92
        .size:           4
        .value_kind:     by_value
      - .offset:         96
        .size:           4
        .value_kind:     by_value
      - .offset:         100
        .size:           4
        .value_kind:     by_value
      - .offset:         104
        .size:           12
        .value_kind:     by_value
      - .offset:         116
        .size:           12
        .value_kind:     by_value
      - .offset:         128
        .size:           4
        .value_kind:     hidden_block_count_x
      - .offset:         132
        .size:           4
        .value_kind:     hidden_block_count_y
      - .offset:         136
        .size:           4
        .value_kind:     hidden_block_count_z
      - .offset:         140
        .size:           2
        .value_kind:     hidden_group_size_x
      - .offset:         142
        .size:           2
        .value_kind:     hidden_group_size_y
      - .offset:         144
        .size:           2
        .value_kind:     hidden_group_size_z
      - .offset:         146
        .size:           2
        .value_kind:     hidden_remainder_x
      - .offset:         148
        .size:           2
        .value_kind:     hidden_remainder_y
      - .offset:         150
        .size:           2
        .value_kind:     hidden_remainder_z
      - .offset:         168
        .size:           8
        .value_kind:     hidden_global_offset_x
      - .offset:         176
        .size:           8
        .value_kind:     hidden_global_offset_y
      - .offset:         184
        .size:           8
        .value_kind:     hidden_global_offset_z
      - .offset:         192
        .size:           2
        .value_kind:     hidden_grid_dims
      - .offset:         208
        .size:           8
        .value_kind:     hidden_hostcall_buffer
    .group_segment_fixed_size: 0
    .kernarg_segment_align: 8
    .kernarg_segment_size: 384
    .language:       OpenCL C
    .language_version:
      - 2
      - 0
    .max_flat_workgroup_size: 96
    .name:           _ZL13mul_mat_f_idsI15__hip_bfloat162Li64ELi11ELi3EEvPKT_PKfPKiS7_S7_Pfiiiiiiiiiiiiii15HIP_vector_typeIjLj3EESA_
    .private_segment_fixed_size: 16
    .sgpr_count:     36
    .sgpr_spill_count: 0
    .symbol:         _ZL13mul_mat_f_idsI15__hip_bfloat162Li64ELi11ELi3EEvPKT_PKfPKiS7_S7_Pfiiiiiiiiiiiiii15HIP_vector_typeIjLj3EESA_.kd
    .uniform_work_group_size: 1
    .uses_dynamic_stack: false
    .vgpr_count:     38
    .vgpr_spill_count: 0
    .wavefront_size: 32
    .workgroup_processor_mode: 1
  - .args:
      - .actual_access:  read_only
        .address_space:  global
        .offset:         0
        .size:           8
        .value_kind:     global_buffer
      - .actual_access:  read_only
        .address_space:  global
        .offset:         8
        .size:           8
        .value_kind:     global_buffer
      - .actual_access:  read_only
        .address_space:  global
        .offset:         16
        .size:           8
        .value_kind:     global_buffer
      - .actual_access:  read_only
        .address_space:  global
        .offset:         24
        .size:           8
        .value_kind:     global_buffer
      - .offset:         32
        .size:           4
        .value_kind:     by_value
      - .offset:         36
        .size:           4
        .value_kind:     by_value
      - .offset:         40
        .size:           4
        .value_kind:     by_value
      - .offset:         44
        .size:           4
        .value_kind:     by_value
      - .offset:         48
        .size:           4
        .value_kind:     by_value
      - .offset:         52
        .size:           4
        .value_kind:     by_value
      - .offset:         56
        .size:           4
        .value_kind:     by_value
      - .offset:         60
        .size:           4
        .value_kind:     by_value
      - .offset:         64
        .size:           4
        .value_kind:     by_value
      - .offset:         68
        .size:           4
        .value_kind:     by_value
      - .offset:         72
        .size:           4
        .value_kind:     by_value
      - .offset:         76
        .size:           4
        .value_kind:     by_value
      - .offset:         80
        .size:           4
        .value_kind:     by_value
      - .offset:         84
        .size:           4
        .value_kind:     by_value
      - .offset:         88
        .size:           4
        .value_kind:     by_value
      - .offset:         92
        .size:           4
        .value_kind:     by_value
      - .offset:         96
        .size:           4
        .value_kind:     hidden_block_count_x
      - .offset:         100
        .size:           4
        .value_kind:     hidden_block_count_y
      - .offset:         104
        .size:           4
        .value_kind:     hidden_block_count_z
      - .offset:         108
        .size:           2
        .value_kind:     hidden_group_size_x
      - .offset:         110
        .size:           2
        .value_kind:     hidden_group_size_y
      - .offset:         112
        .size:           2
        .value_kind:     hidden_group_size_z
      - .offset:         114
        .size:           2
        .value_kind:     hidden_remainder_x
      - .offset:         116
        .size:           2
        .value_kind:     hidden_remainder_y
      - .offset:         118
        .size:           2
        .value_kind:     hidden_remainder_z
      - .offset:         136
        .size:           8
        .value_kind:     hidden_global_offset_x
      - .offset:         144
        .size:           8
        .value_kind:     hidden_global_offset_y
      - .offset:         152
        .size:           8
        .value_kind:     hidden_global_offset_z
      - .offset:         160
        .size:           2
        .value_kind:     hidden_grid_dims
      - .offset:         176
        .size:           8
        .value_kind:     hidden_hostcall_buffer
    .group_segment_fixed_size: 0
    .kernarg_segment_align: 8
    .kernarg_segment_size: 352
    .language:       OpenCL C
    .language_version:
      - 2
      - 0
    .max_flat_workgroup_size: 96
    .name:           _ZL9mul_mat_fI15__hip_bfloat162Li64ELi11ELi3ELb1EEvPKT_PKfPKiPfiiiiiiiiiiiiiiii
    .private_segment_fixed_size: 16
    .sgpr_count:     36
    .sgpr_spill_count: 0
    .symbol:         _ZL9mul_mat_fI15__hip_bfloat162Li64ELi11ELi3ELb1EEvPKT_PKfPKiPfiiiiiiiiiiiiiiii.kd
    .uniform_work_group_size: 1
    .uses_dynamic_stack: false
    .vgpr_count:     38
    .vgpr_spill_count: 0
    .wavefront_size: 32
    .workgroup_processor_mode: 1
  - .args:
      - .actual_access:  read_only
        .address_space:  global
        .offset:         0
        .size:           8
        .value_kind:     global_buffer
      - .actual_access:  read_only
        .address_space:  global
        .offset:         8
        .size:           8
        .value_kind:     global_buffer
      - .actual_access:  read_only
        .address_space:  global
        .offset:         16
        .size:           8
        .value_kind:     global_buffer
      - .actual_access:  read_only
        .address_space:  global
        .offset:         24
        .size:           8
        .value_kind:     global_buffer
      - .offset:         32
        .size:           4
        .value_kind:     by_value
      - .offset:         36
        .size:           4
        .value_kind:     by_value
      - .offset:         40
        .size:           4
        .value_kind:     by_value
      - .offset:         44
        .size:           4
        .value_kind:     by_value
      - .offset:         48
        .size:           4
        .value_kind:     by_value
      - .offset:         52
        .size:           4
        .value_kind:     by_value
      - .offset:         56
        .size:           4
        .value_kind:     by_value
      - .offset:         60
        .size:           4
        .value_kind:     by_value
      - .offset:         64
        .size:           4
        .value_kind:     by_value
      - .offset:         68
        .size:           4
        .value_kind:     by_value
      - .offset:         72
        .size:           4
        .value_kind:     by_value
      - .offset:         76
        .size:           4
        .value_kind:     by_value
      - .offset:         80
        .size:           4
        .value_kind:     by_value
      - .offset:         84
        .size:           4
        .value_kind:     by_value
      - .offset:         88
        .size:           4
        .value_kind:     by_value
      - .offset:         92
        .size:           4
        .value_kind:     by_value
      - .offset:         96
        .size:           4
        .value_kind:     hidden_block_count_x
      - .offset:         100
        .size:           4
        .value_kind:     hidden_block_count_y
      - .offset:         104
        .size:           4
        .value_kind:     hidden_block_count_z
      - .offset:         108
        .size:           2
        .value_kind:     hidden_group_size_x
      - .offset:         110
        .size:           2
        .value_kind:     hidden_group_size_y
      - .offset:         112
        .size:           2
        .value_kind:     hidden_group_size_z
      - .offset:         114
        .size:           2
        .value_kind:     hidden_remainder_x
      - .offset:         116
        .size:           2
        .value_kind:     hidden_remainder_y
      - .offset:         118
        .size:           2
        .value_kind:     hidden_remainder_z
      - .offset:         136
        .size:           8
        .value_kind:     hidden_global_offset_x
      - .offset:         144
        .size:           8
        .value_kind:     hidden_global_offset_y
      - .offset:         152
        .size:           8
        .value_kind:     hidden_global_offset_z
      - .offset:         160
        .size:           2
        .value_kind:     hidden_grid_dims
      - .offset:         176
        .size:           8
        .value_kind:     hidden_hostcall_buffer
    .group_segment_fixed_size: 0
    .kernarg_segment_align: 8
    .kernarg_segment_size: 352
    .language:       OpenCL C
    .language_version:
      - 2
      - 0
    .max_flat_workgroup_size: 96
    .name:           _ZL9mul_mat_fI15__hip_bfloat162Li64ELi11ELi3ELb0EEvPKT_PKfPKiPfiiiiiiiiiiiiiiii
    .private_segment_fixed_size: 16
    .sgpr_count:     36
    .sgpr_spill_count: 0
    .symbol:         _ZL9mul_mat_fI15__hip_bfloat162Li64ELi11ELi3ELb0EEvPKT_PKfPKiPfiiiiiiiiiiiiiiii.kd
    .uniform_work_group_size: 1
    .uses_dynamic_stack: false
    .vgpr_count:     38
    .vgpr_spill_count: 0
    .wavefront_size: 32
    .workgroup_processor_mode: 1
  - .args:
      - .actual_access:  read_only
        .address_space:  global
        .offset:         0
        .size:           8
        .value_kind:     global_buffer
      - .actual_access:  read_only
        .address_space:  global
        .offset:         8
        .size:           8
        .value_kind:     global_buffer
      - .actual_access:  read_only
        .address_space:  global
        .offset:         16
        .size:           8
        .value_kind:     global_buffer
      - .actual_access:  read_only
        .address_space:  global
        .offset:         24
        .size:           8
        .value_kind:     global_buffer
      - .actual_access:  read_only
        .address_space:  global
        .offset:         32
        .size:           8
        .value_kind:     global_buffer
      - .actual_access:  read_only
        .address_space:  global
        .offset:         40
        .size:           8
        .value_kind:     global_buffer
      - .offset:         48
        .size:           4
        .value_kind:     by_value
      - .offset:         52
        .size:           4
        .value_kind:     by_value
      - .offset:         56
        .size:           4
        .value_kind:     by_value
      - .offset:         60
        .size:           4
        .value_kind:     by_value
      - .offset:         64
        .size:           4
        .value_kind:     by_value
      - .offset:         68
        .size:           4
        .value_kind:     by_value
      - .offset:         72
        .size:           4
        .value_kind:     by_value
      - .offset:         76
        .size:           4
        .value_kind:     by_value
      - .offset:         80
        .size:           4
        .value_kind:     by_value
      - .offset:         84
        .size:           4
        .value_kind:     by_value
      - .offset:         88
        .size:           4
        .value_kind:     by_value
      - .offset:         92
        .size:           4
        .value_kind:     by_value
      - .offset:         96
        .size:           4
        .value_kind:     by_value
      - .offset:         100
        .size:           4
        .value_kind:     by_value
      - .offset:         104
        .size:           12
        .value_kind:     by_value
      - .offset:         116
        .size:           12
        .value_kind:     by_value
      - .offset:         128
        .size:           4
        .value_kind:     hidden_block_count_x
      - .offset:         132
        .size:           4
        .value_kind:     hidden_block_count_y
      - .offset:         136
        .size:           4
        .value_kind:     hidden_block_count_z
      - .offset:         140
        .size:           2
        .value_kind:     hidden_group_size_x
      - .offset:         142
        .size:           2
        .value_kind:     hidden_group_size_y
      - .offset:         144
        .size:           2
        .value_kind:     hidden_group_size_z
      - .offset:         146
        .size:           2
        .value_kind:     hidden_remainder_x
      - .offset:         148
        .size:           2
        .value_kind:     hidden_remainder_y
      - .offset:         150
        .size:           2
        .value_kind:     hidden_remainder_z
      - .offset:         168
        .size:           8
        .value_kind:     hidden_global_offset_x
      - .offset:         176
        .size:           8
        .value_kind:     hidden_global_offset_y
      - .offset:         184
        .size:           8
        .value_kind:     hidden_global_offset_z
      - .offset:         192
        .size:           2
        .value_kind:     hidden_grid_dims
      - .offset:         208
        .size:           8
        .value_kind:     hidden_hostcall_buffer
    .group_segment_fixed_size: 0
    .kernarg_segment_align: 8
    .kernarg_segment_size: 384
    .language:       OpenCL C
    .language_version:
      - 2
      - 0
    .max_flat_workgroup_size: 128
    .name:           _ZL13mul_mat_f_idsI15__hip_bfloat162Li64ELi11ELi4EEvPKT_PKfPKiS7_S7_Pfiiiiiiiiiiiiii15HIP_vector_typeIjLj3EESA_
    .private_segment_fixed_size: 16
    .sgpr_count:     36
    .sgpr_spill_count: 0
    .symbol:         _ZL13mul_mat_f_idsI15__hip_bfloat162Li64ELi11ELi4EEvPKT_PKfPKiS7_S7_Pfiiiiiiiiiiiiii15HIP_vector_typeIjLj3EESA_.kd
    .uniform_work_group_size: 1
    .uses_dynamic_stack: false
    .vgpr_count:     38
    .vgpr_spill_count: 0
    .wavefront_size: 32
    .workgroup_processor_mode: 1
  - .args:
      - .actual_access:  read_only
        .address_space:  global
        .offset:         0
        .size:           8
        .value_kind:     global_buffer
      - .actual_access:  read_only
        .address_space:  global
        .offset:         8
        .size:           8
        .value_kind:     global_buffer
      - .actual_access:  read_only
        .address_space:  global
        .offset:         16
        .size:           8
        .value_kind:     global_buffer
      - .actual_access:  read_only
        .address_space:  global
        .offset:         24
        .size:           8
        .value_kind:     global_buffer
      - .offset:         32
        .size:           4
        .value_kind:     by_value
      - .offset:         36
        .size:           4
        .value_kind:     by_value
      - .offset:         40
        .size:           4
        .value_kind:     by_value
      - .offset:         44
        .size:           4
        .value_kind:     by_value
      - .offset:         48
        .size:           4
        .value_kind:     by_value
      - .offset:         52
        .size:           4
        .value_kind:     by_value
      - .offset:         56
        .size:           4
        .value_kind:     by_value
      - .offset:         60
        .size:           4
        .value_kind:     by_value
      - .offset:         64
        .size:           4
        .value_kind:     by_value
      - .offset:         68
        .size:           4
        .value_kind:     by_value
      - .offset:         72
        .size:           4
        .value_kind:     by_value
      - .offset:         76
        .size:           4
        .value_kind:     by_value
      - .offset:         80
        .size:           4
        .value_kind:     by_value
      - .offset:         84
        .size:           4
        .value_kind:     by_value
      - .offset:         88
        .size:           4
        .value_kind:     by_value
      - .offset:         92
        .size:           4
        .value_kind:     by_value
      - .offset:         96
        .size:           4
        .value_kind:     hidden_block_count_x
      - .offset:         100
        .size:           4
        .value_kind:     hidden_block_count_y
      - .offset:         104
        .size:           4
        .value_kind:     hidden_block_count_z
      - .offset:         108
        .size:           2
        .value_kind:     hidden_group_size_x
      - .offset:         110
        .size:           2
        .value_kind:     hidden_group_size_y
      - .offset:         112
        .size:           2
        .value_kind:     hidden_group_size_z
      - .offset:         114
        .size:           2
        .value_kind:     hidden_remainder_x
      - .offset:         116
        .size:           2
        .value_kind:     hidden_remainder_y
      - .offset:         118
        .size:           2
        .value_kind:     hidden_remainder_z
      - .offset:         136
        .size:           8
        .value_kind:     hidden_global_offset_x
      - .offset:         144
        .size:           8
        .value_kind:     hidden_global_offset_y
      - .offset:         152
        .size:           8
        .value_kind:     hidden_global_offset_z
      - .offset:         160
        .size:           2
        .value_kind:     hidden_grid_dims
      - .offset:         176
        .size:           8
        .value_kind:     hidden_hostcall_buffer
    .group_segment_fixed_size: 0
    .kernarg_segment_align: 8
    .kernarg_segment_size: 352
    .language:       OpenCL C
    .language_version:
      - 2
      - 0
    .max_flat_workgroup_size: 128
    .name:           _ZL9mul_mat_fI15__hip_bfloat162Li64ELi11ELi4ELb1EEvPKT_PKfPKiPfiiiiiiiiiiiiiiii
    .private_segment_fixed_size: 16
    .sgpr_count:     36
    .sgpr_spill_count: 0
    .symbol:         _ZL9mul_mat_fI15__hip_bfloat162Li64ELi11ELi4ELb1EEvPKT_PKfPKiPfiiiiiiiiiiiiiiii.kd
    .uniform_work_group_size: 1
    .uses_dynamic_stack: false
    .vgpr_count:     38
    .vgpr_spill_count: 0
    .wavefront_size: 32
    .workgroup_processor_mode: 1
  - .args:
      - .actual_access:  read_only
        .address_space:  global
        .offset:         0
        .size:           8
        .value_kind:     global_buffer
      - .actual_access:  read_only
        .address_space:  global
        .offset:         8
        .size:           8
        .value_kind:     global_buffer
      - .actual_access:  read_only
        .address_space:  global
        .offset:         16
        .size:           8
        .value_kind:     global_buffer
      - .actual_access:  read_only
        .address_space:  global
        .offset:         24
        .size:           8
        .value_kind:     global_buffer
      - .offset:         32
        .size:           4
        .value_kind:     by_value
      - .offset:         36
        .size:           4
        .value_kind:     by_value
      - .offset:         40
        .size:           4
        .value_kind:     by_value
      - .offset:         44
        .size:           4
        .value_kind:     by_value
      - .offset:         48
        .size:           4
        .value_kind:     by_value
      - .offset:         52
        .size:           4
        .value_kind:     by_value
      - .offset:         56
        .size:           4
        .value_kind:     by_value
      - .offset:         60
        .size:           4
        .value_kind:     by_value
      - .offset:         64
        .size:           4
        .value_kind:     by_value
      - .offset:         68
        .size:           4
        .value_kind:     by_value
      - .offset:         72
        .size:           4
        .value_kind:     by_value
      - .offset:         76
        .size:           4
        .value_kind:     by_value
      - .offset:         80
        .size:           4
        .value_kind:     by_value
      - .offset:         84
        .size:           4
        .value_kind:     by_value
      - .offset:         88
        .size:           4
        .value_kind:     by_value
      - .offset:         92
        .size:           4
        .value_kind:     by_value
      - .offset:         96
        .size:           4
        .value_kind:     hidden_block_count_x
      - .offset:         100
        .size:           4
        .value_kind:     hidden_block_count_y
      - .offset:         104
        .size:           4
        .value_kind:     hidden_block_count_z
      - .offset:         108
        .size:           2
        .value_kind:     hidden_group_size_x
      - .offset:         110
        .size:           2
        .value_kind:     hidden_group_size_y
      - .offset:         112
        .size:           2
        .value_kind:     hidden_group_size_z
      - .offset:         114
        .size:           2
        .value_kind:     hidden_remainder_x
      - .offset:         116
        .size:           2
        .value_kind:     hidden_remainder_y
      - .offset:         118
        .size:           2
        .value_kind:     hidden_remainder_z
      - .offset:         136
        .size:           8
        .value_kind:     hidden_global_offset_x
      - .offset:         144
        .size:           8
        .value_kind:     hidden_global_offset_y
      - .offset:         152
        .size:           8
        .value_kind:     hidden_global_offset_z
      - .offset:         160
        .size:           2
        .value_kind:     hidden_grid_dims
      - .offset:         176
        .size:           8
        .value_kind:     hidden_hostcall_buffer
    .group_segment_fixed_size: 0
    .kernarg_segment_align: 8
    .kernarg_segment_size: 352
    .language:       OpenCL C
    .language_version:
      - 2
      - 0
    .max_flat_workgroup_size: 128
    .name:           _ZL9mul_mat_fI15__hip_bfloat162Li64ELi11ELi4ELb0EEvPKT_PKfPKiPfiiiiiiiiiiiiiiii
    .private_segment_fixed_size: 16
    .sgpr_count:     36
    .sgpr_spill_count: 0
    .symbol:         _ZL9mul_mat_fI15__hip_bfloat162Li64ELi11ELi4ELb0EEvPKT_PKfPKiPfiiiiiiiiiiiiiiii.kd
    .uniform_work_group_size: 1
    .uses_dynamic_stack: false
    .vgpr_count:     38
    .vgpr_spill_count: 0
    .wavefront_size: 32
    .workgroup_processor_mode: 1
  - .args:
      - .actual_access:  read_only
        .address_space:  global
        .offset:         0
        .size:           8
        .value_kind:     global_buffer
      - .actual_access:  read_only
        .address_space:  global
        .offset:         8
        .size:           8
        .value_kind:     global_buffer
      - .actual_access:  read_only
        .address_space:  global
        .offset:         16
        .size:           8
        .value_kind:     global_buffer
      - .actual_access:  read_only
        .address_space:  global
        .offset:         24
        .size:           8
        .value_kind:     global_buffer
      - .actual_access:  read_only
        .address_space:  global
        .offset:         32
        .size:           8
        .value_kind:     global_buffer
      - .actual_access:  read_only
        .address_space:  global
        .offset:         40
        .size:           8
        .value_kind:     global_buffer
      - .offset:         48
        .size:           4
        .value_kind:     by_value
      - .offset:         52
        .size:           4
        .value_kind:     by_value
      - .offset:         56
        .size:           4
        .value_kind:     by_value
      - .offset:         60
        .size:           4
        .value_kind:     by_value
      - .offset:         64
        .size:           4
        .value_kind:     by_value
      - .offset:         68
        .size:           4
        .value_kind:     by_value
      - .offset:         72
        .size:           4
        .value_kind:     by_value
      - .offset:         76
        .size:           4
        .value_kind:     by_value
      - .offset:         80
        .size:           4
        .value_kind:     by_value
      - .offset:         84
        .size:           4
        .value_kind:     by_value
      - .offset:         88
        .size:           4
        .value_kind:     by_value
      - .offset:         92
        .size:           4
        .value_kind:     by_value
      - .offset:         96
        .size:           4
        .value_kind:     by_value
      - .offset:         100
        .size:           4
        .value_kind:     by_value
      - .offset:         104
        .size:           12
        .value_kind:     by_value
      - .offset:         116
        .size:           12
        .value_kind:     by_value
      - .offset:         128
        .size:           4
        .value_kind:     hidden_block_count_x
      - .offset:         132
        .size:           4
        .value_kind:     hidden_block_count_y
      - .offset:         136
        .size:           4
        .value_kind:     hidden_block_count_z
      - .offset:         140
        .size:           2
        .value_kind:     hidden_group_size_x
      - .offset:         142
        .size:           2
        .value_kind:     hidden_group_size_y
      - .offset:         144
        .size:           2
        .value_kind:     hidden_group_size_z
      - .offset:         146
        .size:           2
        .value_kind:     hidden_remainder_x
      - .offset:         148
        .size:           2
        .value_kind:     hidden_remainder_y
      - .offset:         150
        .size:           2
        .value_kind:     hidden_remainder_z
      - .offset:         168
        .size:           8
        .value_kind:     hidden_global_offset_x
      - .offset:         176
        .size:           8
        .value_kind:     hidden_global_offset_y
      - .offset:         184
        .size:           8
        .value_kind:     hidden_global_offset_z
      - .offset:         192
        .size:           2
        .value_kind:     hidden_grid_dims
      - .offset:         208
        .size:           8
        .value_kind:     hidden_hostcall_buffer
    .group_segment_fixed_size: 0
    .kernarg_segment_align: 8
    .kernarg_segment_size: 384
    .language:       OpenCL C
    .language_version:
      - 2
      - 0
    .max_flat_workgroup_size: 160
    .name:           _ZL13mul_mat_f_idsI15__hip_bfloat162Li64ELi11ELi5EEvPKT_PKfPKiS7_S7_Pfiiiiiiiiiiiiii15HIP_vector_typeIjLj3EESA_
    .private_segment_fixed_size: 16
    .sgpr_count:     36
    .sgpr_spill_count: 0
    .symbol:         _ZL13mul_mat_f_idsI15__hip_bfloat162Li64ELi11ELi5EEvPKT_PKfPKiS7_S7_Pfiiiiiiiiiiiiii15HIP_vector_typeIjLj3EESA_.kd
    .uniform_work_group_size: 1
    .uses_dynamic_stack: false
    .vgpr_count:     38
    .vgpr_spill_count: 0
    .wavefront_size: 32
    .workgroup_processor_mode: 1
  - .args:
      - .actual_access:  read_only
        .address_space:  global
        .offset:         0
        .size:           8
        .value_kind:     global_buffer
      - .actual_access:  read_only
        .address_space:  global
        .offset:         8
        .size:           8
        .value_kind:     global_buffer
      - .actual_access:  read_only
        .address_space:  global
        .offset:         16
        .size:           8
        .value_kind:     global_buffer
      - .actual_access:  read_only
        .address_space:  global
        .offset:         24
        .size:           8
        .value_kind:     global_buffer
      - .offset:         32
        .size:           4
        .value_kind:     by_value
      - .offset:         36
        .size:           4
        .value_kind:     by_value
      - .offset:         40
        .size:           4
        .value_kind:     by_value
      - .offset:         44
        .size:           4
        .value_kind:     by_value
      - .offset:         48
        .size:           4
        .value_kind:     by_value
      - .offset:         52
        .size:           4
        .value_kind:     by_value
      - .offset:         56
        .size:           4
        .value_kind:     by_value
      - .offset:         60
        .size:           4
        .value_kind:     by_value
      - .offset:         64
        .size:           4
        .value_kind:     by_value
      - .offset:         68
        .size:           4
        .value_kind:     by_value
      - .offset:         72
        .size:           4
        .value_kind:     by_value
      - .offset:         76
        .size:           4
        .value_kind:     by_value
      - .offset:         80
        .size:           4
        .value_kind:     by_value
      - .offset:         84
        .size:           4
        .value_kind:     by_value
      - .offset:         88
        .size:           4
        .value_kind:     by_value
      - .offset:         92
        .size:           4
        .value_kind:     by_value
      - .offset:         96
        .size:           4
        .value_kind:     hidden_block_count_x
      - .offset:         100
        .size:           4
        .value_kind:     hidden_block_count_y
      - .offset:         104
        .size:           4
        .value_kind:     hidden_block_count_z
      - .offset:         108
        .size:           2
        .value_kind:     hidden_group_size_x
      - .offset:         110
        .size:           2
        .value_kind:     hidden_group_size_y
      - .offset:         112
        .size:           2
        .value_kind:     hidden_group_size_z
      - .offset:         114
        .size:           2
        .value_kind:     hidden_remainder_x
      - .offset:         116
        .size:           2
        .value_kind:     hidden_remainder_y
      - .offset:         118
        .size:           2
        .value_kind:     hidden_remainder_z
      - .offset:         136
        .size:           8
        .value_kind:     hidden_global_offset_x
      - .offset:         144
        .size:           8
        .value_kind:     hidden_global_offset_y
      - .offset:         152
        .size:           8
        .value_kind:     hidden_global_offset_z
      - .offset:         160
        .size:           2
        .value_kind:     hidden_grid_dims
      - .offset:         176
        .size:           8
        .value_kind:     hidden_hostcall_buffer
    .group_segment_fixed_size: 0
    .kernarg_segment_align: 8
    .kernarg_segment_size: 352
    .language:       OpenCL C
    .language_version:
      - 2
      - 0
    .max_flat_workgroup_size: 160
    .name:           _ZL9mul_mat_fI15__hip_bfloat162Li64ELi11ELi5ELb1EEvPKT_PKfPKiPfiiiiiiiiiiiiiiii
    .private_segment_fixed_size: 16
    .sgpr_count:     36
    .sgpr_spill_count: 0
    .symbol:         _ZL9mul_mat_fI15__hip_bfloat162Li64ELi11ELi5ELb1EEvPKT_PKfPKiPfiiiiiiiiiiiiiiii.kd
    .uniform_work_group_size: 1
    .uses_dynamic_stack: false
    .vgpr_count:     38
    .vgpr_spill_count: 0
    .wavefront_size: 32
    .workgroup_processor_mode: 1
  - .args:
      - .actual_access:  read_only
        .address_space:  global
        .offset:         0
        .size:           8
        .value_kind:     global_buffer
      - .actual_access:  read_only
        .address_space:  global
        .offset:         8
        .size:           8
        .value_kind:     global_buffer
      - .actual_access:  read_only
        .address_space:  global
        .offset:         16
        .size:           8
        .value_kind:     global_buffer
      - .actual_access:  read_only
        .address_space:  global
        .offset:         24
        .size:           8
        .value_kind:     global_buffer
      - .offset:         32
        .size:           4
        .value_kind:     by_value
      - .offset:         36
        .size:           4
        .value_kind:     by_value
      - .offset:         40
        .size:           4
        .value_kind:     by_value
      - .offset:         44
        .size:           4
        .value_kind:     by_value
      - .offset:         48
        .size:           4
        .value_kind:     by_value
      - .offset:         52
        .size:           4
        .value_kind:     by_value
      - .offset:         56
        .size:           4
        .value_kind:     by_value
      - .offset:         60
        .size:           4
        .value_kind:     by_value
      - .offset:         64
        .size:           4
        .value_kind:     by_value
      - .offset:         68
        .size:           4
        .value_kind:     by_value
      - .offset:         72
        .size:           4
        .value_kind:     by_value
      - .offset:         76
        .size:           4
        .value_kind:     by_value
      - .offset:         80
        .size:           4
        .value_kind:     by_value
      - .offset:         84
        .size:           4
        .value_kind:     by_value
      - .offset:         88
        .size:           4
        .value_kind:     by_value
      - .offset:         92
        .size:           4
        .value_kind:     by_value
      - .offset:         96
        .size:           4
        .value_kind:     hidden_block_count_x
      - .offset:         100
        .size:           4
        .value_kind:     hidden_block_count_y
      - .offset:         104
        .size:           4
        .value_kind:     hidden_block_count_z
      - .offset:         108
        .size:           2
        .value_kind:     hidden_group_size_x
      - .offset:         110
        .size:           2
        .value_kind:     hidden_group_size_y
      - .offset:         112
        .size:           2
        .value_kind:     hidden_group_size_z
      - .offset:         114
        .size:           2
        .value_kind:     hidden_remainder_x
      - .offset:         116
        .size:           2
        .value_kind:     hidden_remainder_y
      - .offset:         118
        .size:           2
        .value_kind:     hidden_remainder_z
      - .offset:         136
        .size:           8
        .value_kind:     hidden_global_offset_x
      - .offset:         144
        .size:           8
        .value_kind:     hidden_global_offset_y
      - .offset:         152
        .size:           8
        .value_kind:     hidden_global_offset_z
      - .offset:         160
        .size:           2
        .value_kind:     hidden_grid_dims
      - .offset:         176
        .size:           8
        .value_kind:     hidden_hostcall_buffer
    .group_segment_fixed_size: 0
    .kernarg_segment_align: 8
    .kernarg_segment_size: 352
    .language:       OpenCL C
    .language_version:
      - 2
      - 0
    .max_flat_workgroup_size: 160
    .name:           _ZL9mul_mat_fI15__hip_bfloat162Li64ELi11ELi5ELb0EEvPKT_PKfPKiPfiiiiiiiiiiiiiiii
    .private_segment_fixed_size: 16
    .sgpr_count:     36
    .sgpr_spill_count: 0
    .symbol:         _ZL9mul_mat_fI15__hip_bfloat162Li64ELi11ELi5ELb0EEvPKT_PKfPKiPfiiiiiiiiiiiiiiii.kd
    .uniform_work_group_size: 1
    .uses_dynamic_stack: false
    .vgpr_count:     38
    .vgpr_spill_count: 0
    .wavefront_size: 32
    .workgroup_processor_mode: 1
  - .args:
      - .actual_access:  read_only
        .address_space:  global
        .offset:         0
        .size:           8
        .value_kind:     global_buffer
      - .actual_access:  read_only
        .address_space:  global
        .offset:         8
        .size:           8
        .value_kind:     global_buffer
      - .actual_access:  read_only
        .address_space:  global
        .offset:         16
        .size:           8
        .value_kind:     global_buffer
      - .actual_access:  read_only
        .address_space:  global
        .offset:         24
        .size:           8
        .value_kind:     global_buffer
      - .actual_access:  read_only
        .address_space:  global
        .offset:         32
        .size:           8
        .value_kind:     global_buffer
      - .actual_access:  read_only
        .address_space:  global
        .offset:         40
        .size:           8
        .value_kind:     global_buffer
      - .offset:         48
        .size:           4
        .value_kind:     by_value
      - .offset:         52
        .size:           4
        .value_kind:     by_value
      - .offset:         56
        .size:           4
        .value_kind:     by_value
      - .offset:         60
        .size:           4
        .value_kind:     by_value
      - .offset:         64
        .size:           4
        .value_kind:     by_value
      - .offset:         68
        .size:           4
        .value_kind:     by_value
      - .offset:         72
        .size:           4
        .value_kind:     by_value
      - .offset:         76
        .size:           4
        .value_kind:     by_value
      - .offset:         80
        .size:           4
        .value_kind:     by_value
      - .offset:         84
        .size:           4
        .value_kind:     by_value
      - .offset:         88
        .size:           4
        .value_kind:     by_value
      - .offset:         92
        .size:           4
        .value_kind:     by_value
      - .offset:         96
        .size:           4
        .value_kind:     by_value
      - .offset:         100
        .size:           4
        .value_kind:     by_value
      - .offset:         104
        .size:           12
        .value_kind:     by_value
      - .offset:         116
        .size:           12
        .value_kind:     by_value
      - .offset:         128
        .size:           4
        .value_kind:     hidden_block_count_x
      - .offset:         132
        .size:           4
        .value_kind:     hidden_block_count_y
      - .offset:         136
        .size:           4
        .value_kind:     hidden_block_count_z
      - .offset:         140
        .size:           2
        .value_kind:     hidden_group_size_x
      - .offset:         142
        .size:           2
        .value_kind:     hidden_group_size_y
      - .offset:         144
        .size:           2
        .value_kind:     hidden_group_size_z
      - .offset:         146
        .size:           2
        .value_kind:     hidden_remainder_x
      - .offset:         148
        .size:           2
        .value_kind:     hidden_remainder_y
      - .offset:         150
        .size:           2
        .value_kind:     hidden_remainder_z
      - .offset:         168
        .size:           8
        .value_kind:     hidden_global_offset_x
      - .offset:         176
        .size:           8
        .value_kind:     hidden_global_offset_y
      - .offset:         184
        .size:           8
        .value_kind:     hidden_global_offset_z
      - .offset:         192
        .size:           2
        .value_kind:     hidden_grid_dims
      - .offset:         208
        .size:           8
        .value_kind:     hidden_hostcall_buffer
    .group_segment_fixed_size: 0
    .kernarg_segment_align: 8
    .kernarg_segment_size: 384
    .language:       OpenCL C
    .language_version:
      - 2
      - 0
    .max_flat_workgroup_size: 192
    .name:           _ZL13mul_mat_f_idsI15__hip_bfloat162Li64ELi11ELi6EEvPKT_PKfPKiS7_S7_Pfiiiiiiiiiiiiii15HIP_vector_typeIjLj3EESA_
    .private_segment_fixed_size: 16
    .sgpr_count:     36
    .sgpr_spill_count: 0
    .symbol:         _ZL13mul_mat_f_idsI15__hip_bfloat162Li64ELi11ELi6EEvPKT_PKfPKiS7_S7_Pfiiiiiiiiiiiiii15HIP_vector_typeIjLj3EESA_.kd
    .uniform_work_group_size: 1
    .uses_dynamic_stack: false
    .vgpr_count:     38
    .vgpr_spill_count: 0
    .wavefront_size: 32
    .workgroup_processor_mode: 1
  - .args:
      - .actual_access:  read_only
        .address_space:  global
        .offset:         0
        .size:           8
        .value_kind:     global_buffer
      - .actual_access:  read_only
        .address_space:  global
        .offset:         8
        .size:           8
        .value_kind:     global_buffer
      - .actual_access:  read_only
        .address_space:  global
        .offset:         16
        .size:           8
        .value_kind:     global_buffer
      - .actual_access:  read_only
        .address_space:  global
        .offset:         24
        .size:           8
        .value_kind:     global_buffer
      - .offset:         32
        .size:           4
        .value_kind:     by_value
      - .offset:         36
        .size:           4
        .value_kind:     by_value
      - .offset:         40
        .size:           4
        .value_kind:     by_value
      - .offset:         44
        .size:           4
        .value_kind:     by_value
      - .offset:         48
        .size:           4
        .value_kind:     by_value
      - .offset:         52
        .size:           4
        .value_kind:     by_value
      - .offset:         56
        .size:           4
        .value_kind:     by_value
      - .offset:         60
        .size:           4
        .value_kind:     by_value
      - .offset:         64
        .size:           4
        .value_kind:     by_value
      - .offset:         68
        .size:           4
        .value_kind:     by_value
      - .offset:         72
        .size:           4
        .value_kind:     by_value
      - .offset:         76
        .size:           4
        .value_kind:     by_value
      - .offset:         80
        .size:           4
        .value_kind:     by_value
      - .offset:         84
        .size:           4
        .value_kind:     by_value
      - .offset:         88
        .size:           4
        .value_kind:     by_value
      - .offset:         92
        .size:           4
        .value_kind:     by_value
      - .offset:         96
        .size:           4
        .value_kind:     hidden_block_count_x
      - .offset:         100
        .size:           4
        .value_kind:     hidden_block_count_y
      - .offset:         104
        .size:           4
        .value_kind:     hidden_block_count_z
      - .offset:         108
        .size:           2
        .value_kind:     hidden_group_size_x
      - .offset:         110
        .size:           2
        .value_kind:     hidden_group_size_y
      - .offset:         112
        .size:           2
        .value_kind:     hidden_group_size_z
      - .offset:         114
        .size:           2
        .value_kind:     hidden_remainder_x
      - .offset:         116
        .size:           2
        .value_kind:     hidden_remainder_y
      - .offset:         118
        .size:           2
        .value_kind:     hidden_remainder_z
      - .offset:         136
        .size:           8
        .value_kind:     hidden_global_offset_x
      - .offset:         144
        .size:           8
        .value_kind:     hidden_global_offset_y
      - .offset:         152
        .size:           8
        .value_kind:     hidden_global_offset_z
      - .offset:         160
        .size:           2
        .value_kind:     hidden_grid_dims
      - .offset:         176
        .size:           8
        .value_kind:     hidden_hostcall_buffer
    .group_segment_fixed_size: 0
    .kernarg_segment_align: 8
    .kernarg_segment_size: 352
    .language:       OpenCL C
    .language_version:
      - 2
      - 0
    .max_flat_workgroup_size: 192
    .name:           _ZL9mul_mat_fI15__hip_bfloat162Li64ELi11ELi6ELb1EEvPKT_PKfPKiPfiiiiiiiiiiiiiiii
    .private_segment_fixed_size: 16
    .sgpr_count:     36
    .sgpr_spill_count: 0
    .symbol:         _ZL9mul_mat_fI15__hip_bfloat162Li64ELi11ELi6ELb1EEvPKT_PKfPKiPfiiiiiiiiiiiiiiii.kd
    .uniform_work_group_size: 1
    .uses_dynamic_stack: false
    .vgpr_count:     38
    .vgpr_spill_count: 0
    .wavefront_size: 32
    .workgroup_processor_mode: 1
  - .args:
      - .actual_access:  read_only
        .address_space:  global
        .offset:         0
        .size:           8
        .value_kind:     global_buffer
      - .actual_access:  read_only
        .address_space:  global
        .offset:         8
        .size:           8
        .value_kind:     global_buffer
      - .actual_access:  read_only
        .address_space:  global
        .offset:         16
        .size:           8
        .value_kind:     global_buffer
      - .actual_access:  read_only
        .address_space:  global
        .offset:         24
        .size:           8
        .value_kind:     global_buffer
      - .offset:         32
        .size:           4
        .value_kind:     by_value
      - .offset:         36
        .size:           4
        .value_kind:     by_value
      - .offset:         40
        .size:           4
        .value_kind:     by_value
      - .offset:         44
        .size:           4
        .value_kind:     by_value
      - .offset:         48
        .size:           4
        .value_kind:     by_value
      - .offset:         52
        .size:           4
        .value_kind:     by_value
      - .offset:         56
        .size:           4
        .value_kind:     by_value
      - .offset:         60
        .size:           4
        .value_kind:     by_value
      - .offset:         64
        .size:           4
        .value_kind:     by_value
      - .offset:         68
        .size:           4
        .value_kind:     by_value
      - .offset:         72
        .size:           4
        .value_kind:     by_value
      - .offset:         76
        .size:           4
        .value_kind:     by_value
      - .offset:         80
        .size:           4
        .value_kind:     by_value
      - .offset:         84
        .size:           4
        .value_kind:     by_value
      - .offset:         88
        .size:           4
        .value_kind:     by_value
      - .offset:         92
        .size:           4
        .value_kind:     by_value
      - .offset:         96
        .size:           4
        .value_kind:     hidden_block_count_x
      - .offset:         100
        .size:           4
        .value_kind:     hidden_block_count_y
      - .offset:         104
        .size:           4
        .value_kind:     hidden_block_count_z
      - .offset:         108
        .size:           2
        .value_kind:     hidden_group_size_x
      - .offset:         110
        .size:           2
        .value_kind:     hidden_group_size_y
      - .offset:         112
        .size:           2
        .value_kind:     hidden_group_size_z
      - .offset:         114
        .size:           2
        .value_kind:     hidden_remainder_x
      - .offset:         116
        .size:           2
        .value_kind:     hidden_remainder_y
      - .offset:         118
        .size:           2
        .value_kind:     hidden_remainder_z
      - .offset:         136
        .size:           8
        .value_kind:     hidden_global_offset_x
      - .offset:         144
        .size:           8
        .value_kind:     hidden_global_offset_y
      - .offset:         152
        .size:           8
        .value_kind:     hidden_global_offset_z
      - .offset:         160
        .size:           2
        .value_kind:     hidden_grid_dims
      - .offset:         176
        .size:           8
        .value_kind:     hidden_hostcall_buffer
    .group_segment_fixed_size: 0
    .kernarg_segment_align: 8
    .kernarg_segment_size: 352
    .language:       OpenCL C
    .language_version:
      - 2
      - 0
    .max_flat_workgroup_size: 192
    .name:           _ZL9mul_mat_fI15__hip_bfloat162Li64ELi11ELi6ELb0EEvPKT_PKfPKiPfiiiiiiiiiiiiiiii
    .private_segment_fixed_size: 16
    .sgpr_count:     36
    .sgpr_spill_count: 0
    .symbol:         _ZL9mul_mat_fI15__hip_bfloat162Li64ELi11ELi6ELb0EEvPKT_PKfPKiPfiiiiiiiiiiiiiiii.kd
    .uniform_work_group_size: 1
    .uses_dynamic_stack: false
    .vgpr_count:     38
    .vgpr_spill_count: 0
    .wavefront_size: 32
    .workgroup_processor_mode: 1
  - .args:
      - .actual_access:  read_only
        .address_space:  global
        .offset:         0
        .size:           8
        .value_kind:     global_buffer
      - .actual_access:  read_only
        .address_space:  global
        .offset:         8
        .size:           8
        .value_kind:     global_buffer
      - .actual_access:  read_only
        .address_space:  global
        .offset:         16
        .size:           8
        .value_kind:     global_buffer
      - .actual_access:  read_only
        .address_space:  global
        .offset:         24
        .size:           8
        .value_kind:     global_buffer
      - .actual_access:  read_only
        .address_space:  global
        .offset:         32
        .size:           8
        .value_kind:     global_buffer
      - .actual_access:  read_only
        .address_space:  global
        .offset:         40
        .size:           8
        .value_kind:     global_buffer
      - .offset:         48
        .size:           4
        .value_kind:     by_value
      - .offset:         52
        .size:           4
        .value_kind:     by_value
      - .offset:         56
        .size:           4
        .value_kind:     by_value
      - .offset:         60
        .size:           4
        .value_kind:     by_value
      - .offset:         64
        .size:           4
        .value_kind:     by_value
      - .offset:         68
        .size:           4
        .value_kind:     by_value
      - .offset:         72
        .size:           4
        .value_kind:     by_value
      - .offset:         76
        .size:           4
        .value_kind:     by_value
      - .offset:         80
        .size:           4
        .value_kind:     by_value
      - .offset:         84
        .size:           4
        .value_kind:     by_value
      - .offset:         88
        .size:           4
        .value_kind:     by_value
      - .offset:         92
        .size:           4
        .value_kind:     by_value
      - .offset:         96
        .size:           4
        .value_kind:     by_value
      - .offset:         100
        .size:           4
        .value_kind:     by_value
      - .offset:         104
        .size:           12
        .value_kind:     by_value
      - .offset:         116
        .size:           12
        .value_kind:     by_value
      - .offset:         128
        .size:           4
        .value_kind:     hidden_block_count_x
      - .offset:         132
        .size:           4
        .value_kind:     hidden_block_count_y
      - .offset:         136
        .size:           4
        .value_kind:     hidden_block_count_z
      - .offset:         140
        .size:           2
        .value_kind:     hidden_group_size_x
      - .offset:         142
        .size:           2
        .value_kind:     hidden_group_size_y
      - .offset:         144
        .size:           2
        .value_kind:     hidden_group_size_z
      - .offset:         146
        .size:           2
        .value_kind:     hidden_remainder_x
      - .offset:         148
        .size:           2
        .value_kind:     hidden_remainder_y
      - .offset:         150
        .size:           2
        .value_kind:     hidden_remainder_z
      - .offset:         168
        .size:           8
        .value_kind:     hidden_global_offset_x
      - .offset:         176
        .size:           8
        .value_kind:     hidden_global_offset_y
      - .offset:         184
        .size:           8
        .value_kind:     hidden_global_offset_z
      - .offset:         192
        .size:           2
        .value_kind:     hidden_grid_dims
      - .offset:         208
        .size:           8
        .value_kind:     hidden_hostcall_buffer
    .group_segment_fixed_size: 0
    .kernarg_segment_align: 8
    .kernarg_segment_size: 384
    .language:       OpenCL C
    .language_version:
      - 2
      - 0
    .max_flat_workgroup_size: 224
    .name:           _ZL13mul_mat_f_idsI15__hip_bfloat162Li64ELi11ELi7EEvPKT_PKfPKiS7_S7_Pfiiiiiiiiiiiiii15HIP_vector_typeIjLj3EESA_
    .private_segment_fixed_size: 16
    .sgpr_count:     36
    .sgpr_spill_count: 0
    .symbol:         _ZL13mul_mat_f_idsI15__hip_bfloat162Li64ELi11ELi7EEvPKT_PKfPKiS7_S7_Pfiiiiiiiiiiiiii15HIP_vector_typeIjLj3EESA_.kd
    .uniform_work_group_size: 1
    .uses_dynamic_stack: false
    .vgpr_count:     38
    .vgpr_spill_count: 0
    .wavefront_size: 32
    .workgroup_processor_mode: 1
  - .args:
      - .actual_access:  read_only
        .address_space:  global
        .offset:         0
        .size:           8
        .value_kind:     global_buffer
      - .actual_access:  read_only
        .address_space:  global
        .offset:         8
        .size:           8
        .value_kind:     global_buffer
      - .actual_access:  read_only
        .address_space:  global
        .offset:         16
        .size:           8
        .value_kind:     global_buffer
      - .actual_access:  read_only
        .address_space:  global
        .offset:         24
        .size:           8
        .value_kind:     global_buffer
      - .offset:         32
        .size:           4
        .value_kind:     by_value
      - .offset:         36
        .size:           4
        .value_kind:     by_value
      - .offset:         40
        .size:           4
        .value_kind:     by_value
      - .offset:         44
        .size:           4
        .value_kind:     by_value
      - .offset:         48
        .size:           4
        .value_kind:     by_value
      - .offset:         52
        .size:           4
        .value_kind:     by_value
      - .offset:         56
        .size:           4
        .value_kind:     by_value
      - .offset:         60
        .size:           4
        .value_kind:     by_value
      - .offset:         64
        .size:           4
        .value_kind:     by_value
      - .offset:         68
        .size:           4
        .value_kind:     by_value
      - .offset:         72
        .size:           4
        .value_kind:     by_value
      - .offset:         76
        .size:           4
        .value_kind:     by_value
      - .offset:         80
        .size:           4
        .value_kind:     by_value
      - .offset:         84
        .size:           4
        .value_kind:     by_value
      - .offset:         88
        .size:           4
        .value_kind:     by_value
      - .offset:         92
        .size:           4
        .value_kind:     by_value
      - .offset:         96
        .size:           4
        .value_kind:     hidden_block_count_x
      - .offset:         100
        .size:           4
        .value_kind:     hidden_block_count_y
      - .offset:         104
        .size:           4
        .value_kind:     hidden_block_count_z
      - .offset:         108
        .size:           2
        .value_kind:     hidden_group_size_x
      - .offset:         110
        .size:           2
        .value_kind:     hidden_group_size_y
      - .offset:         112
        .size:           2
        .value_kind:     hidden_group_size_z
      - .offset:         114
        .size:           2
        .value_kind:     hidden_remainder_x
      - .offset:         116
        .size:           2
        .value_kind:     hidden_remainder_y
      - .offset:         118
        .size:           2
        .value_kind:     hidden_remainder_z
      - .offset:         136
        .size:           8
        .value_kind:     hidden_global_offset_x
      - .offset:         144
        .size:           8
        .value_kind:     hidden_global_offset_y
      - .offset:         152
        .size:           8
        .value_kind:     hidden_global_offset_z
      - .offset:         160
        .size:           2
        .value_kind:     hidden_grid_dims
      - .offset:         176
        .size:           8
        .value_kind:     hidden_hostcall_buffer
    .group_segment_fixed_size: 0
    .kernarg_segment_align: 8
    .kernarg_segment_size: 352
    .language:       OpenCL C
    .language_version:
      - 2
      - 0
    .max_flat_workgroup_size: 224
    .name:           _ZL9mul_mat_fI15__hip_bfloat162Li64ELi11ELi7ELb1EEvPKT_PKfPKiPfiiiiiiiiiiiiiiii
    .private_segment_fixed_size: 16
    .sgpr_count:     36
    .sgpr_spill_count: 0
    .symbol:         _ZL9mul_mat_fI15__hip_bfloat162Li64ELi11ELi7ELb1EEvPKT_PKfPKiPfiiiiiiiiiiiiiiii.kd
    .uniform_work_group_size: 1
    .uses_dynamic_stack: false
    .vgpr_count:     38
    .vgpr_spill_count: 0
    .wavefront_size: 32
    .workgroup_processor_mode: 1
  - .args:
      - .actual_access:  read_only
        .address_space:  global
        .offset:         0
        .size:           8
        .value_kind:     global_buffer
      - .actual_access:  read_only
        .address_space:  global
        .offset:         8
        .size:           8
        .value_kind:     global_buffer
      - .actual_access:  read_only
        .address_space:  global
        .offset:         16
        .size:           8
        .value_kind:     global_buffer
      - .actual_access:  read_only
        .address_space:  global
        .offset:         24
        .size:           8
        .value_kind:     global_buffer
      - .offset:         32
        .size:           4
        .value_kind:     by_value
      - .offset:         36
        .size:           4
        .value_kind:     by_value
      - .offset:         40
        .size:           4
        .value_kind:     by_value
      - .offset:         44
        .size:           4
        .value_kind:     by_value
      - .offset:         48
        .size:           4
        .value_kind:     by_value
      - .offset:         52
        .size:           4
        .value_kind:     by_value
      - .offset:         56
        .size:           4
        .value_kind:     by_value
      - .offset:         60
        .size:           4
        .value_kind:     by_value
      - .offset:         64
        .size:           4
        .value_kind:     by_value
      - .offset:         68
        .size:           4
        .value_kind:     by_value
      - .offset:         72
        .size:           4
        .value_kind:     by_value
      - .offset:         76
        .size:           4
        .value_kind:     by_value
      - .offset:         80
        .size:           4
        .value_kind:     by_value
      - .offset:         84
        .size:           4
        .value_kind:     by_value
      - .offset:         88
        .size:           4
        .value_kind:     by_value
      - .offset:         92
        .size:           4
        .value_kind:     by_value
      - .offset:         96
        .size:           4
        .value_kind:     hidden_block_count_x
      - .offset:         100
        .size:           4
        .value_kind:     hidden_block_count_y
      - .offset:         104
        .size:           4
        .value_kind:     hidden_block_count_z
      - .offset:         108
        .size:           2
        .value_kind:     hidden_group_size_x
      - .offset:         110
        .size:           2
        .value_kind:     hidden_group_size_y
      - .offset:         112
        .size:           2
        .value_kind:     hidden_group_size_z
      - .offset:         114
        .size:           2
        .value_kind:     hidden_remainder_x
      - .offset:         116
        .size:           2
        .value_kind:     hidden_remainder_y
      - .offset:         118
        .size:           2
        .value_kind:     hidden_remainder_z
      - .offset:         136
        .size:           8
        .value_kind:     hidden_global_offset_x
      - .offset:         144
        .size:           8
        .value_kind:     hidden_global_offset_y
      - .offset:         152
        .size:           8
        .value_kind:     hidden_global_offset_z
      - .offset:         160
        .size:           2
        .value_kind:     hidden_grid_dims
      - .offset:         176
        .size:           8
        .value_kind:     hidden_hostcall_buffer
    .group_segment_fixed_size: 0
    .kernarg_segment_align: 8
    .kernarg_segment_size: 352
    .language:       OpenCL C
    .language_version:
      - 2
      - 0
    .max_flat_workgroup_size: 224
    .name:           _ZL9mul_mat_fI15__hip_bfloat162Li64ELi11ELi7ELb0EEvPKT_PKfPKiPfiiiiiiiiiiiiiiii
    .private_segment_fixed_size: 16
    .sgpr_count:     36
    .sgpr_spill_count: 0
    .symbol:         _ZL9mul_mat_fI15__hip_bfloat162Li64ELi11ELi7ELb0EEvPKT_PKfPKiPfiiiiiiiiiiiiiiii.kd
    .uniform_work_group_size: 1
    .uses_dynamic_stack: false
    .vgpr_count:     38
    .vgpr_spill_count: 0
    .wavefront_size: 32
    .workgroup_processor_mode: 1
  - .args:
      - .actual_access:  read_only
        .address_space:  global
        .offset:         0
        .size:           8
        .value_kind:     global_buffer
      - .actual_access:  read_only
        .address_space:  global
        .offset:         8
        .size:           8
        .value_kind:     global_buffer
      - .actual_access:  read_only
        .address_space:  global
        .offset:         16
        .size:           8
        .value_kind:     global_buffer
      - .actual_access:  read_only
        .address_space:  global
        .offset:         24
        .size:           8
        .value_kind:     global_buffer
      - .actual_access:  read_only
        .address_space:  global
        .offset:         32
        .size:           8
        .value_kind:     global_buffer
      - .actual_access:  read_only
        .address_space:  global
        .offset:         40
        .size:           8
        .value_kind:     global_buffer
      - .offset:         48
        .size:           4
        .value_kind:     by_value
      - .offset:         52
        .size:           4
        .value_kind:     by_value
      - .offset:         56
        .size:           4
        .value_kind:     by_value
      - .offset:         60
        .size:           4
        .value_kind:     by_value
      - .offset:         64
        .size:           4
        .value_kind:     by_value
      - .offset:         68
        .size:           4
        .value_kind:     by_value
      - .offset:         72
        .size:           4
        .value_kind:     by_value
      - .offset:         76
        .size:           4
        .value_kind:     by_value
      - .offset:         80
        .size:           4
        .value_kind:     by_value
      - .offset:         84
        .size:           4
        .value_kind:     by_value
      - .offset:         88
        .size:           4
        .value_kind:     by_value
      - .offset:         92
        .size:           4
        .value_kind:     by_value
      - .offset:         96
        .size:           4
        .value_kind:     by_value
      - .offset:         100
        .size:           4
        .value_kind:     by_value
      - .offset:         104
        .size:           12
        .value_kind:     by_value
      - .offset:         116
        .size:           12
        .value_kind:     by_value
      - .offset:         128
        .size:           4
        .value_kind:     hidden_block_count_x
      - .offset:         132
        .size:           4
        .value_kind:     hidden_block_count_y
      - .offset:         136
        .size:           4
        .value_kind:     hidden_block_count_z
      - .offset:         140
        .size:           2
        .value_kind:     hidden_group_size_x
      - .offset:         142
        .size:           2
        .value_kind:     hidden_group_size_y
      - .offset:         144
        .size:           2
        .value_kind:     hidden_group_size_z
      - .offset:         146
        .size:           2
        .value_kind:     hidden_remainder_x
      - .offset:         148
        .size:           2
        .value_kind:     hidden_remainder_y
      - .offset:         150
        .size:           2
        .value_kind:     hidden_remainder_z
      - .offset:         168
        .size:           8
        .value_kind:     hidden_global_offset_x
      - .offset:         176
        .size:           8
        .value_kind:     hidden_global_offset_y
      - .offset:         184
        .size:           8
        .value_kind:     hidden_global_offset_z
      - .offset:         192
        .size:           2
        .value_kind:     hidden_grid_dims
      - .offset:         208
        .size:           8
        .value_kind:     hidden_hostcall_buffer
    .group_segment_fixed_size: 0
    .kernarg_segment_align: 8
    .kernarg_segment_size: 384
    .language:       OpenCL C
    .language_version:
      - 2
      - 0
    .max_flat_workgroup_size: 256
    .name:           _ZL13mul_mat_f_idsI15__hip_bfloat162Li64ELi11ELi8EEvPKT_PKfPKiS7_S7_Pfiiiiiiiiiiiiii15HIP_vector_typeIjLj3EESA_
    .private_segment_fixed_size: 16
    .sgpr_count:     36
    .sgpr_spill_count: 0
    .symbol:         _ZL13mul_mat_f_idsI15__hip_bfloat162Li64ELi11ELi8EEvPKT_PKfPKiS7_S7_Pfiiiiiiiiiiiiii15HIP_vector_typeIjLj3EESA_.kd
    .uniform_work_group_size: 1
    .uses_dynamic_stack: false
    .vgpr_count:     38
    .vgpr_spill_count: 0
    .wavefront_size: 32
    .workgroup_processor_mode: 1
  - .args:
      - .actual_access:  read_only
        .address_space:  global
        .offset:         0
        .size:           8
        .value_kind:     global_buffer
      - .actual_access:  read_only
        .address_space:  global
        .offset:         8
        .size:           8
        .value_kind:     global_buffer
      - .actual_access:  read_only
        .address_space:  global
        .offset:         16
        .size:           8
        .value_kind:     global_buffer
      - .actual_access:  read_only
        .address_space:  global
        .offset:         24
        .size:           8
        .value_kind:     global_buffer
      - .offset:         32
        .size:           4
        .value_kind:     by_value
      - .offset:         36
        .size:           4
        .value_kind:     by_value
      - .offset:         40
        .size:           4
        .value_kind:     by_value
      - .offset:         44
        .size:           4
        .value_kind:     by_value
      - .offset:         48
        .size:           4
        .value_kind:     by_value
      - .offset:         52
        .size:           4
        .value_kind:     by_value
      - .offset:         56
        .size:           4
        .value_kind:     by_value
      - .offset:         60
        .size:           4
        .value_kind:     by_value
      - .offset:         64
        .size:           4
        .value_kind:     by_value
      - .offset:         68
        .size:           4
        .value_kind:     by_value
      - .offset:         72
        .size:           4
        .value_kind:     by_value
      - .offset:         76
        .size:           4
        .value_kind:     by_value
      - .offset:         80
        .size:           4
        .value_kind:     by_value
      - .offset:         84
        .size:           4
        .value_kind:     by_value
      - .offset:         88
        .size:           4
        .value_kind:     by_value
      - .offset:         92
        .size:           4
        .value_kind:     by_value
      - .offset:         96
        .size:           4
        .value_kind:     hidden_block_count_x
      - .offset:         100
        .size:           4
        .value_kind:     hidden_block_count_y
      - .offset:         104
        .size:           4
        .value_kind:     hidden_block_count_z
      - .offset:         108
        .size:           2
        .value_kind:     hidden_group_size_x
      - .offset:         110
        .size:           2
        .value_kind:     hidden_group_size_y
      - .offset:         112
        .size:           2
        .value_kind:     hidden_group_size_z
      - .offset:         114
        .size:           2
        .value_kind:     hidden_remainder_x
      - .offset:         116
        .size:           2
        .value_kind:     hidden_remainder_y
      - .offset:         118
        .size:           2
        .value_kind:     hidden_remainder_z
      - .offset:         136
        .size:           8
        .value_kind:     hidden_global_offset_x
      - .offset:         144
        .size:           8
        .value_kind:     hidden_global_offset_y
      - .offset:         152
        .size:           8
        .value_kind:     hidden_global_offset_z
      - .offset:         160
        .size:           2
        .value_kind:     hidden_grid_dims
      - .offset:         176
        .size:           8
        .value_kind:     hidden_hostcall_buffer
    .group_segment_fixed_size: 0
    .kernarg_segment_align: 8
    .kernarg_segment_size: 352
    .language:       OpenCL C
    .language_version:
      - 2
      - 0
    .max_flat_workgroup_size: 256
    .name:           _ZL9mul_mat_fI15__hip_bfloat162Li64ELi11ELi8ELb1EEvPKT_PKfPKiPfiiiiiiiiiiiiiiii
    .private_segment_fixed_size: 16
    .sgpr_count:     36
    .sgpr_spill_count: 0
    .symbol:         _ZL9mul_mat_fI15__hip_bfloat162Li64ELi11ELi8ELb1EEvPKT_PKfPKiPfiiiiiiiiiiiiiiii.kd
    .uniform_work_group_size: 1
    .uses_dynamic_stack: false
    .vgpr_count:     38
    .vgpr_spill_count: 0
    .wavefront_size: 32
    .workgroup_processor_mode: 1
  - .args:
      - .actual_access:  read_only
        .address_space:  global
        .offset:         0
        .size:           8
        .value_kind:     global_buffer
      - .actual_access:  read_only
        .address_space:  global
        .offset:         8
        .size:           8
        .value_kind:     global_buffer
      - .actual_access:  read_only
        .address_space:  global
        .offset:         16
        .size:           8
        .value_kind:     global_buffer
      - .actual_access:  read_only
        .address_space:  global
        .offset:         24
        .size:           8
        .value_kind:     global_buffer
      - .offset:         32
        .size:           4
        .value_kind:     by_value
      - .offset:         36
        .size:           4
        .value_kind:     by_value
      - .offset:         40
        .size:           4
        .value_kind:     by_value
      - .offset:         44
        .size:           4
        .value_kind:     by_value
      - .offset:         48
        .size:           4
        .value_kind:     by_value
      - .offset:         52
        .size:           4
        .value_kind:     by_value
      - .offset:         56
        .size:           4
        .value_kind:     by_value
      - .offset:         60
        .size:           4
        .value_kind:     by_value
      - .offset:         64
        .size:           4
        .value_kind:     by_value
      - .offset:         68
        .size:           4
        .value_kind:     by_value
      - .offset:         72
        .size:           4
        .value_kind:     by_value
      - .offset:         76
        .size:           4
        .value_kind:     by_value
      - .offset:         80
        .size:           4
        .value_kind:     by_value
      - .offset:         84
        .size:           4
        .value_kind:     by_value
      - .offset:         88
        .size:           4
        .value_kind:     by_value
      - .offset:         92
        .size:           4
        .value_kind:     by_value
      - .offset:         96
        .size:           4
        .value_kind:     hidden_block_count_x
      - .offset:         100
        .size:           4
        .value_kind:     hidden_block_count_y
      - .offset:         104
        .size:           4
        .value_kind:     hidden_block_count_z
      - .offset:         108
        .size:           2
        .value_kind:     hidden_group_size_x
      - .offset:         110
        .size:           2
        .value_kind:     hidden_group_size_y
      - .offset:         112
        .size:           2
        .value_kind:     hidden_group_size_z
      - .offset:         114
        .size:           2
        .value_kind:     hidden_remainder_x
      - .offset:         116
        .size:           2
        .value_kind:     hidden_remainder_y
      - .offset:         118
        .size:           2
        .value_kind:     hidden_remainder_z
      - .offset:         136
        .size:           8
        .value_kind:     hidden_global_offset_x
      - .offset:         144
        .size:           8
        .value_kind:     hidden_global_offset_y
      - .offset:         152
        .size:           8
        .value_kind:     hidden_global_offset_z
      - .offset:         160
        .size:           2
        .value_kind:     hidden_grid_dims
      - .offset:         176
        .size:           8
        .value_kind:     hidden_hostcall_buffer
    .group_segment_fixed_size: 0
    .kernarg_segment_align: 8
    .kernarg_segment_size: 352
    .language:       OpenCL C
    .language_version:
      - 2
      - 0
    .max_flat_workgroup_size: 256
    .name:           _ZL9mul_mat_fI15__hip_bfloat162Li64ELi11ELi8ELb0EEvPKT_PKfPKiPfiiiiiiiiiiiiiiii
    .private_segment_fixed_size: 16
    .sgpr_count:     36
    .sgpr_spill_count: 0
    .symbol:         _ZL9mul_mat_fI15__hip_bfloat162Li64ELi11ELi8ELb0EEvPKT_PKfPKiPfiiiiiiiiiiiiiiii.kd
    .uniform_work_group_size: 1
    .uses_dynamic_stack: false
    .vgpr_count:     38
    .vgpr_spill_count: 0
    .wavefront_size: 32
    .workgroup_processor_mode: 1
amdhsa.target:   amdgcn-amd-amdhsa--gfx1100
amdhsa.version:
  - 1
  - 2
...

	.end_amdgpu_metadata
